;; amdgpu-corpus repo=vllm-project/vllm kind=compiled arch=gfx1100 opt=O3
	.text
	.amdgcn_target "amdgcn-amd-amdhsa--gfx1100"
	.amdhsa_code_object_version 6
	.protected	_ZN4vllm4gptq31reconstruct_exllama_8bit_kernelEPKjPKiS2_PK6__halfiiibPS5_ ; -- Begin function _ZN4vllm4gptq31reconstruct_exllama_8bit_kernelEPKjPKiS2_PK6__halfiiibPS5_
	.globl	_ZN4vllm4gptq31reconstruct_exllama_8bit_kernelEPKjPKiS2_PK6__halfiiibPS5_
	.p2align	8
	.type	_ZN4vllm4gptq31reconstruct_exllama_8bit_kernelEPKjPKiS2_PK6__halfiiibPS5_,@function
_ZN4vllm4gptq31reconstruct_exllama_8bit_kernelEPKjPKiS2_PK6__halfiiibPS5_: ; @_ZN4vllm4gptq31reconstruct_exllama_8bit_kernelEPKjPKiS2_PK6__halfiiibPS5_
; %bb.0:
	s_clause 0x1
	s_load_b64 s[2:3], s[0:1], 0x8
	s_load_b128 s[4:7], s[0:1], 0x20
	s_lshl_b32 s15, s15, 7
	s_waitcnt lgkmcnt(0)
	s_cmp_lg_u64 s[2:3], 0
	s_cselect_b32 s16, -1, 0
	s_cmp_eq_u64 s[2:3], 0
	s_cbranch_scc1 .LBB0_4
; %bb.1:
	v_add_nc_u32_e32 v1, s15, v0
	s_mov_b32 s8, exec_lo
	s_delay_alu instid0(VALU_DEP_1)
	v_cmpx_gt_u32_e64 s4, v1
	s_cbranch_execz .LBB0_3
; %bb.2:
	v_mov_b32_e32 v2, 0
	s_delay_alu instid0(VALU_DEP_1) | instskip(NEXT) | instid1(VALU_DEP_1)
	v_lshlrev_b64 v[1:2], 2, v[1:2]
	v_add_co_u32 v1, vcc_lo, s2, v1
	s_delay_alu instid0(VALU_DEP_2)
	v_add_co_ci_u32_e32 v2, vcc_lo, s3, v2, vcc_lo
	global_load_b32 v1, v[1:2], off
	v_lshlrev_b32_e32 v2, 2, v0
	s_waitcnt vmcnt(0)
	ds_store_b32 v2, v1
.LBB0_3:
	s_or_b32 exec_lo, exec_lo, s8
.LBB0_4:
	v_lshlrev_b32_e32 v23, 2, v0
	s_lshl_b32 s14, s14, 9
	s_mov_b32 s2, exec_lo
	s_delay_alu instid0(VALU_DEP_1) | instskip(NEXT) | instid1(VALU_DEP_1)
	v_add_nc_u32_e32 v0, s14, v23
	v_cmpx_gt_i32_e64 s5, v0
	s_cbranch_execz .LBB0_17
; %bb.5:
	s_add_i32 s2, s15, 0x80
	v_cvt_f64_i32_e32 v[1:2], s4
	v_cvt_f64_u32_e32 v[3:4], s2
	s_abs_i32 s2, s6
	s_abs_i32 s9, s4
	v_cvt_f32_u32_e32 v5, s2
	s_sub_i32 s8, 0, s2
	s_xor_b32 s4, s4, s6
	s_mov_b32 s17, 0
	s_ashr_i32 s4, s4, 31
	s_waitcnt lgkmcnt(0)
	s_barrier
	buffer_gl0_inv
	v_min_f64 v[1:2], v[3:4], v[1:2]
	v_rcp_iflag_f32_e32 v3, v5
	s_waitcnt_depctr 0xfff
	v_mul_f32_e32 v3, 0x4f7ffffe, v3
	s_delay_alu instid0(VALU_DEP_1) | instskip(NEXT) | instid1(VALU_DEP_1)
	v_cvt_u32_f32_e32 v3, v3
	v_readfirstlane_b32 s3, v3
	s_delay_alu instid0(VALU_DEP_1) | instskip(NEXT) | instid1(SALU_CYCLE_1)
	s_mul_i32 s8, s8, s3
	s_mul_hi_u32 s8, s3, s8
	s_delay_alu instid0(SALU_CYCLE_1) | instskip(NEXT) | instid1(SALU_CYCLE_1)
	s_add_i32 s3, s3, s8
	s_mul_hi_u32 s3, s9, s3
	s_delay_alu instid0(SALU_CYCLE_1) | instskip(SKIP_2) | instid1(SALU_CYCLE_1)
	s_mul_i32 s6, s3, s2
	s_add_i32 s8, s3, 1
	s_sub_i32 s6, s9, s6
	s_sub_i32 s9, s6, s2
	v_cvt_i32_f64_e32 v24, v[1:2]
	s_cmp_ge_u32 s6, s2
	s_cselect_b32 s3, s8, s3
	s_cselect_b32 s6, s9, s6
	s_add_i32 s8, s3, 1
	s_cmp_ge_u32 s6, s2
	s_cselect_b32 s2, s8, s3
	s_delay_alu instid0(SALU_CYCLE_1) | instskip(NEXT) | instid1(SALU_CYCLE_1)
	s_xor_b32 s2, s2, s4
	s_sub_i32 s4, s2, s4
	s_delay_alu instid0(SALU_CYCLE_1) | instskip(NEXT) | instid1(VALU_DEP_1)
	v_cvt_f32_u32_e32 v1, s4
	v_rcp_iflag_f32_e32 v1, v1
	s_waitcnt_depctr 0xfff
	v_mul_f32_e32 v1, 0x4f7ffffe, v1
	s_delay_alu instid0(VALU_DEP_1) | instskip(SKIP_1) | instid1(VALU_DEP_2)
	v_cvt_u32_f32_e32 v1, v1
	v_cmp_ge_i32_e32 vcc_lo, s15, v24
	v_readfirstlane_b32 s2, v1
	s_cbranch_vccnz .LBB0_17
; %bb.6:
	s_sub_i32 s3, 0, s4
	v_ashrrev_i32_e32 v25, 2, v0
	s_delay_alu instid0(VALU_DEP_2)
	s_mul_i32 s3, s3, s2
	s_mov_b32 s28, s5
	s_mul_hi_u32 s3, s2, s3
	s_mov_b32 s27, s15
	s_add_i32 s2, s2, s3
	s_load_b64 s[12:13], s[0:1], 0x0
	s_mul_hi_u32 s2, s15, s2
	s_delay_alu instid0(SALU_CYCLE_1) | instskip(SKIP_2) | instid1(SALU_CYCLE_1)
	s_mul_i32 s3, s2, s4
	s_add_i32 s6, s2, 1
	s_sub_i32 s3, s15, s3
	s_sub_i32 s8, s3, s4
	s_cmp_ge_u32 s3, s4
	s_cselect_b32 s2, s6, s2
	s_cselect_b32 s3, s8, s3
	s_add_i32 s6, s2, 1
	s_cmp_ge_u32 s3, s4
	s_load_b128 s[8:11], s[0:1], 0x10
	s_cselect_b32 s18, s6, s2
	s_delay_alu instid0(SALU_CYCLE_1) | instskip(NEXT) | instid1(SALU_CYCLE_1)
	s_mul_i32 s2, s18, s5
	s_ashr_i32 s3, s2, 31
	v_add_nc_u32_e32 v1, s2, v0
	s_lshr_b32 s3, s3, 30
	s_delay_alu instid0(SALU_CYCLE_1) | instskip(NEXT) | instid1(VALU_DEP_1)
	s_add_i32 s2, s2, s3
	v_ashrrev_i32_e32 v2, 31, v1
	s_ashr_i32 s2, s2, 2
	s_bitcmp1_b32 s7, 0
	v_add_nc_u32_e32 v3, s2, v25
	s_load_b64 s[2:3], s[0:1], 0x30
	v_lshlrev_b64 v[1:2], 1, v[1:2]
	s_cselect_b32 s6, -1, 0
	s_lshr_b32 s7, s15, 2
	v_ashrrev_i32_e32 v4, 31, v3
	s_mul_i32 s0, s7, s5
	s_xor_b32 s6, s6, -1
	s_waitcnt lgkmcnt(0)
	v_add_co_u32 v1, vcc_lo, s10, v1
	v_lshlrev_b64 v[3:4], 2, v[3:4]
	v_add_co_ci_u32_e32 v2, vcc_lo, s11, v2, vcc_lo
	s_ashr_i32 s1, s0, 31
	v_cndmask_b32_e64 v26, 0, 1, s6
	s_lshl_b64 s[0:1], s[0:1], 2
	s_delay_alu instid0(VALU_DEP_3)
	v_add_co_u32 v3, vcc_lo, s8, v3
	v_add_co_ci_u32_e32 v4, vcc_lo, s9, v4, vcc_lo
	s_add_u32 s0, s12, s0
	global_load_b64 v[5:6], v[1:2], off
	global_load_b32 v3, v[3:4], off
	v_ashrrev_i32_e32 v1, 31, v0
	s_addc_u32 s6, s13, s1
	s_ashr_i32 s29, s5, 31
	s_add_i32 s1, s4, s15
	s_add_i32 s19, s15, 7
	v_lshlrev_b64 v[1:2], 2, v[0:1]
	s_add_i32 s20, s15, 6
	s_lshl_b32 s21, s5, 3
	s_add_i32 s22, s15, 5
	s_add_i32 s23, s15, 4
	;; [unrolled: 1-line block ×3, first 2 shown]
	v_add_co_u32 v1, vcc_lo, s0, v1
	v_add_co_ci_u32_e32 v2, vcc_lo, s6, v2, vcc_lo
	s_add_i32 s25, s15, 3
	s_lshl_b64 s[6:7], s[28:29], 3
	s_add_i32 s26, s15, 2
	s_lshl_b64 s[12:13], s[28:29], 2
	s_waitcnt vmcnt(1)
	v_perm_b32 v30, v6, v6, 0x7060302
	v_perm_b32 v27, v6, v6, 0x5040100
	;; [unrolled: 1-line block ×4, first 2 shown]
	s_waitcnt vmcnt(0)
	v_and_b32_e32 v31, 0xff, v3
	v_bfe_u32 v32, v3, 8, 8
	v_bfe_u32 v33, v3, 16, 8
	v_lshrrev_b32_e32 v34, 24, v3
	s_branch .LBB0_8
.LBB0_7:                                ;   in Loop: Header=BB0_8 Depth=1
	s_add_i32 s27, s27, 32
	v_add_co_u32 v1, s0, v1, s6
	v_cmp_ge_i32_e32 vcc_lo, s27, v24
	v_add_co_ci_u32_e64 v2, s0, s7, v2, s0
	s_cbranch_vccnz .LBB0_17
.LBB0_8:                                ; =>This Loop Header: Depth=1
                                        ;     Child Loop BB0_11 Depth 2
	s_cmp_lg_u32 s27, s1
	s_cbranch_scc1 .LBB0_10
; %bb.9:                                ;   in Loop: Header=BB0_8 Depth=1
	s_add_i32 s18, s18, 1
	s_add_i32 s1, s1, s4
	s_mul_i32 s0, s18, s5
	s_delay_alu instid0(SALU_CYCLE_1) | instskip(SKIP_2) | instid1(SALU_CYCLE_1)
	s_ashr_i32 s28, s0, 31
	v_add_nc_u32_e32 v3, s0, v0
	s_lshr_b32 s28, s28, 30
	s_add_i32 s0, s0, s28
	s_delay_alu instid0(VALU_DEP_1) | instskip(SKIP_1) | instid1(SALU_CYCLE_1)
	v_ashrrev_i32_e32 v4, 31, v3
	s_ashr_i32 s0, s0, 2
	v_add_nc_u32_e32 v5, s0, v25
	s_delay_alu instid0(VALU_DEP_2) | instskip(NEXT) | instid1(VALU_DEP_2)
	v_lshlrev_b64 v[3:4], 1, v[3:4]
	v_ashrrev_i32_e32 v6, 31, v5
	s_delay_alu instid0(VALU_DEP_2) | instskip(NEXT) | instid1(VALU_DEP_2)
	v_add_co_u32 v3, vcc_lo, s10, v3
	v_lshlrev_b64 v[5:6], 2, v[5:6]
	s_delay_alu instid0(VALU_DEP_4) | instskip(NEXT) | instid1(VALU_DEP_2)
	v_add_co_ci_u32_e32 v4, vcc_lo, s11, v4, vcc_lo
	v_add_co_u32 v5, vcc_lo, s8, v5
	s_delay_alu instid0(VALU_DEP_3)
	v_add_co_ci_u32_e32 v6, vcc_lo, s9, v6, vcc_lo
	global_load_b64 v[3:4], v[3:4], off
	global_load_b32 v5, v[5:6], off
	s_waitcnt vmcnt(1)
	v_perm_b32 v29, v3, v3, 0x5040100
	v_perm_b32 v28, v3, v3, 0x7060302
	;; [unrolled: 1-line block ×3, first 2 shown]
	s_waitcnt vmcnt(0)
	v_and_b32_e32 v31, 0xff, v5
	v_bfe_u32 v32, v5, 8, 8
	v_bfe_u32 v33, v5, 16, 8
	v_lshrrev_b32_e32 v34, 24, v5
	v_perm_b32 v30, v4, v4, 0x7060302
.LBB0_10:                               ;   in Loop: Header=BB0_8 Depth=1
	s_add_i32 s0, s20, s17
	s_add_i32 s28, s22, s17
	;; [unrolled: 1-line block ×7, first 2 shown]
	v_add_nc_u32_e32 v35, v31, v26
	v_add_nc_u32_e32 v36, v32, v26
	;; [unrolled: 1-line block ×4, first 2 shown]
	s_mul_i32 s0, s5, s0
	s_mul_i32 s28, s5, s28
	;; [unrolled: 1-line block ×7, first 2 shown]
	s_add_i32 s0, s14, s0
	s_add_i32 s28, s14, s28
	;; [unrolled: 1-line block ×7, first 2 shown]
	s_lshl_b32 s35, s17, 2
	s_mov_b32 s36, 0
.LBB0_11:                               ;   Parent Loop BB0_8 Depth=1
                                        ; =>  This Inner Loop Header: Depth=2
	s_delay_alu instid0(VALU_DEP_1)
	v_add_co_u32 v3, vcc_lo, v1, s12
	global_load_b128 v[5:8], v[1:2], off
	v_add_co_ci_u32_e32 v4, vcc_lo, s13, v2, vcc_lo
	s_and_not1_b32 vcc_lo, exec_lo, s16
	global_load_b128 v[9:12], v[3:4], off
	s_waitcnt vmcnt(1)
	v_and_b32_e32 v13, 0xff, v5
	v_bfe_u32 v14, v5, 8, 8
	v_bfe_u32 v15, v5, 16, 8
	v_lshrrev_b32_e32 v5, 24, v5
	v_and_b32_e32 v16, 0xff, v6
	v_bfe_u32 v17, v6, 8, 8
	v_bfe_u32 v18, v6, 16, 8
	v_lshrrev_b32_e32 v6, 24, v6
	;; [unrolled: 4-line block ×4, first 2 shown]
	v_sub_nc_u32_e32 v13, v13, v35
	v_sub_nc_u32_e32 v14, v14, v35
	v_sub_nc_u32_e32 v15, v15, v35
	v_sub_nc_u32_e32 v5, v5, v35
	s_waitcnt vmcnt(0)
	v_and_b32_e32 v41, 0xff, v9
	v_bfe_u32 v42, v9, 8, 8
	v_bfe_u32 v43, v9, 16, 8
	v_lshrrev_b32_e32 v9, 24, v9
	v_sub_nc_u32_e32 v16, v16, v36
	v_sub_nc_u32_e32 v17, v17, v36
	;; [unrolled: 1-line block ×4, first 2 shown]
	v_and_b32_e32 v44, 0xff, v10
	v_bfe_u32 v45, v10, 8, 8
	v_bfe_u32 v46, v10, 16, 8
	v_lshrrev_b32_e32 v10, 24, v10
	v_sub_nc_u32_e32 v19, v19, v37
	v_sub_nc_u32_e32 v20, v20, v37
	;; [unrolled: 1-line block ×4, first 2 shown]
	v_and_b32_e32 v47, 0xff, v11
	v_bfe_u32 v48, v11, 8, 8
	v_bfe_u32 v49, v11, 16, 8
	v_lshrrev_b32_e32 v11, 24, v11
	v_and_b32_e32 v50, 0xff, v12
	v_bfe_u32 v51, v12, 8, 8
	v_bfe_u32 v52, v12, 16, 8
	v_lshrrev_b32_e32 v12, 24, v12
	v_sub_nc_u32_e32 v22, v22, v38
	v_sub_nc_u32_e32 v39, v39, v38
	v_sub_nc_u32_e32 v40, v40, v38
	v_sub_nc_u32_e32 v8, v8, v38
	v_cvt_f32_i32_e32 v13, v13
	v_cvt_f32_i32_e32 v14, v14
	v_cvt_f32_i32_e32 v15, v15
	v_cvt_f32_i32_e32 v5, v5
	v_sub_nc_u32_e32 v41, v41, v35
	v_sub_nc_u32_e32 v42, v42, v35
	v_sub_nc_u32_e32 v43, v43, v35
	v_sub_nc_u32_e32 v9, v9, v35
	v_cvt_f32_i32_e32 v16, v16
	v_cvt_f32_i32_e32 v17, v17
	v_cvt_f32_i32_e32 v18, v18
	v_cvt_f32_i32_e32 v6, v6
	;; [unrolled: 8-line block ×3, first 2 shown]
	v_sub_nc_u32_e32 v47, v47, v37
	v_sub_nc_u32_e32 v48, v48, v37
	;; [unrolled: 1-line block ×8, first 2 shown]
	v_cvt_f32_i32_e32 v22, v22
	v_cvt_f32_i32_e32 v39, v39
	v_cvt_f32_i32_e32 v40, v40
	v_cvt_f32_i32_e32 v8, v8
	v_cvt_f16_f32_e32 v13, v13
	v_cvt_f16_f32_e32 v14, v14
	v_cvt_f16_f32_e32 v15, v15
	v_cvt_f16_f32_e32 v5, v5
	v_cvt_f32_i32_e32 v41, v41
	v_cvt_f32_i32_e32 v42, v42
	v_cvt_f32_i32_e32 v43, v43
	v_cvt_f32_i32_e32 v9, v9
	v_cvt_f16_f32_e32 v16, v16
	v_cvt_f16_f32_e32 v17, v17
	v_cvt_f16_f32_e32 v18, v18
	v_cvt_f16_f32_e32 v6, v6
	;; [unrolled: 8-line block ×3, first 2 shown]
	v_cvt_f32_i32_e32 v47, v47
	v_cvt_f32_i32_e32 v48, v48
	;; [unrolled: 1-line block ×8, first 2 shown]
	v_cvt_f16_f32_e32 v22, v22
	v_cvt_f16_f32_e32 v39, v39
	v_cvt_f16_f32_e32 v40, v40
	v_cvt_f16_f32_e32 v8, v8
	v_cvt_f16_f32_e32 v41, v41
	v_cvt_f16_f32_e32 v42, v42
	v_cvt_f16_f32_e32 v43, v43
	v_cvt_f16_f32_e32 v9, v9
	v_pack_b32_f16 v13, v13, v14
	v_pack_b32_f16 v5, v15, v5
	v_cvt_f16_f32_e32 v14, v44
	v_cvt_f16_f32_e32 v15, v45
	v_cvt_f16_f32_e32 v44, v46
	v_cvt_f16_f32_e32 v10, v10
	v_pack_b32_f16 v16, v16, v17
	v_pack_b32_f16 v6, v18, v6
	v_cvt_f16_f32_e32 v17, v47
	v_cvt_f16_f32_e32 v18, v48
	v_cvt_f16_f32_e32 v45, v49
	v_cvt_f16_f32_e32 v11, v11
	;; [unrolled: 6-line block ×3, first 2 shown]
	v_pack_b32_f16 v22, v22, v39
	v_pack_b32_f16 v8, v40, v8
	;; [unrolled: 1-line block ×10, first 2 shown]
	v_pk_mul_f16 v20, v29, v13
	v_pk_mul_f16 v16, v28, v16
	;; [unrolled: 1-line block ×16, first 2 shown]
	v_perm_b32 v13, v16, v20, 0x7060302
	v_perm_b32 v14, v40, v19, 0x7060302
	;; [unrolled: 1-line block ×4, first 2 shown]
	v_pack_b32_f16 v15, v5, v6
	v_pack_b32_f16 v16, v7, v8
	v_perm_b32 v5, v6, v5, 0x7060302
	v_perm_b32 v6, v8, v7, 0x7060302
	v_pack_b32_f16 v7, v39, v43
	v_pack_b32_f16 v8, v44, v45
	v_perm_b32 v9, v43, v39, 0x7060302
	v_perm_b32 v10, v45, v44, 0x7060302
	;; [unrolled: 4-line block ×3, first 2 shown]
	s_cbranch_vccnz .LBB0_16
; %bb.12:                               ;   in Loop: Header=BB0_11 Depth=2
	s_add_i32 s37, s35, s36
	v_perm_b32 v21, v22, v21, 0x7060302
	v_mov_b32_e32 v19, s37
	v_perm_b32 v22, v42, v41, 0x7060302
	ds_load_2addr_b32 v[43:44], v19 offset1:1
	ds_load_2addr_b32 v[45:46], v19 offset0:2 offset1:3
	ds_load_2addr_b32 v[47:48], v19 offset0:4 offset1:5
	;; [unrolled: 1-line block ×3, first 2 shown]
	s_waitcnt lgkmcnt(3)
	v_mad_u64_u32 v[49:50], null, v43, s5, v[0:1]
	v_mad_u64_u32 v[51:52], null, v44, s5, v[0:1]
	s_waitcnt lgkmcnt(2)
	v_mad_u64_u32 v[43:44], null, v45, s5, v[0:1]
	v_mad_u64_u32 v[53:54], null, v46, s5, v[0:1]
	s_delay_alu instid0(VALU_DEP_4)
	v_ashrrev_i32_e32 v50, 31, v49
	s_waitcnt lgkmcnt(1)
	v_mad_u64_u32 v[45:46], null, v47, s5, v[0:1]
	v_ashrrev_i32_e32 v52, 31, v51
	v_mad_u64_u32 v[55:56], null, v48, s5, v[0:1]
	s_waitcnt lgkmcnt(0)
	v_mad_u64_u32 v[47:48], null, v19, s5, v[0:1]
	v_lshlrev_b64 v[48:49], 1, v[49:50]
	v_ashrrev_i32_e32 v44, 31, v43
	v_lshlrev_b64 v[50:51], 1, v[51:52]
	v_ashrrev_i32_e32 v54, 31, v53
	v_ashrrev_i32_e32 v46, 31, v45
	v_ashrrev_i32_e32 v56, 31, v55
	v_lshlrev_b64 v[43:44], 1, v[43:44]
	v_add_co_u32 v48, vcc_lo, s2, v48
	v_add_co_ci_u32_e32 v49, vcc_lo, s3, v49, vcc_lo
	v_lshlrev_b64 v[52:53], 1, v[53:54]
	v_add_co_u32 v50, vcc_lo, s2, v50
	v_add_co_ci_u32_e32 v51, vcc_lo, s3, v51, vcc_lo
	v_add_co_u32 v43, vcc_lo, s2, v43
	v_add_co_ci_u32_e32 v44, vcc_lo, s3, v44, vcc_lo
	v_add_co_u32 v52, vcc_lo, s2, v52
	v_lshlrev_b64 v[45:46], 1, v[45:46]
	v_add_co_ci_u32_e32 v53, vcc_lo, s3, v53, vcc_lo
	s_clause 0x3
	global_store_b64 v[48:49], v[17:18], off
	global_store_b64 v[50:51], v[13:14], off
	;; [unrolled: 1-line block ×4, first 2 shown]
	v_ashrrev_i32_e32 v48, 31, v47
	v_lshlrev_b64 v[54:55], 1, v[55:56]
	v_add_co_u32 v43, vcc_lo, s2, v45
	v_add_co_ci_u32_e32 v44, vcc_lo, s3, v46, vcc_lo
	s_delay_alu instid0(VALU_DEP_4) | instskip(NEXT) | instid1(VALU_DEP_4)
	v_lshlrev_b64 v[45:46], 1, v[47:48]
	v_add_co_u32 v47, vcc_lo, s2, v54
	v_add_co_ci_u32_e32 v48, vcc_lo, s3, v55, vcc_lo
	s_clause 0x1
	global_store_b64 v[43:44], v[7:8], off
	global_store_b64 v[47:48], v[9:10], off
	v_add_co_u32 v45, vcc_lo, s2, v45
	v_add_co_ci_u32_e32 v46, vcc_lo, s3, v46, vcc_lo
	global_store_b64 v[45:46], v[11:12], off
	s_cbranch_execnz .LBB0_14
.LBB0_13:                               ;   in Loop: Header=BB0_11 Depth=2
	s_add_i32 s37, s19, s17
	v_add_nc_u32_e32 v19, s34, v23
	v_add_nc_u32_e32 v21, s30, v23
	;; [unrolled: 1-line block ×5, first 2 shown]
	v_ashrrev_i32_e32 v20, 31, v19
	v_ashrrev_i32_e32 v22, 31, v21
	v_ashrrev_i32_e32 v42, 31, v41
	v_ashrrev_i32_e32 v44, 31, v43
	v_ashrrev_i32_e32 v46, 31, v45
	v_lshlrev_b64 v[19:20], 1, v[19:20]
	v_lshlrev_b64 v[21:22], 1, v[21:22]
	;; [unrolled: 1-line block ×3, first 2 shown]
	s_delay_alu instid0(VALU_DEP_3) | instskip(NEXT) | instid1(VALU_DEP_4)
	v_add_co_u32 v19, vcc_lo, s2, v19
	v_add_co_ci_u32_e32 v20, vcc_lo, s3, v20, vcc_lo
	s_delay_alu instid0(VALU_DEP_4)
	v_add_co_u32 v21, vcc_lo, s2, v21
	v_add_co_ci_u32_e32 v22, vcc_lo, s3, v22, vcc_lo
	global_store_b64 v[19:20], v[17:18], off
	v_add_co_u32 v17, vcc_lo, s2, v41
	v_add_co_ci_u32_e32 v18, vcc_lo, s3, v42, vcc_lo
	v_add_nc_u32_e32 v19, s28, v23
	global_store_b64 v[21:22], v[13:14], off
	v_mov_b32_e32 v22, v40
	global_store_b64 v[17:18], v[15:16], off
	v_add_nc_u32_e32 v17, s0, v23
	v_lshlrev_b64 v[13:14], 1, v[43:44]
	v_ashrrev_i32_e32 v20, 31, v19
	v_lshlrev_b64 v[15:16], 1, v[45:46]
	v_mov_b32_e32 v21, v39
	v_ashrrev_i32_e32 v18, 31, v17
	v_add_co_u32 v13, vcc_lo, s2, v13
	v_lshlrev_b64 v[19:20], 1, v[19:20]
	v_add_co_ci_u32_e32 v14, vcc_lo, s3, v14, vcc_lo
	v_add_co_u32 v15, vcc_lo, s2, v15
	v_lshlrev_b64 v[17:18], 1, v[17:18]
	v_add_co_ci_u32_e32 v16, vcc_lo, s3, v16, vcc_lo
	v_add_co_u32 v41, vcc_lo, s2, v19
	v_add_co_ci_u32_e32 v42, vcc_lo, s3, v20, vcc_lo
	v_mov_b32_e32 v20, s37
	v_add_co_u32 v17, vcc_lo, s2, v17
	v_add_co_ci_u32_e32 v18, vcc_lo, s3, v18, vcc_lo
	s_clause 0x3
	global_store_b64 v[13:14], v[5:6], off
	global_store_b64 v[15:16], v[7:8], off
	;; [unrolled: 1-line block ×4, first 2 shown]
.LBB0_14:                               ;   in Loop: Header=BB0_11 Depth=2
	v_mad_u64_u32 v[5:6], null, v20, s5, v[0:1]
	s_add_i32 s36, s36, 32
	s_add_i32 s17, s17, 8
	;; [unrolled: 1-line block ×6, first 2 shown]
	s_delay_alu instid0(VALU_DEP_1)
	v_ashrrev_i32_e32 v6, 31, v5
	s_add_i32 s31, s31, s21
	s_add_i32 s33, s33, s21
	;; [unrolled: 1-line block ×3, first 2 shown]
	s_cmpk_eq_i32 s36, 0x80
	v_lshlrev_b64 v[5:6], 1, v[5:6]
	s_delay_alu instid0(VALU_DEP_1) | instskip(NEXT) | instid1(VALU_DEP_2)
	v_add_co_u32 v5, vcc_lo, s2, v5
	v_add_co_ci_u32_e32 v6, vcc_lo, s3, v6, vcc_lo
	v_add_co_u32 v3, vcc_lo, v3, s12
	v_add_co_ci_u32_e32 v4, vcc_lo, s13, v4, vcc_lo
	global_store_b64 v[5:6], v[21:22], off
	s_cbranch_scc1 .LBB0_7
; %bb.15:                               ;   in Loop: Header=BB0_11 Depth=2
	v_dual_mov_b32 v1, v3 :: v_dual_mov_b32 v2, v4
	s_branch .LBB0_11
.LBB0_16:                               ;   in Loop: Header=BB0_11 Depth=2
                                        ; implicit-def: $vgpr22
                                        ; implicit-def: $vgpr20
	s_branch .LBB0_13
.LBB0_17:
	s_nop 0
	s_sendmsg sendmsg(MSG_DEALLOC_VGPRS)
	s_endpgm
	.section	.rodata,"a",@progbits
	.p2align	6, 0x0
	.amdhsa_kernel _ZN4vllm4gptq31reconstruct_exllama_8bit_kernelEPKjPKiS2_PK6__halfiiibPS5_
		.amdhsa_group_segment_fixed_size 512
		.amdhsa_private_segment_fixed_size 0
		.amdhsa_kernarg_size 56
		.amdhsa_user_sgpr_count 14
		.amdhsa_user_sgpr_dispatch_ptr 0
		.amdhsa_user_sgpr_queue_ptr 0
		.amdhsa_user_sgpr_kernarg_segment_ptr 1
		.amdhsa_user_sgpr_dispatch_id 0
		.amdhsa_user_sgpr_private_segment_size 0
		.amdhsa_wavefront_size32 1
		.amdhsa_uses_dynamic_stack 0
		.amdhsa_enable_private_segment 0
		.amdhsa_system_sgpr_workgroup_id_x 1
		.amdhsa_system_sgpr_workgroup_id_y 1
		.amdhsa_system_sgpr_workgroup_id_z 0
		.amdhsa_system_sgpr_workgroup_info 0
		.amdhsa_system_vgpr_workitem_id 0
		.amdhsa_next_free_vgpr 57
		.amdhsa_next_free_sgpr 38
		.amdhsa_reserve_vcc 1
		.amdhsa_float_round_mode_32 0
		.amdhsa_float_round_mode_16_64 0
		.amdhsa_float_denorm_mode_32 3
		.amdhsa_float_denorm_mode_16_64 3
		.amdhsa_dx10_clamp 1
		.amdhsa_ieee_mode 1
		.amdhsa_fp16_overflow 0
		.amdhsa_workgroup_processor_mode 1
		.amdhsa_memory_ordered 1
		.amdhsa_forward_progress 0
		.amdhsa_shared_vgpr_count 0
		.amdhsa_exception_fp_ieee_invalid_op 0
		.amdhsa_exception_fp_denorm_src 0
		.amdhsa_exception_fp_ieee_div_zero 0
		.amdhsa_exception_fp_ieee_overflow 0
		.amdhsa_exception_fp_ieee_underflow 0
		.amdhsa_exception_fp_ieee_inexact 0
		.amdhsa_exception_int_div_zero 0
	.end_amdhsa_kernel
	.text
.Lfunc_end0:
	.size	_ZN4vllm4gptq31reconstruct_exllama_8bit_kernelEPKjPKiS2_PK6__halfiiibPS5_, .Lfunc_end0-_ZN4vllm4gptq31reconstruct_exllama_8bit_kernelEPKjPKiS2_PK6__halfiiibPS5_
                                        ; -- End function
	.section	.AMDGPU.csdata,"",@progbits
; Kernel info:
; codeLenInByte = 3024
; NumSgprs: 40
; NumVgprs: 57
; ScratchSize: 0
; MemoryBound: 0
; FloatMode: 240
; IeeeMode: 1
; LDSByteSize: 512 bytes/workgroup (compile time only)
; SGPRBlocks: 4
; VGPRBlocks: 7
; NumSGPRsForWavesPerEU: 40
; NumVGPRsForWavesPerEU: 57
; Occupancy: 16
; WaveLimiterHint : 0
; COMPUTE_PGM_RSRC2:SCRATCH_EN: 0
; COMPUTE_PGM_RSRC2:USER_SGPR: 14
; COMPUTE_PGM_RSRC2:TRAP_HANDLER: 0
; COMPUTE_PGM_RSRC2:TGID_X_EN: 1
; COMPUTE_PGM_RSRC2:TGID_Y_EN: 1
; COMPUTE_PGM_RSRC2:TGID_Z_EN: 0
; COMPUTE_PGM_RSRC2:TIDIG_COMP_CNT: 0
	.text
	.protected	_ZN4vllm4gptq31reconstruct_exllama_4bit_kernelEPKjPKiS2_PK6__halfiiibPS5_ ; -- Begin function _ZN4vllm4gptq31reconstruct_exllama_4bit_kernelEPKjPKiS2_PK6__halfiiibPS5_
	.globl	_ZN4vllm4gptq31reconstruct_exllama_4bit_kernelEPKjPKiS2_PK6__halfiiibPS5_
	.p2align	8
	.type	_ZN4vllm4gptq31reconstruct_exllama_4bit_kernelEPKjPKiS2_PK6__halfiiibPS5_,@function
_ZN4vllm4gptq31reconstruct_exllama_4bit_kernelEPKjPKiS2_PK6__halfiiibPS5_: ; @_ZN4vllm4gptq31reconstruct_exllama_4bit_kernelEPKjPKiS2_PK6__halfiiibPS5_
; %bb.0:
	s_clause 0x1
	s_load_b64 s[2:3], s[0:1], 0x8
	s_load_b128 s[4:7], s[0:1], 0x20
	s_lshl_b32 s12, s15, 7
	s_waitcnt lgkmcnt(0)
	s_cmp_lg_u64 s[2:3], 0
	s_cselect_b32 s13, -1, 0
	s_cmp_eq_u64 s[2:3], 0
	s_cbranch_scc1 .LBB1_4
; %bb.1:
	v_add_nc_u32_e32 v1, s12, v0
	s_mov_b32 s8, exec_lo
	s_delay_alu instid0(VALU_DEP_1)
	v_cmpx_gt_u32_e64 s4, v1
	s_cbranch_execz .LBB1_3
; %bb.2:
	v_mov_b32_e32 v2, 0
	s_delay_alu instid0(VALU_DEP_1) | instskip(NEXT) | instid1(VALU_DEP_1)
	v_lshlrev_b64 v[1:2], 2, v[1:2]
	v_add_co_u32 v1, vcc_lo, s2, v1
	s_delay_alu instid0(VALU_DEP_2)
	v_add_co_ci_u32_e32 v2, vcc_lo, s3, v2, vcc_lo
	global_load_b32 v1, v[1:2], off
	v_lshlrev_b32_e32 v2, 2, v0
	s_waitcnt vmcnt(0)
	ds_store_b32 v2, v1
.LBB1_3:
	s_or_b32 exec_lo, exec_lo, s8
.LBB1_4:
	v_lshlrev_b32_e32 v22, 2, v0
	s_lshl_b32 s14, s14, 9
	s_mov_b32 s2, exec_lo
	s_delay_alu instid0(VALU_DEP_1) | instskip(NEXT) | instid1(VALU_DEP_1)
	v_add_nc_u32_e32 v1, s14, v22
	v_cmpx_gt_i32_e64 s5, v1
	s_cbranch_execz .LBB1_16
; %bb.5:
	s_add_i32 s2, s12, 0x80
	v_cvt_f64_i32_e32 v[2:3], s4
	v_cvt_f64_u32_e32 v[4:5], s2
	s_abs_i32 s2, s6
	s_abs_i32 s9, s4
	v_cvt_f32_u32_e32 v6, s2
	s_sub_i32 s8, 0, s2
	s_xor_b32 s4, s4, s6
	s_mov_b32 s15, 0
	s_ashr_i32 s4, s4, 31
	s_waitcnt lgkmcnt(0)
	s_barrier
	buffer_gl0_inv
	v_min_f64 v[2:3], v[4:5], v[2:3]
	v_rcp_iflag_f32_e32 v4, v6
	s_waitcnt_depctr 0xfff
	v_mul_f32_e32 v4, 0x4f7ffffe, v4
	s_delay_alu instid0(VALU_DEP_1) | instskip(NEXT) | instid1(VALU_DEP_1)
	v_cvt_u32_f32_e32 v4, v4
	v_readfirstlane_b32 s3, v4
	s_delay_alu instid0(VALU_DEP_1) | instskip(NEXT) | instid1(SALU_CYCLE_1)
	s_mul_i32 s8, s8, s3
	s_mul_hi_u32 s8, s3, s8
	s_delay_alu instid0(SALU_CYCLE_1) | instskip(NEXT) | instid1(SALU_CYCLE_1)
	s_add_i32 s3, s3, s8
	s_mul_hi_u32 s3, s9, s3
	s_delay_alu instid0(SALU_CYCLE_1) | instskip(SKIP_2) | instid1(SALU_CYCLE_1)
	s_mul_i32 s6, s3, s2
	s_add_i32 s8, s3, 1
	s_sub_i32 s6, s9, s6
	s_sub_i32 s9, s6, s2
	v_cvt_i32_f64_e32 v23, v[2:3]
	s_cmp_ge_u32 s6, s2
	s_cselect_b32 s3, s8, s3
	s_cselect_b32 s6, s9, s6
	s_add_i32 s8, s3, 1
	s_cmp_ge_u32 s6, s2
	s_cselect_b32 s2, s8, s3
	s_delay_alu instid0(SALU_CYCLE_1) | instskip(NEXT) | instid1(SALU_CYCLE_1)
	s_xor_b32 s2, s2, s4
	s_sub_i32 s4, s2, s4
	s_delay_alu instid0(SALU_CYCLE_1) | instskip(NEXT) | instid1(VALU_DEP_1)
	v_cvt_f32_u32_e32 v2, s4
	v_rcp_iflag_f32_e32 v2, v2
	s_waitcnt_depctr 0xfff
	v_mul_f32_e32 v2, 0x4f7ffffe, v2
	s_delay_alu instid0(VALU_DEP_1) | instskip(SKIP_1) | instid1(VALU_DEP_2)
	v_cvt_u32_f32_e32 v2, v2
	v_cmp_ge_i32_e32 vcc_lo, s12, v23
	v_readfirstlane_b32 s2, v2
	s_cbranch_vccnz .LBB1_16
; %bb.6:
	s_sub_i32 s3, 0, s4
	v_ashrrev_i32_e32 v2, 31, v1
	s_delay_alu instid0(VALU_DEP_2)
	s_mul_i32 s3, s3, s2
	s_mov_b32 s25, 0xf000f
	s_mul_hi_u32 s3, s2, s3
	s_mov_b32 s26, 0xf000f0
	s_add_i32 s2, s2, s3
	v_lshrrev_b32_e32 v3, 29, v2
	s_mul_hi_u32 s2, s12, s2
	s_mov_b32 s27, s12
	s_mul_i32 s3, s2, s4
	s_add_i32 s6, s2, 1
	s_sub_i32 s3, s12, s3
	v_add_nc_u32_e32 v3, v1, v3
	s_sub_i32 s8, s3, s4
	s_cmp_ge_u32 s3, s4
	s_cselect_b32 s2, s6, s2
	s_cselect_b32 s3, s8, s3
	s_add_i32 s6, s2, 1
	s_cmp_ge_u32 s3, s4
	v_ashrrev_i32_e32 v24, 3, v3
	s_cselect_b32 s16, s6, s2
	s_load_b128 s[8:11], s[0:1], 0x10
	s_mul_i32 s2, s16, s5
	s_mov_b32 s6, s5
	s_ashr_i32 s3, s2, 31
	v_add_nc_u32_e32 v5, s2, v1
	s_lshr_b32 s3, s3, 29
	s_delay_alu instid0(SALU_CYCLE_1) | instskip(NEXT) | instid1(VALU_DEP_1)
	s_add_i32 s3, s2, s3
	v_ashrrev_i32_e32 v6, 31, v5
	s_ashr_i32 s3, s3, 3
	s_bitcmp1_b32 s7, 0
	v_add_nc_u32_e32 v3, s3, v24
	s_cselect_b32 s7, -1, 0
	v_lshlrev_b64 v[5:6], 1, v[5:6]
	s_xor_b32 s7, s7, -1
	s_delay_alu instid0(VALU_DEP_2) | instskip(SKIP_1) | instid1(VALU_DEP_2)
	v_ashrrev_i32_e32 v4, 31, v3
	v_cndmask_b32_e64 v25, 0, 1, s7
	v_lshlrev_b64 v[3:4], 2, v[3:4]
	s_waitcnt lgkmcnt(0)
	s_delay_alu instid0(VALU_DEP_1) | instskip(NEXT) | instid1(VALU_DEP_2)
	v_add_co_u32 v3, vcc_lo, s8, v3
	v_add_co_ci_u32_e32 v4, vcc_lo, s9, v4, vcc_lo
	v_add_co_u32 v5, vcc_lo, s10, v5
	v_add_co_ci_u32_e32 v6, vcc_lo, s11, v6, vcc_lo
	global_load_b32 v7, v[3:4], off
	global_load_b64 v[4:5], v[5:6], off
	v_lshlrev_b32_e32 v6, 4, v0
	s_clause 0x1
	s_load_b64 s[18:19], s[0:1], 0x0
	s_load_b64 s[2:3], s[0:1], 0x30
	s_lshr_b32 s0, s12, 3
	v_lshlrev_b64 v[2:3], 2, v[1:2]
	s_mul_i32 s0, s0, s5
	v_and_b32_e32 v0, 16, v6
	s_ashr_i32 s1, s0, 31
	s_delay_alu instid0(SALU_CYCLE_1)
	s_lshl_b64 s[0:1], s[0:1], 2
	s_waitcnt lgkmcnt(0)
	s_add_u32 s0, s18, s0
	s_addc_u32 s24, s19, s1
	v_add_co_u32 v2, vcc_lo, s0, v2
	v_add_co_ci_u32_e32 v3, vcc_lo, s24, v3, vcc_lo
	s_ashr_i32 s7, s5, 31
	s_add_i32 s1, s4, s12
	s_add_i32 s17, s12, 7
	;; [unrolled: 1-line block ×3, first 2 shown]
	s_lshl_b32 s19, s5, 3
	s_add_i32 s20, s12, 5
	s_add_i32 s21, s12, 4
	;; [unrolled: 1-line block ×4, first 2 shown]
	s_lshl_b64 s[6:7], s[6:7], 2
	s_add_i32 s24, s12, 2
	s_waitcnt vmcnt(1)
	v_lshrrev_b32_e32 v6, v6, v7
	s_waitcnt vmcnt(0)
	v_perm_b32 v28, v5, v5, 0x7060302
	v_perm_b32 v26, v5, v5, 0x5040100
	v_bfe_u32 v5, v7, v0, 4
	v_perm_b32 v27, v4, v4, 0x7060302
	v_bfe_u32 v7, v6, 12, 4
	v_bfe_u32 v8, v6, 8, 4
	v_bfe_u32 v6, v6, 4, 4
	v_add_nc_u32_e32 v5, v5, v25
	v_perm_b32 v29, v4, v4, 0x5040100
	v_add_nc_u32_e32 v4, v7, v25
	v_add_nc_u32_e32 v7, v8, v25
	v_add_nc_u32_e32 v6, v6, v25
	v_cvt_f32_ubyte0_e32 v8, v5
	v_or_b32_e32 v5, 0xffffe400, v5
	v_cvt_f32_ubyte0_e32 v9, v4
	v_or_b32_e32 v4, 0xffffe400, v4
	v_cvt_f32_ubyte0_e32 v10, v7
	v_cvt_f32_ubyte0_e32 v11, v6
	v_or_b32_e32 v7, 0xffffe400, v7
	v_cvt_f16_f32_e32 v8, v8
	v_perm_b32 v30, v5, v5, 0x5040100
	v_cvt_f16_f32_e32 v5, v9
	v_perm_b32 v32, v4, v4, 0x5040100
	v_cvt_f16_f32_e32 v4, v10
	v_cvt_f16_f32_e32 v9, v11
	v_or_b32_e32 v6, 0xffffe400, v6
	v_perm_b32 v31, v7, v7, 0x5040100
	v_sub_f16_e32 v7, 0xd400, v8
	v_sub_f16_e32 v5, 0xd400, v5
	;; [unrolled: 1-line block ×4, first 2 shown]
	v_perm_b32 v33, v6, v6, 0x5040100
	v_pack_b32_f16 v34, v7, v7
	v_pack_b32_f16 v35, v5, v5
	;; [unrolled: 1-line block ×4, first 2 shown]
	s_branch .LBB1_8
.LBB1_7:                                ;   in Loop: Header=BB1_8 Depth=1
	s_add_i32 s27, s27, 32
	v_add_co_u32 v2, s0, v2, -12
	v_cmp_ge_i32_e32 vcc_lo, s27, v23
	v_add_co_ci_u32_e64 v3, s0, -1, v3, s0
	s_cbranch_vccnz .LBB1_16
.LBB1_8:                                ; =>This Loop Header: Depth=1
                                        ;     Child Loop BB1_12 Depth 2
	s_cmp_lg_u32 s27, s1
	s_cbranch_scc1 .LBB1_10
; %bb.9:                                ;   in Loop: Header=BB1_8 Depth=1
	s_add_i32 s16, s16, 1
	s_add_i32 s1, s1, s4
	s_mul_i32 s0, s16, s5
	s_delay_alu instid0(SALU_CYCLE_1) | instskip(SKIP_2) | instid1(SALU_CYCLE_1)
	s_ashr_i32 s28, s0, 31
	v_add_nc_u32_e32 v6, s0, v1
	s_lshr_b32 s28, s28, 29
	s_add_i32 s28, s0, s28
	s_delay_alu instid0(VALU_DEP_1) | instskip(SKIP_1) | instid1(SALU_CYCLE_1)
	v_ashrrev_i32_e32 v7, 31, v6
	s_ashr_i32 s28, s28, 3
	v_add_nc_u32_e32 v4, s28, v24
	s_delay_alu instid0(VALU_DEP_2) | instskip(NEXT) | instid1(VALU_DEP_2)
	v_lshlrev_b64 v[6:7], 1, v[6:7]
	v_ashrrev_i32_e32 v5, 31, v4
	s_delay_alu instid0(VALU_DEP_1) | instskip(NEXT) | instid1(VALU_DEP_1)
	v_lshlrev_b64 v[4:5], 2, v[4:5]
	v_add_co_u32 v4, vcc_lo, s8, v4
	s_delay_alu instid0(VALU_DEP_2)
	v_add_co_ci_u32_e32 v5, vcc_lo, s9, v5, vcc_lo
	v_add_co_u32 v6, vcc_lo, s10, v6
	v_add_co_ci_u32_e32 v7, vcc_lo, s11, v7, vcc_lo
	global_load_b32 v8, v[4:5], off
	global_load_b64 v[4:5], v[6:7], off
	s_waitcnt vmcnt(1)
	v_bfe_u32 v6, v8, v0, 4
	v_lshrrev_b32_e32 v7, v0, v8
	s_waitcnt vmcnt(0)
	v_perm_b32 v29, v4, v4, 0x5040100
	v_perm_b32 v27, v4, v4, 0x7060302
	;; [unrolled: 1-line block ×3, first 2 shown]
	v_add_nc_u32_e32 v4, v6, v25
	v_perm_b32 v28, v5, v5, 0x7060302
	v_bfe_u32 v5, v7, 4, 4
	v_bfe_u32 v6, v7, 8, 4
	;; [unrolled: 1-line block ×3, first 2 shown]
	v_cvt_f32_ubyte0_e32 v8, v4
	v_or_b32_e32 v4, 0xffffe400, v4
	v_add_nc_u32_e32 v5, v5, v25
	v_add_nc_u32_e32 v6, v6, v25
	;; [unrolled: 1-line block ×3, first 2 shown]
	v_cvt_f16_f32_e32 v8, v8
	v_perm_b32 v30, v4, v4, 0x5040100
	v_or_b32_e32 v4, 0xffffe400, v5
	v_cvt_f32_ubyte0_e32 v5, v5
	v_or_b32_e32 v9, 0xffffe400, v6
	v_cvt_f32_ubyte0_e32 v6, v6
	v_cvt_f32_ubyte0_e32 v10, v7
	v_or_b32_e32 v7, 0xffffe400, v7
	v_cvt_f16_f32_e32 v5, v5
	v_sub_f16_e32 v8, 0xd400, v8
	v_cvt_f16_f32_e32 v6, v6
	v_cvt_f16_f32_e32 v10, v10
	v_perm_b32 v33, v4, v4, 0x5040100
	v_sub_f16_e32 v4, 0xd400, v5
	v_perm_b32 v31, v9, v9, 0x5040100
	v_sub_f16_e32 v5, 0xd400, v6
	v_sub_f16_e32 v6, 0xd400, v10
	v_perm_b32 v32, v7, v7, 0x5040100
	v_pack_b32_f16 v34, v8, v8
	v_pack_b32_f16 v37, v4, v4
	;; [unrolled: 1-line block ×4, first 2 shown]
.LBB1_10:                               ;   in Loop: Header=BB1_8 Depth=1
	v_add_co_u32 v2, vcc_lo, v2, 12
	s_add_i32 s0, s18, s15
	s_add_i32 s28, s20, s15
	;; [unrolled: 1-line block ×7, first 2 shown]
	v_add_co_ci_u32_e32 v3, vcc_lo, 0, v3, vcc_lo
	s_mul_i32 s0, s5, s0
	s_mul_i32 s28, s5, s28
	;; [unrolled: 1-line block ×7, first 2 shown]
	s_add_i32 s0, s14, s0
	s_add_i32 s28, s14, s28
	;; [unrolled: 1-line block ×7, first 2 shown]
	s_lshl_b32 s35, s15, 2
	s_mov_b32 s36, 0
	s_branch .LBB1_12
.LBB1_11:                               ;   in Loop: Header=BB1_12 Depth=2
	v_mad_u64_u32 v[4:5], null, v19, s5, v[1:2]
	v_add_co_u32 v2, vcc_lo, v2, s6
	v_add_co_ci_u32_e32 v3, vcc_lo, s7, v3, vcc_lo
	s_add_i32 s36, s36, 32
	s_add_i32 s15, s15, 8
	s_delay_alu instid0(VALU_DEP_3)
	v_ashrrev_i32_e32 v5, 31, v4
	s_add_i32 s0, s0, s19
	s_add_i32 s28, s28, s19
	;; [unrolled: 1-line block ×4, first 2 shown]
	v_lshlrev_b64 v[4:5], 1, v[4:5]
	s_add_i32 s31, s31, s19
	s_add_i32 s33, s33, s19
	;; [unrolled: 1-line block ×3, first 2 shown]
	s_cmpk_eq_i32 s36, 0x80
	s_delay_alu instid0(VALU_DEP_1)
	v_add_co_u32 v4, vcc_lo, s2, v4
	v_add_co_ci_u32_e32 v5, vcc_lo, s3, v5, vcc_lo
	global_store_b64 v[4:5], v[20:21], off
	s_cbranch_scc1 .LBB1_7
.LBB1_12:                               ;   Parent Loop BB1_8 Depth=1
                                        ; =>  This Inner Loop Header: Depth=2
	global_load_b128 v[4:7], v[2:3], off offset:-12
	s_and_not1_b32 vcc_lo, exec_lo, s13
	s_waitcnt vmcnt(0)
	v_and_or_b32 v8, v4, s25, 0x64006400
	v_and_or_b32 v9, v4, s26, 0x64006400
	v_lshrrev_b32_e32 v4, 8, v4
	v_and_or_b32 v10, v5, s25, 0x64006400
	v_and_or_b32 v11, v5, s26, 0x64006400
	v_lshrrev_b32_e32 v5, 8, v5
	;; [unrolled: 3-line block ×4, first 2 shown]
	v_and_or_b32 v16, v4, s25, 0x64006400
	v_and_or_b32 v4, v4, s26, 0x64006400
	;; [unrolled: 1-line block ×8, first 2 shown]
	v_pk_add_f16 v8, v30, v8
	v_pk_fma_f16 v9, 0x2c00, v9, v34 op_sel_hi:[0,1,1]
	v_pk_add_f16 v10, v33, v10
	v_pk_fma_f16 v11, 0x2c00, v11, v37 op_sel_hi:[0,1,1]
	;; [unrolled: 2-line block ×8, first 2 shown]
	v_pk_mul_f16 v8, v29, v8
	v_pk_mul_f16 v10, v27, v10
	;; [unrolled: 1-line block ×16, first 2 shown]
	v_perm_b32 v12, v10, v8, 0x7060302
	v_perm_b32 v13, v14, v38, 0x7060302
	;; [unrolled: 1-line block ×4, first 2 shown]
	v_pack_b32_f16 v14, v9, v11
	v_pack_b32_f16 v15, v39, v42
	v_perm_b32 v4, v11, v9, 0x7060302
	v_perm_b32 v5, v42, v39, 0x7060302
	v_pack_b32_f16 v6, v43, v44
	v_pack_b32_f16 v7, v18, v19
	v_perm_b32 v8, v44, v43, 0x7060302
	v_perm_b32 v9, v19, v18, 0x7060302
	;; [unrolled: 4-line block ×3, first 2 shown]
	s_cbranch_vccnz .LBB1_14
; %bb.13:                               ;   in Loop: Header=BB1_12 Depth=2
	s_add_i32 s37, s35, s36
	v_perm_b32 v20, v21, v20, 0x7060302
	v_mov_b32_e32 v18, s37
	v_perm_b32 v21, v41, v40, 0x7060302
	ds_load_2addr_b32 v[42:43], v18 offset1:1
	ds_load_2addr_b32 v[44:45], v18 offset0:2 offset1:3
	ds_load_2addr_b32 v[46:47], v18 offset0:4 offset1:5
	ds_load_2addr_b32 v[18:19], v18 offset0:6 offset1:7
	s_waitcnt lgkmcnt(3)
	v_mad_u64_u32 v[48:49], null, v42, s5, v[1:2]
	v_mad_u64_u32 v[50:51], null, v43, s5, v[1:2]
	s_waitcnt lgkmcnt(2)
	v_mad_u64_u32 v[42:43], null, v44, s5, v[1:2]
	v_mad_u64_u32 v[52:53], null, v45, s5, v[1:2]
	s_delay_alu instid0(VALU_DEP_4)
	v_ashrrev_i32_e32 v49, 31, v48
	s_waitcnt lgkmcnt(1)
	v_mad_u64_u32 v[44:45], null, v46, s5, v[1:2]
	v_ashrrev_i32_e32 v51, 31, v50
	v_mad_u64_u32 v[54:55], null, v47, s5, v[1:2]
	s_waitcnt lgkmcnt(0)
	v_mad_u64_u32 v[46:47], null, v18, s5, v[1:2]
	v_lshlrev_b64 v[47:48], 1, v[48:49]
	v_ashrrev_i32_e32 v43, 31, v42
	v_lshlrev_b64 v[49:50], 1, v[50:51]
	v_ashrrev_i32_e32 v53, 31, v52
	v_ashrrev_i32_e32 v45, 31, v44
	;; [unrolled: 1-line block ×3, first 2 shown]
	v_lshlrev_b64 v[42:43], 1, v[42:43]
	v_add_co_u32 v47, vcc_lo, s2, v47
	v_add_co_ci_u32_e32 v48, vcc_lo, s3, v48, vcc_lo
	v_lshlrev_b64 v[51:52], 1, v[52:53]
	v_add_co_u32 v49, vcc_lo, s2, v49
	v_add_co_ci_u32_e32 v50, vcc_lo, s3, v50, vcc_lo
	v_add_co_u32 v42, vcc_lo, s2, v42
	v_add_co_ci_u32_e32 v43, vcc_lo, s3, v43, vcc_lo
	v_add_co_u32 v51, vcc_lo, s2, v51
	v_lshlrev_b64 v[44:45], 1, v[44:45]
	v_add_co_ci_u32_e32 v52, vcc_lo, s3, v52, vcc_lo
	s_clause 0x3
	global_store_b64 v[47:48], v[16:17], off
	global_store_b64 v[49:50], v[12:13], off
	;; [unrolled: 1-line block ×4, first 2 shown]
	v_ashrrev_i32_e32 v47, 31, v46
	v_lshlrev_b64 v[53:54], 1, v[54:55]
	v_add_co_u32 v42, vcc_lo, s2, v44
	v_add_co_ci_u32_e32 v43, vcc_lo, s3, v45, vcc_lo
	s_delay_alu instid0(VALU_DEP_4) | instskip(NEXT) | instid1(VALU_DEP_4)
	v_lshlrev_b64 v[44:45], 1, v[46:47]
	v_add_co_u32 v46, vcc_lo, s2, v53
	v_add_co_ci_u32_e32 v47, vcc_lo, s3, v54, vcc_lo
	s_clause 0x1
	global_store_b64 v[42:43], v[6:7], off
	global_store_b64 v[46:47], v[8:9], off
	v_add_co_u32 v44, vcc_lo, s2, v44
	v_add_co_ci_u32_e32 v45, vcc_lo, s3, v45, vcc_lo
	global_store_b64 v[44:45], v[10:11], off
	s_cbranch_execnz .LBB1_11
	s_branch .LBB1_15
.LBB1_14:                               ;   in Loop: Header=BB1_12 Depth=2
                                        ; implicit-def: $vgpr21
                                        ; implicit-def: $vgpr19
.LBB1_15:                               ;   in Loop: Header=BB1_12 Depth=2
	s_add_i32 s37, s17, s15
	v_add_nc_u32_e32 v18, s34, v22
	v_add_nc_u32_e32 v20, s30, v22
	;; [unrolled: 1-line block ×5, first 2 shown]
	v_ashrrev_i32_e32 v19, 31, v18
	v_ashrrev_i32_e32 v21, 31, v20
	;; [unrolled: 1-line block ×5, first 2 shown]
	v_lshlrev_b64 v[18:19], 1, v[18:19]
	v_lshlrev_b64 v[20:21], 1, v[20:21]
	;; [unrolled: 1-line block ×3, first 2 shown]
	s_delay_alu instid0(VALU_DEP_3) | instskip(NEXT) | instid1(VALU_DEP_4)
	v_add_co_u32 v18, vcc_lo, s2, v18
	v_add_co_ci_u32_e32 v19, vcc_lo, s3, v19, vcc_lo
	s_delay_alu instid0(VALU_DEP_4)
	v_add_co_u32 v20, vcc_lo, s2, v20
	v_add_co_ci_u32_e32 v21, vcc_lo, s3, v21, vcc_lo
	global_store_b64 v[18:19], v[16:17], off
	v_add_co_u32 v16, vcc_lo, s2, v40
	v_add_co_ci_u32_e32 v17, vcc_lo, s3, v41, vcc_lo
	v_add_nc_u32_e32 v18, s28, v22
	global_store_b64 v[20:21], v[12:13], off
	v_mov_b32_e32 v21, v39
	global_store_b64 v[16:17], v[14:15], off
	v_add_nc_u32_e32 v16, s0, v22
	v_lshlrev_b64 v[12:13], 1, v[42:43]
	v_ashrrev_i32_e32 v19, 31, v18
	v_lshlrev_b64 v[14:15], 1, v[44:45]
	v_mov_b32_e32 v20, v38
	v_ashrrev_i32_e32 v17, 31, v16
	v_add_co_u32 v12, vcc_lo, s2, v12
	v_lshlrev_b64 v[18:19], 1, v[18:19]
	v_add_co_ci_u32_e32 v13, vcc_lo, s3, v13, vcc_lo
	v_add_co_u32 v14, vcc_lo, s2, v14
	v_lshlrev_b64 v[16:17], 1, v[16:17]
	v_add_co_ci_u32_e32 v15, vcc_lo, s3, v15, vcc_lo
	v_add_co_u32 v40, vcc_lo, s2, v18
	v_add_co_ci_u32_e32 v41, vcc_lo, s3, v19, vcc_lo
	v_mov_b32_e32 v19, s37
	v_add_co_u32 v16, vcc_lo, s2, v16
	v_add_co_ci_u32_e32 v17, vcc_lo, s3, v17, vcc_lo
	s_clause 0x3
	global_store_b64 v[12:13], v[4:5], off
	global_store_b64 v[14:15], v[6:7], off
	;; [unrolled: 1-line block ×4, first 2 shown]
	s_branch .LBB1_11
.LBB1_16:
	s_nop 0
	s_sendmsg sendmsg(MSG_DEALLOC_VGPRS)
	s_endpgm
	.section	.rodata,"a",@progbits
	.p2align	6, 0x0
	.amdhsa_kernel _ZN4vllm4gptq31reconstruct_exllama_4bit_kernelEPKjPKiS2_PK6__halfiiibPS5_
		.amdhsa_group_segment_fixed_size 512
		.amdhsa_private_segment_fixed_size 0
		.amdhsa_kernarg_size 56
		.amdhsa_user_sgpr_count 14
		.amdhsa_user_sgpr_dispatch_ptr 0
		.amdhsa_user_sgpr_queue_ptr 0
		.amdhsa_user_sgpr_kernarg_segment_ptr 1
		.amdhsa_user_sgpr_dispatch_id 0
		.amdhsa_user_sgpr_private_segment_size 0
		.amdhsa_wavefront_size32 1
		.amdhsa_uses_dynamic_stack 0
		.amdhsa_enable_private_segment 0
		.amdhsa_system_sgpr_workgroup_id_x 1
		.amdhsa_system_sgpr_workgroup_id_y 1
		.amdhsa_system_sgpr_workgroup_id_z 0
		.amdhsa_system_sgpr_workgroup_info 0
		.amdhsa_system_vgpr_workitem_id 0
		.amdhsa_next_free_vgpr 56
		.amdhsa_next_free_sgpr 38
		.amdhsa_reserve_vcc 1
		.amdhsa_float_round_mode_32 0
		.amdhsa_float_round_mode_16_64 0
		.amdhsa_float_denorm_mode_32 3
		.amdhsa_float_denorm_mode_16_64 3
		.amdhsa_dx10_clamp 1
		.amdhsa_ieee_mode 1
		.amdhsa_fp16_overflow 0
		.amdhsa_workgroup_processor_mode 1
		.amdhsa_memory_ordered 1
		.amdhsa_forward_progress 0
		.amdhsa_shared_vgpr_count 0
		.amdhsa_exception_fp_ieee_invalid_op 0
		.amdhsa_exception_fp_denorm_src 0
		.amdhsa_exception_fp_ieee_div_zero 0
		.amdhsa_exception_fp_ieee_overflow 0
		.amdhsa_exception_fp_ieee_underflow 0
		.amdhsa_exception_fp_ieee_inexact 0
		.amdhsa_exception_int_div_zero 0
	.end_amdhsa_kernel
	.text
.Lfunc_end1:
	.size	_ZN4vllm4gptq31reconstruct_exllama_4bit_kernelEPKjPKiS2_PK6__halfiiibPS5_, .Lfunc_end1-_ZN4vllm4gptq31reconstruct_exllama_4bit_kernelEPKjPKiS2_PK6__halfiiibPS5_
                                        ; -- End function
	.section	.AMDGPU.csdata,"",@progbits
; Kernel info:
; codeLenInByte = 3052
; NumSgprs: 40
; NumVgprs: 56
; ScratchSize: 0
; MemoryBound: 0
; FloatMode: 240
; IeeeMode: 1
; LDSByteSize: 512 bytes/workgroup (compile time only)
; SGPRBlocks: 4
; VGPRBlocks: 6
; NumSGPRsForWavesPerEU: 40
; NumVGPRsForWavesPerEU: 56
; Occupancy: 16
; WaveLimiterHint : 0
; COMPUTE_PGM_RSRC2:SCRATCH_EN: 0
; COMPUTE_PGM_RSRC2:USER_SGPR: 14
; COMPUTE_PGM_RSRC2:TRAP_HANDLER: 0
; COMPUTE_PGM_RSRC2:TGID_X_EN: 1
; COMPUTE_PGM_RSRC2:TGID_Y_EN: 1
; COMPUTE_PGM_RSRC2:TGID_Z_EN: 0
; COMPUTE_PGM_RSRC2:TIDIG_COMP_CNT: 0
	.text
	.protected	_ZN4vllm4gptq31reconstruct_exllama_3bit_kernelEPKjPKiS2_PK6__halfiiibPS5_ ; -- Begin function _ZN4vllm4gptq31reconstruct_exllama_3bit_kernelEPKjPKiS2_PK6__halfiiibPS5_
	.globl	_ZN4vllm4gptq31reconstruct_exllama_3bit_kernelEPKjPKiS2_PK6__halfiiibPS5_
	.p2align	8
	.type	_ZN4vllm4gptq31reconstruct_exllama_3bit_kernelEPKjPKiS2_PK6__halfiiibPS5_,@function
_ZN4vllm4gptq31reconstruct_exllama_3bit_kernelEPKjPKiS2_PK6__halfiiibPS5_: ; @_ZN4vllm4gptq31reconstruct_exllama_3bit_kernelEPKjPKiS2_PK6__halfiiibPS5_
; %bb.0:
	s_clause 0x1
	s_load_b64 s[2:3], s[0:1], 0x8
	s_load_b128 s[4:7], s[0:1], 0x20
	s_lshl_b32 s18, s15, 7
	s_waitcnt lgkmcnt(0)
	s_cmp_lg_u64 s[2:3], 0
	s_cselect_b32 s19, -1, 0
	s_cmp_eq_u64 s[2:3], 0
	s_cbranch_scc1 .LBB2_4
; %bb.1:
	v_add_nc_u32_e32 v1, s18, v0
	s_mov_b32 s8, exec_lo
	s_delay_alu instid0(VALU_DEP_1)
	v_cmpx_gt_u32_e64 s4, v1
	s_cbranch_execz .LBB2_3
; %bb.2:
	v_mov_b32_e32 v2, 0
	s_delay_alu instid0(VALU_DEP_1) | instskip(NEXT) | instid1(VALU_DEP_1)
	v_lshlrev_b64 v[1:2], 2, v[1:2]
	v_add_co_u32 v1, vcc_lo, s2, v1
	s_delay_alu instid0(VALU_DEP_2)
	v_add_co_ci_u32_e32 v2, vcc_lo, s3, v2, vcc_lo
	global_load_b32 v1, v[1:2], off
	v_lshlrev_b32_e32 v2, 2, v0
	s_waitcnt vmcnt(0)
	ds_store_b32 v2, v1
.LBB2_3:
	s_or_b32 exec_lo, exec_lo, s8
.LBB2_4:
	v_lshlrev_b32_e32 v52, 2, v0
	s_lshl_b32 s53, s14, 9
	s_mov_b32 s2, exec_lo
	s_delay_alu instid0(VALU_DEP_1) | instskip(NEXT) | instid1(VALU_DEP_1)
	v_add_nc_u32_e32 v12, s53, v52
	v_cmpx_gt_i32_e64 s5, v12
	s_cbranch_execz .LBB2_46
; %bb.5:
	s_abs_i32 s2, s6
	s_abs_i32 s9, s4
	v_cvt_f32_u32_e32 v0, s2
	s_sub_i32 s8, 0, s2
	s_xor_b32 s6, s4, s6
	v_and_b32_e32 v2, 28, v52
	s_ashr_i32 s6, s6, 31
	v_rcp_iflag_f32_e32 v0, v0
                                        ; implicit-def: $vgpr3
                                        ; implicit-def: $vgpr4
	s_waitcnt_depctr 0xfff
	v_mul_f32_e32 v0, 0x4f7ffffe, v0
	s_delay_alu instid0(VALU_DEP_1) | instskip(NEXT) | instid1(VALU_DEP_1)
	v_cvt_u32_f32_e32 v0, v0
	v_readfirstlane_b32 s3, v0
	s_delay_alu instid0(VALU_DEP_1) | instskip(NEXT) | instid1(SALU_CYCLE_1)
	s_mul_i32 s8, s8, s3
	s_mul_hi_u32 s8, s3, s8
	s_delay_alu instid0(SALU_CYCLE_1) | instskip(NEXT) | instid1(SALU_CYCLE_1)
	s_add_i32 s3, s3, s8
	s_mul_hi_u32 s3, s9, s3
	s_delay_alu instid0(SALU_CYCLE_1) | instskip(NEXT) | instid1(SALU_CYCLE_1)
	s_mul_i32 s8, s3, s2
	s_sub_i32 s8, s9, s8
	s_add_i32 s9, s3, 1
	s_sub_i32 s10, s8, s2
	s_cmp_ge_u32 s8, s2
	s_cselect_b32 s3, s9, s3
	s_cselect_b32 s8, s10, s8
	s_add_i32 s9, s3, 1
	s_cmp_ge_u32 s8, s2
	s_cselect_b32 s2, s9, s3
	s_load_b64 s[8:9], s[0:1], 0x10
	s_xor_b32 s2, s2, s6
	s_delay_alu instid0(SALU_CYCLE_1) | instskip(NEXT) | instid1(SALU_CYCLE_1)
	s_sub_i32 s14, s2, s6
	v_cvt_f32_u32_e32 v0, s14
	s_sub_i32 s3, 0, s14
	s_delay_alu instid0(VALU_DEP_1) | instskip(SKIP_2) | instid1(VALU_DEP_1)
	v_rcp_iflag_f32_e32 v0, v0
	s_waitcnt_depctr 0xfff
	v_mul_f32_e32 v0, 0x4f7ffffe, v0
	v_cvt_u32_f32_e32 v0, v0
	s_delay_alu instid0(VALU_DEP_1) | instskip(NEXT) | instid1(VALU_DEP_1)
	v_readfirstlane_b32 s2, v0
	s_mul_i32 s3, s3, s2
	s_delay_alu instid0(SALU_CYCLE_1) | instskip(NEXT) | instid1(SALU_CYCLE_1)
	s_mul_hi_u32 s3, s2, s3
	s_add_i32 s2, s2, s3
	s_delay_alu instid0(SALU_CYCLE_1) | instskip(NEXT) | instid1(SALU_CYCLE_1)
	s_mul_hi_u32 s2, s18, s2
	s_mul_i32 s3, s2, s14
	s_add_i32 s6, s2, 1
	s_sub_i32 s3, s18, s3
	s_delay_alu instid0(SALU_CYCLE_1)
	s_sub_i32 s10, s3, s14
	s_cmp_ge_u32 s3, s14
	s_cselect_b32 s6, s6, s2
	s_cselect_b32 s3, s10, s3
	s_add_i32 s10, s6, 1
	v_cmp_lt_u32_e64 s2, 4, v2
	s_cmp_ge_u32 s3, s14
	s_cselect_b32 s20, s10, s6
	s_delay_alu instid0(VALU_DEP_1) | instskip(NEXT) | instid1(SALU_CYCLE_1)
	s_and_saveexec_b32 s3, s2
	s_xor_b32 s3, exec_lo, s3
	s_cbranch_execz .LBB2_19
; %bb.6:
	s_mov_b32 s6, exec_lo
                                        ; implicit-def: $vgpr3
                                        ; implicit-def: $vgpr4
	v_cmpx_ne_u32_e32 8, v2
	s_xor_b32 s6, exec_lo, s6
	s_cbranch_execz .LBB2_16
; %bb.7:
	s_mov_b32 s10, exec_lo
                                        ; implicit-def: $vgpr3
                                        ; implicit-def: $vgpr4
	v_cmpx_lt_u32_e32 16, v2
	s_xor_b32 s10, exec_lo, s10
	s_cbranch_execz .LBB2_13
; %bb.8:
	v_lshl_add_u32 v0, v12, 1, v12
	s_mul_i32 s11, s20, s5
	s_delay_alu instid0(SALU_CYCLE_1) | instskip(NEXT) | instid1(SALU_CYCLE_1)
	s_ashr_i32 s12, s11, 31
	s_lshr_b32 s12, s12, 27
	s_delay_alu instid0(VALU_DEP_1) | instskip(SKIP_1) | instid1(SALU_CYCLE_1)
	v_ashrrev_i32_e32 v1, 31, v0
	s_add_i32 s12, s11, s12
	s_ashr_i32 s12, s12, 5
	s_delay_alu instid0(VALU_DEP_1) | instskip(NEXT) | instid1(VALU_DEP_1)
	v_lshrrev_b32_e32 v1, 27, v1
	v_add_nc_u32_e32 v0, v0, v1
	s_delay_alu instid0(VALU_DEP_1) | instskip(NEXT) | instid1(VALU_DEP_1)
	v_ashrrev_i32_e32 v0, 5, v0
	v_mad_u64_u32 v[3:4], null, s12, 3, v[0:1]
	s_mov_b32 s12, exec_lo
	s_delay_alu instid0(VALU_DEP_1) | instskip(NEXT) | instid1(VALU_DEP_1)
	v_ashrrev_i32_e32 v4, 31, v3
	v_lshlrev_b64 v[0:1], 2, v[3:4]
                                        ; implicit-def: $vgpr3
	s_waitcnt lgkmcnt(0)
	s_delay_alu instid0(VALU_DEP_1) | instskip(NEXT) | instid1(VALU_DEP_2)
	v_add_co_u32 v0, vcc_lo, s8, v0
	v_add_co_ci_u32_e32 v1, vcc_lo, s9, v1, vcc_lo
	global_load_b32 v5, v[0:1], off
	v_cmpx_ne_u32_e32 20, v2
	s_xor_b32 s12, exec_lo, s12
	s_cbranch_execz .LBB2_10
; %bb.9:
	v_mad_u32_u24 v0, v2, 3, 0xffffffc0
	s_waitcnt vmcnt(0)
	s_delay_alu instid0(VALU_DEP_1)
	v_lshrrev_b32_e32 v3, v0, v5
                                        ; implicit-def: $vgpr0_vgpr1
                                        ; implicit-def: $vgpr5
.LBB2_10:
	s_or_saveexec_b32 s12, s12
	v_mov_b32_e32 v4, s11
	s_xor_b32 exec_lo, exec_lo, s12
	s_cbranch_execz .LBB2_12
; %bb.11:
	global_load_b32 v0, v[0:1], off offset:4
	v_mov_b32_e32 v4, s11
	s_waitcnt vmcnt(0)
	v_alignbit_b32 v0, v0, v5, 28
	s_delay_alu instid0(VALU_DEP_1)
	v_and_b32_e32 v3, 0xfff, v0
.LBB2_12:
	s_or_b32 exec_lo, exec_lo, s12
.LBB2_13:
	s_and_not1_saveexec_b32 s10, s10
	s_cbranch_execz .LBB2_15
; %bb.14:
	v_lshl_add_u32 v0, v12, 1, v12
	s_mul_i32 s11, s20, s5
	s_delay_alu instid0(SALU_CYCLE_1) | instskip(NEXT) | instid1(SALU_CYCLE_1)
	s_ashr_i32 s12, s11, 31
	s_lshr_b32 s12, s12, 27
	s_delay_alu instid0(VALU_DEP_1) | instskip(SKIP_1) | instid1(SALU_CYCLE_1)
	v_ashrrev_i32_e32 v1, 31, v0
	s_add_i32 s12, s11, s12
	s_ashr_i32 s12, s12, 5
	s_delay_alu instid0(VALU_DEP_1) | instskip(NEXT) | instid1(VALU_DEP_1)
	v_lshrrev_b32_e32 v1, 27, v1
	v_add_nc_u32_e32 v0, v0, v1
	s_delay_alu instid0(VALU_DEP_1) | instskip(NEXT) | instid1(VALU_DEP_1)
	v_ashrrev_i32_e32 v0, 5, v0
	v_mad_u64_u32 v[3:4], null, s12, 3, v[0:1]
	s_delay_alu instid0(VALU_DEP_1) | instskip(NEXT) | instid1(VALU_DEP_1)
	v_ashrrev_i32_e32 v4, 31, v3
	v_lshlrev_b64 v[0:1], 2, v[3:4]
	v_mov_b32_e32 v4, s11
	s_waitcnt lgkmcnt(0)
	s_delay_alu instid0(VALU_DEP_2) | instskip(NEXT) | instid1(VALU_DEP_3)
	v_add_co_u32 v0, vcc_lo, s8, v0
	v_add_co_ci_u32_e32 v1, vcc_lo, s9, v1, vcc_lo
	global_load_b32 v0, v[0:1], off
	v_mad_u32_u24 v1, v2, 3, 0xffffffe0
	s_waitcnt vmcnt(0)
	s_delay_alu instid0(VALU_DEP_1)
	v_lshrrev_b32_e32 v3, v1, v0
.LBB2_15:
	s_or_b32 exec_lo, exec_lo, s10
.LBB2_16:
	s_and_not1_saveexec_b32 s6, s6
	s_cbranch_execz .LBB2_18
; %bb.17:
	v_lshl_add_u32 v0, v12, 1, v12
	s_mul_i32 s10, s20, s5
	s_delay_alu instid0(SALU_CYCLE_1) | instskip(NEXT) | instid1(SALU_CYCLE_1)
	s_ashr_i32 s11, s10, 31
	s_lshr_b32 s11, s11, 27
	s_delay_alu instid0(VALU_DEP_1) | instskip(SKIP_1) | instid1(SALU_CYCLE_1)
	v_ashrrev_i32_e32 v1, 31, v0
	s_add_i32 s11, s10, s11
	s_ashr_i32 s11, s11, 5
	s_delay_alu instid0(VALU_DEP_1) | instskip(NEXT) | instid1(VALU_DEP_1)
	v_lshrrev_b32_e32 v1, 27, v1
	v_add_nc_u32_e32 v0, v0, v1
	s_delay_alu instid0(VALU_DEP_1) | instskip(NEXT) | instid1(VALU_DEP_1)
	v_ashrrev_i32_e32 v0, 5, v0
	v_mad_u64_u32 v[3:4], null, s11, 3, v[0:1]
	s_delay_alu instid0(VALU_DEP_1) | instskip(NEXT) | instid1(VALU_DEP_1)
	v_ashrrev_i32_e32 v4, 31, v3
	v_lshlrev_b64 v[0:1], 2, v[3:4]
	v_mov_b32_e32 v4, s10
	s_waitcnt lgkmcnt(0)
	s_delay_alu instid0(VALU_DEP_2) | instskip(NEXT) | instid1(VALU_DEP_3)
	v_add_co_u32 v0, vcc_lo, s8, v0
	v_add_co_ci_u32_e32 v1, vcc_lo, s9, v1, vcc_lo
	global_load_b64 v[0:1], v[0:1], off
	s_waitcnt vmcnt(0)
	v_perm_b32 v0, v0, v1, 0x2010007
	s_delay_alu instid0(VALU_DEP_1)
	v_and_b32_e32 v3, 0xfff, v0
.LBB2_18:
	s_or_b32 exec_lo, exec_lo, s6
.LBB2_19:
	s_or_saveexec_b32 s3, s3
	v_lshl_add_u32 v0, v12, 1, v12
	v_mul_u32_u24_e32 v53, 3, v2
	s_delay_alu instid0(VALU_DEP_2)
	v_ashrrev_i32_e32 v1, 31, v0
	s_xor_b32 exec_lo, exec_lo, s3
	s_cbranch_execz .LBB2_21
; %bb.20:
	s_delay_alu instid0(VALU_DEP_1) | instskip(SKIP_1) | instid1(SALU_CYCLE_1)
	v_lshrrev_b32_e32 v3, 27, v1
	s_mul_i32 s6, s20, s5
	s_ashr_i32 s10, s6, 31
	s_delay_alu instid0(SALU_CYCLE_1) | instskip(NEXT) | instid1(VALU_DEP_1)
	s_lshr_b32 s10, s10, 27
	v_add_nc_u32_e32 v3, v0, v3
	s_add_i32 s10, s6, s10
	s_delay_alu instid0(SALU_CYCLE_1) | instskip(NEXT) | instid1(VALU_DEP_1)
	s_ashr_i32 s10, s10, 5
	v_ashrrev_i32_e32 v3, 5, v3
	s_waitcnt vmcnt(0)
	s_delay_alu instid0(VALU_DEP_1) | instskip(NEXT) | instid1(VALU_DEP_1)
	v_mad_u64_u32 v[4:5], null, s10, 3, v[3:4]
	v_ashrrev_i32_e32 v5, 31, v4
	s_delay_alu instid0(VALU_DEP_1) | instskip(SKIP_1) | instid1(VALU_DEP_1)
	v_lshlrev_b64 v[3:4], 2, v[4:5]
	s_waitcnt lgkmcnt(0)
	v_add_co_u32 v3, vcc_lo, s8, v3
	s_delay_alu instid0(VALU_DEP_2)
	v_add_co_ci_u32_e32 v4, vcc_lo, s9, v4, vcc_lo
	global_load_b32 v3, v[3:4], off
	v_mov_b32_e32 v4, s6
	s_waitcnt vmcnt(0)
	v_lshrrev_b32_e32 v3, v53, v3
.LBB2_21:
	s_or_b32 exec_lo, exec_lo, s3
	s_add_i32 s3, s18, 0x80
	v_cvt_f64_i32_e32 v[7:8], s4
	s_waitcnt vmcnt(0)
	v_cvt_f64_u32_e32 v[5:6], s3
	s_waitcnt lgkmcnt(0)
	s_barrier
	buffer_gl0_inv
	v_min_f64 v[5:6], v[5:6], v[7:8]
	s_delay_alu instid0(VALU_DEP_1) | instskip(NEXT) | instid1(VALU_DEP_1)
	v_cvt_i32_f64_e32 v54, v[5:6]
	v_cmp_ge_i32_e32 vcc_lo, s18, v54
	s_cbranch_vccnz .LBB2_46
; %bb.22:
	s_clause 0x1
	s_load_b64 s[10:11], s[0:1], 0x18
	s_load_b64 s[12:13], s[0:1], 0x30
	v_add_nc_u32_e32 v4, v4, v12
	s_load_b64 s[16:17], s[0:1], 0x0
	s_lshr_b32 s23, s18, 5
	v_ashrrev_i32_e32 v13, 31, v12
	v_lshrrev_b32_e32 v1, 27, v1
	v_ashrrev_i32_e32 v5, 31, v4
	s_mul_i32 s23, s23, s5
	v_cmp_ne_u32_e64 s0, 8, v2
	s_mul_i32 s24, s23, 3
	v_cmp_lt_u32_e64 s1, 16, v2
	v_lshlrev_b64 v[4:5], 1, v[4:5]
	v_cmp_ne_u32_e64 s3, 20, v2
	v_mad_u32_u24 v55, v2, 3, 0xffffffc0
	v_mad_u32_u24 v56, v2, 3, 0xffffffe0
	v_add_nc_u32_e32 v2, v0, v1
	s_ashr_i32 s25, s24, 31
	v_lshlrev_b64 v[0:1], 2, v[12:13]
	s_lshl_b64 s[24:25], s[24:25], 2
	s_waitcnt lgkmcnt(0)
	v_add_co_u32 v4, vcc_lo, s10, v4
	v_add_co_ci_u32_e32 v5, vcc_lo, s11, v5, vcc_lo
	s_add_i32 s4, s14, s18
	s_add_u32 s16, s16, s24
	s_addc_u32 s17, s17, s25
	global_load_b64 v[4:5], v[4:5], off
	s_bitcmp1_b32 s7, 0
	v_add_co_u32 v14, vcc_lo, s16, v0
	v_add_co_ci_u32_e32 v15, vcc_lo, s17, v1, vcc_lo
	s_cselect_b32 s17, -1, 0
	s_mul_i32 s26, s15, s5
	s_xor_b32 s17, s17, -1
	s_add_i32 s23, s18, 30
	s_add_i32 s24, s18, 28
	;; [unrolled: 1-line block ×30, first 2 shown]
	v_and_b32_e32 v57, 7, v3
	v_bfe_u32 v58, v3, 3, 3
	v_bfe_u32 v59, v3, 6, 3
	;; [unrolled: 1-line block ×3, first 2 shown]
	v_ashrrev_i32_e32 v13, 5, v2
	v_cndmask_b32_e64 v60, 0, 1, s17
	s_mov_b32 s6, s5
	s_ashr_i32 s7, s5, 31
	s_lshl_b32 s26, s26, 7
	s_mul_i32 s23, s5, s23
	s_mul_i32 s24, s5, s24
	;; [unrolled: 1-line block ×30, first 2 shown]
	s_mul_hi_i32 s21, s5, 12
	s_mul_i32 s22, s5, 12
	s_mov_b32 s15, 0
	s_lshl_b32 s16, s5, 5
	s_add_i32 s17, s26, s53
	s_lshl_b64 s[6:7], s[6:7], 2
	s_add_i32 s23, s23, s53
	s_add_i32 s24, s24, s53
	;; [unrolled: 1-line block ×30, first 2 shown]
	s_mov_b32 s54, 0x70007
	s_mov_b32 s55, 0x380038
	;; [unrolled: 1-line block ×3, first 2 shown]
	s_waitcnt vmcnt(0)
	v_perm_b32 v62, v5, v5, 0x7060302
	v_perm_b32 v63, v5, v5, 0x5040100
	;; [unrolled: 1-line block ×4, first 2 shown]
	s_branch .LBB2_24
.LBB2_23:                               ;   in Loop: Header=BB2_24 Depth=1
	v_mad_u64_u32 v[4:5], null, v3, s5, v[12:13]
	v_add_co_u32 v14, vcc_lo, v14, s22
	v_add_co_ci_u32_e32 v15, vcc_lo, s21, v15, vcc_lo
	s_add_i32 s18, s18, 32
	s_add_i32 s23, s23, s16
	s_delay_alu instid0(VALU_DEP_3)
	v_ashrrev_i32_e32 v5, 31, v4
	s_add_i32 s24, s24, s16
	s_add_i32 s25, s25, s16
	;; [unrolled: 1-line block ×4, first 2 shown]
	v_lshlrev_b64 v[2:3], 1, v[4:5]
	s_add_i32 s28, s28, s16
	s_add_i32 s29, s29, s16
	;; [unrolled: 1-line block ×5, first 2 shown]
	v_add_co_u32 v2, vcc_lo, s12, v2
	v_add_co_ci_u32_e32 v3, vcc_lo, s13, v3, vcc_lo
	v_cmp_lt_i32_e32 vcc_lo, s18, v54
	s_add_i32 s34, s34, s16
	s_add_i32 s35, s35, s16
	;; [unrolled: 1-line block ×21, first 2 shown]
	s_addk_i32 s15, 0x80
	global_store_b64 v[2:3], v[0:1], off
	s_cbranch_vccz .LBB2_46
.LBB2_24:                               ; =>This Inner Loop Header: Depth=1
	s_cmp_lg_u32 s18, s4
	s_cbranch_scc1 .LBB2_42
; %bb.25:                               ;   in Loop: Header=BB2_24 Depth=1
	s_add_i32 s20, s20, 1
                                        ; implicit-def: $vgpr2
	s_delay_alu instid0(SALU_CYCLE_1) | instskip(NEXT) | instid1(SALU_CYCLE_1)
	s_mul_i32 s57, s20, s5
	s_ashr_i32 s58, s57, 31
	s_delay_alu instid0(SALU_CYCLE_1) | instskip(NEXT) | instid1(SALU_CYCLE_1)
	s_lshr_b32 s58, s58, 27
	s_add_i32 s58, s57, s58
	s_delay_alu instid0(SALU_CYCLE_1) | instskip(NEXT) | instid1(SALU_CYCLE_1)
	s_ashr_i32 s58, s58, 5
	v_mad_u64_u32 v[0:1], null, s58, 3, v[13:14]
	s_delay_alu instid0(VALU_DEP_1) | instskip(NEXT) | instid1(VALU_DEP_1)
	v_ashrrev_i32_e32 v1, 31, v0
	v_lshlrev_b64 v[0:1], 2, v[0:1]
	s_delay_alu instid0(VALU_DEP_1) | instskip(NEXT) | instid1(VALU_DEP_2)
	v_add_co_u32 v0, vcc_lo, s8, v0
	v_add_co_ci_u32_e32 v1, vcc_lo, s9, v1, vcc_lo
	global_load_b32 v3, v[0:1], off
	s_and_saveexec_b32 s58, s2
	s_delay_alu instid0(SALU_CYCLE_1)
	s_xor_b32 s58, exec_lo, s58
	s_cbranch_execz .LBB2_39
; %bb.26:                               ;   in Loop: Header=BB2_24 Depth=1
                                        ; implicit-def: $vgpr2
	s_and_saveexec_b32 s59, s0
	s_delay_alu instid0(SALU_CYCLE_1)
	s_xor_b32 s59, exec_lo, s59
	s_cbranch_execz .LBB2_36
; %bb.27:                               ;   in Loop: Header=BB2_24 Depth=1
                                        ; implicit-def: $vgpr2
	;; [unrolled: 6-line block ×3, first 2 shown]
	s_and_saveexec_b32 s61, s3
	s_delay_alu instid0(SALU_CYCLE_1)
	s_xor_b32 s61, exec_lo, s61
	s_cbranch_execz .LBB2_30
; %bb.29:                               ;   in Loop: Header=BB2_24 Depth=1
	s_waitcnt vmcnt(0)
	v_lshrrev_b32_e32 v2, v55, v3
                                        ; implicit-def: $vgpr0_vgpr1
                                        ; implicit-def: $vgpr3
.LBB2_30:                               ;   in Loop: Header=BB2_24 Depth=1
	s_and_not1_saveexec_b32 s61, s61
	s_cbranch_execz .LBB2_32
; %bb.31:                               ;   in Loop: Header=BB2_24 Depth=1
	global_load_b32 v0, v[0:1], off offset:4
	s_waitcnt vmcnt(0)
	v_alignbit_b32 v0, v0, v3, 28
	s_delay_alu instid0(VALU_DEP_1)
	v_and_b32_e32 v2, 0xfff, v0
.LBB2_32:                               ;   in Loop: Header=BB2_24 Depth=1
	s_or_b32 exec_lo, exec_lo, s61
                                        ; implicit-def: $vgpr3
.LBB2_33:                               ;   in Loop: Header=BB2_24 Depth=1
	s_and_not1_saveexec_b32 s60, s60
	s_cbranch_execz .LBB2_35
; %bb.34:                               ;   in Loop: Header=BB2_24 Depth=1
	s_waitcnt vmcnt(0)
	v_lshrrev_b32_e32 v2, v56, v3
.LBB2_35:                               ;   in Loop: Header=BB2_24 Depth=1
	s_or_b32 exec_lo, exec_lo, s60
                                        ; implicit-def: $vgpr0_vgpr1
                                        ; implicit-def: $vgpr3
.LBB2_36:                               ;   in Loop: Header=BB2_24 Depth=1
	s_and_not1_saveexec_b32 s59, s59
	s_cbranch_execz .LBB2_38
; %bb.37:                               ;   in Loop: Header=BB2_24 Depth=1
	global_load_b32 v0, v[0:1], off offset:4
	s_waitcnt vmcnt(0)
	v_perm_b32 v0, v3, v0, 0x2010007
	s_delay_alu instid0(VALU_DEP_1)
	v_and_b32_e32 v2, 0xfff, v0
.LBB2_38:                               ;   in Loop: Header=BB2_24 Depth=1
	s_or_b32 exec_lo, exec_lo, s59
                                        ; implicit-def: $vgpr3
.LBB2_39:                               ;   in Loop: Header=BB2_24 Depth=1
	s_and_not1_saveexec_b32 s58, s58
	s_cbranch_execz .LBB2_41
; %bb.40:                               ;   in Loop: Header=BB2_24 Depth=1
	s_waitcnt vmcnt(0)
	v_lshrrev_b32_e32 v2, v53, v3
.LBB2_41:                               ;   in Loop: Header=BB2_24 Depth=1
	s_or_b32 exec_lo, exec_lo, s58
	v_add_nc_u32_e32 v0, s57, v12
	s_delay_alu instid0(VALU_DEP_2)
	v_and_b32_e32 v57, 7, v2
	v_bfe_u32 v58, v2, 3, 3
	v_bfe_u32 v59, v2, 6, 3
	;; [unrolled: 1-line block ×3, first 2 shown]
	v_ashrrev_i32_e32 v1, 31, v0
	s_add_i32 s4, s4, s14
	s_delay_alu instid0(VALU_DEP_1) | instskip(NEXT) | instid1(VALU_DEP_1)
	v_lshlrev_b64 v[0:1], 1, v[0:1]
	v_add_co_u32 v0, vcc_lo, s10, v0
	s_delay_alu instid0(VALU_DEP_2)
	v_add_co_ci_u32_e32 v1, vcc_lo, s11, v1, vcc_lo
	global_load_b64 v[0:1], v[0:1], off
	s_waitcnt vmcnt(0)
	v_perm_b32 v65, v0, v0, 0x5040100
	v_perm_b32 v64, v0, v0, 0x7060302
	;; [unrolled: 1-line block ×4, first 2 shown]
.LBB2_42:                               ;   in Loop: Header=BB2_24 Depth=1
	v_add_co_u32 v0, vcc_lo, v14, s6
	v_add_co_ci_u32_e32 v1, vcc_lo, s7, v15, vcc_lo
	global_load_b128 v[8:11], v[14:15], off
	v_add_nc_u32_e32 v17, v57, v60
	v_add_nc_u32_e32 v18, v58, v60
	global_load_b128 v[4:7], v[0:1], off
	v_add_co_u32 v0, vcc_lo, v0, s6
	v_add_co_ci_u32_e32 v1, vcc_lo, s7, v1, vcc_lo
	v_add_nc_u32_e32 v19, v59, v60
	v_add_nc_u32_e32 v20, v61, v60
	v_cvt_f32_i32_e32 v21, v17
	global_load_b128 v[0:3], v[0:1], off
	v_cvt_f32_i32_e32 v22, v18
	v_cvt_f32_i32_e32 v23, v19
	;; [unrolled: 1-line block ×3, first 2 shown]
	v_or_b32_e32 v16, 0xffffe400, v17
	v_or_b32_e32 v17, 0xffffe400, v18
	;; [unrolled: 1-line block ×3, first 2 shown]
	v_cvt_f16_f32_e32 v21, v21
	v_or_b32_e32 v19, 0xffffe400, v20
	v_cvt_f16_f32_e32 v20, v22
	v_cvt_f16_f32_e32 v23, v23
	;; [unrolled: 1-line block ×3, first 2 shown]
	v_sub_f16_e32 v26, 0xd800, v21
	v_sub_f16_e32 v27, 0xcc00, v21
	;; [unrolled: 1-line block ×8, first 2 shown]
	s_and_not1_b32 vcc_lo, exec_lo, s19
	s_waitcnt vmcnt(2)
	v_and_or_b32 v28, v8, s54, 0x64006400
	v_and_or_b32 v29, v8, s55, 0x64006400
	v_lshrrev_b32_e32 v30, 6, v8
	s_waitcnt vmcnt(1)
	v_and_or_b32 v42, v4, s54, 0x64006400
	v_and_or_b32 v43, v4, s55, 0x64006400
	v_lshrrev_b32_e32 v44, 6, v4
	v_lshrrev_b32_e32 v4, 14, v4
	v_and_or_b32 v47, v5, s54, 0x64006400
	v_and_or_b32 v48, v5, s55, 0x64006400
	v_lshrrev_b32_e32 v49, 6, v5
	v_lshrrev_b32_e32 v5, 14, v5
	;; [unrolled: 4-line block ×4, first 2 shown]
	v_lshrrev_b32_e32 v8, 15, v8
	v_and_or_b32 v31, v9, s54, 0x64006400
	v_and_or_b32 v32, v9, s55, 0x64006400
	v_lshrrev_b32_e32 v33, 6, v9
	v_lshrrev_b32_e32 v9, 15, v9
	v_and_or_b32 v34, v10, s54, 0x64006400
	v_and_or_b32 v35, v10, s55, 0x64006400
	v_lshrrev_b32_e32 v36, 6, v10
	;; [unrolled: 4-line block ×3, first 2 shown]
	v_lshrrev_b32_e32 v11, 15, v11
	v_and_b32_e32 v4, 0x20002, v4
	s_waitcnt vmcnt(0)
	v_and_or_b32 v76, v0, s54, 0x64006400
	v_and_or_b32 v77, v0, s55, 0x64006400
	v_lshrrev_b32_e32 v78, 6, v0
	v_lshrrev_b32_e32 v0, 13, v0
	v_and_b32_e32 v5, 0x20002, v5
	v_and_or_b32 v81, v1, s54, 0x64006400
	v_and_or_b32 v82, v1, s55, 0x64006400
	v_lshrrev_b32_e32 v83, 6, v1
	v_lshrrev_b32_e32 v1, 13, v1
	v_and_b32_e32 v6, 0x20002, v6
	;; [unrolled: 5-line block ×3, first 2 shown]
	v_and_or_b32 v91, v3, s54, 0x64006400
	v_and_or_b32 v92, v3, s55, 0x64006400
	v_lshrrev_b32_e32 v93, 6, v3
	v_lshrrev_b32_e32 v3, 13, v3
	v_and_or_b32 v40, v30, s54, 0x64006400
	v_and_or_b32 v41, v30, s55, 0x64006400
	;; [unrolled: 1-line block ×9, first 2 shown]
	v_pk_add_f16 v34, v18, v34 op_sel_hi:[0,1]
	v_pk_fma_f16 v35, 0x3000, v35, v22 op_sel_hi:[0,1,0]
	v_and_or_b32 v69, v39, s54, 0x64006400
	v_and_or_b32 v70, v39, s55, 0x64006400
	;; [unrolled: 1-line block ×3, first 2 shown]
	v_pk_add_f16 v37, v19, v37 op_sel_hi:[0,1]
	v_pk_fma_f16 v38, 0x3000, v38, v20 op_sel_hi:[0,1,0]
	v_and_or_b32 v74, v44, s54, 0x64006400
	v_and_or_b32 v75, v44, s55, 0x64006400
	;; [unrolled: 1-line block ×12, first 2 shown]
	v_and_b32_e32 v0, 0x40004, v0
	v_and_or_b32 v4, 0x10001, v8, v4
	v_and_b32_e32 v1, 0x40004, v1
	v_and_or_b32 v5, 0x10001, v9, v5
	;; [unrolled: 2-line block ×4, first 2 shown]
	v_pk_add_f16 v28, v16, v28 op_sel_hi:[0,1]
	v_pk_fma_f16 v29, 0x3000, v29, v26 op_sel_hi:[0,1,0]
	v_pk_add_f16 v31, v17, v31 op_sel_hi:[0,1]
	v_pk_fma_f16 v32, 0x3000, v32, v24 op_sel_hi:[0,1,0]
	;; [unrolled: 2-line block ×3, first 2 shown]
	v_pk_fma_f16 v30, 0x2400, v30, v27 op_sel_hi:[0,1,0]
	v_pk_add_f16 v42, v16, v42 op_sel_hi:[0,1]
	v_pk_fma_f16 v43, 0x3000, v43, v26 op_sel_hi:[0,1,0]
	v_pk_add_f16 v45, v17, v45 op_sel_hi:[0,1]
	v_pk_fma_f16 v46, 0x3000, v46, v24 op_sel_hi:[0,1,0]
	v_pk_fma_f16 v33, 0x2400, v33, v25 op_sel_hi:[0,1,0]
	v_pk_add_f16 v47, v17, v47 op_sel_hi:[0,1]
	v_pk_fma_f16 v48, 0x3000, v48, v24 op_sel_hi:[0,1,0]
	v_pk_add_f16 v50, v18, v50 op_sel_hi:[0,1]
	v_pk_fma_f16 v51, 0x3000, v51, v22 op_sel_hi:[0,1,0]
	;; [unrolled: 5-line block ×3, first 2 shown]
	v_pk_fma_f16 v39, 0x2400, v39, v21 op_sel_hi:[0,1,0]
	v_pk_add_f16 v71, v19, v71 op_sel_hi:[0,1]
	v_pk_fma_f16 v72, 0x3000, v72, v20 op_sel_hi:[0,1,0]
	v_pk_mul_f16 v34, v63, v34
	v_pk_mul_f16 v37, v62, v37
	;; [unrolled: 1-line block ×4, first 2 shown]
	v_and_or_b32 v95, v78, s54, 0x64006400
	v_and_or_b32 v96, v78, s55, 0x64006400
	;; [unrolled: 1-line block ×3, first 2 shown]
	v_pk_add_f16 v8, v16, v74 op_sel_hi:[0,1]
	v_pk_fma_f16 v74, 0x3000, v75, v26 op_sel_hi:[0,1,0]
	v_pk_fma_f16 v44, 0x2400, v44, v27 op_sel_hi:[0,1,0]
	v_pk_add_f16 v75, v16, v76 op_sel_hi:[0,1]
	v_pk_fma_f16 v76, 0x3000, v77, v26 op_sel_hi:[0,1,0]
	v_and_or_b32 v77, v83, s54, 0x64006400
	v_and_or_b32 v97, v83, s55, 0x64006400
	v_and_or_b32 v83, v83, s56, 0x64006400
	v_pk_add_f16 v9, v17, v79 op_sel_hi:[0,1]
	v_pk_fma_f16 v79, 0x3000, v80, v24 op_sel_hi:[0,1,0]
	v_pk_fma_f16 v49, 0x2400, v49, v25 op_sel_hi:[0,1,0]
	v_pk_add_f16 v80, v17, v81 op_sel_hi:[0,1]
	v_pk_fma_f16 v81, 0x3000, v82, v24 op_sel_hi:[0,1,0]
	v_and_or_b32 v82, v88, s54, 0x64006400
	v_and_or_b32 v98, v88, s55, 0x64006400
	;; [unrolled: 1-line block ×3, first 2 shown]
	v_pk_add_f16 v84, v18, v84 op_sel_hi:[0,1]
	v_pk_fma_f16 v85, 0x3000, v85, v22 op_sel_hi:[0,1,0]
	v_pk_fma_f16 v68, 0x2400, v68, v23 op_sel_hi:[0,1,0]
	v_pk_add_f16 v86, v18, v86 op_sel_hi:[0,1]
	v_and_or_b32 v99, v93, s54, 0x64006400
	v_and_or_b32 v100, v93, s55, 0x64006400
	;; [unrolled: 1-line block ×3, first 2 shown]
	v_pk_add_f16 v89, v19, v89 op_sel_hi:[0,1]
	v_pk_fma_f16 v90, 0x3000, v90, v20 op_sel_hi:[0,1,0]
	v_pk_fma_f16 v73, 0x2400, v73, v21 op_sel_hi:[0,1,0]
	v_pk_add_f16 v91, v19, v91 op_sel_hi:[0,1]
	v_or3_b32 v0, v4, v0, 0x64006400
	v_or3_b32 v1, v5, v1, 0x64006400
	;; [unrolled: 1-line block ×4, first 2 shown]
	v_pk_mul_f16 v28, v65, v28
	v_pk_mul_f16 v31, v64, v31
	;; [unrolled: 1-line block ×4, first 2 shown]
	v_pk_fma_f16 v87, 0x3000, v87, v22 op_sel_hi:[0,1,0]
	v_pk_fma_f16 v92, 0x3000, v92, v20 op_sel_hi:[0,1,0]
	v_perm_b32 v11, v37, v34, 0x7060302
	v_pk_mul_f16 v101, v65, v40
	v_pk_mul_f16 v45, v64, v45
	;; [unrolled: 1-line block ×20, first 2 shown]
	v_perm_b32 v41, v37, v34, 0x5040100
	v_pack_b32_f16 v37, v35, v94
	v_perm_b32 v39, v94, v35, 0x7060302
	v_pk_add_f16 v94, v16, v95 op_sel_hi:[0,1]
	v_pk_fma_f16 v95, 0x3000, v96, v26 op_sel_hi:[0,1,0]
	v_pk_fma_f16 v96, 0x2400, v78, v27 op_sel_hi:[0,1,0]
	v_pk_add_f16 v77, v17, v77 op_sel_hi:[0,1]
	v_pk_fma_f16 v97, 0x3000, v97, v24 op_sel_hi:[0,1,0]
	v_pk_fma_f16 v111, 0x2400, v83, v25 op_sel_hi:[0,1,0]
	;; [unrolled: 3-line block ×4, first 2 shown]
	v_pk_mul_f16 v4, v65, v8
	v_pk_mul_f16 v5, v64, v9
	;; [unrolled: 1-line block ×16, first 2 shown]
	v_pk_add_f16 v0, v16, v0 op_sel_hi:[0,1]
	v_pk_add_f16 v1, v17, v1 op_sel_hi:[0,1]
	;; [unrolled: 1-line block ×4, first 2 shown]
	v_perm_b32 v10, v31, v28, 0x7060302
	v_perm_b32 v40, v31, v28, 0x5040100
	v_pack_b32_f16 v36, v29, v32
	v_perm_b32 v38, v32, v29, 0x7060302
	v_pack_b32_f16 v48, v101, v45
	v_pack_b32_f16 v49, v102, v69
	v_perm_b32 v50, v45, v101, 0x7060302
	v_perm_b32 v51, v69, v102, 0x7060302
	v_pack_b32_f16 v44, v103, v46
	v_pack_b32_f16 v45, v104, v70
	v_perm_b32 v42, v46, v103, 0x7060302
	;; [unrolled: 4-line block ×5, first 2 shown]
	v_perm_b32 v27, v72, v67, 0x7060302
	v_pk_mul_f16 v82, v65, v76
	v_pk_mul_f16 v83, v64, v81
	;; [unrolled: 1-line block ×4, first 2 shown]
	v_pack_b32_f16 v28, v4, v5
	v_pack_b32_f16 v29, v6, v7
	v_perm_b32 v30, v5, v4, 0x7060302
	v_perm_b32 v31, v7, v6, 0x7060302
	v_pack_b32_f16 v18, v8, v9
	v_pack_b32_f16 v19, v20, v21
	v_perm_b32 v16, v9, v8, 0x7060302
	v_perm_b32 v17, v21, v20, 0x7060302
	;; [unrolled: 4-line block ×4, first 2 shown]
	v_pk_mul_f16 v78, v65, v94
	v_pk_mul_f16 v79, v64, v77
	;; [unrolled: 1-line block ×16, first 2 shown]
	s_cbranch_vccnz .LBB2_44
; %bb.43:                               ;   in Loop: Header=BB2_24 Depth=1
	v_mov_b32_e32 v0, s15
	v_perm_b32 v104, v79, v78, 0x7060302
	v_perm_b32 v105, v81, v80, 0x7060302
	ds_load_b128 v[86:89], v0
	ds_load_b128 v[90:93], v0 offset:16
	ds_load_b128 v[94:97], v0 offset:32
	s_waitcnt lgkmcnt(2)
	v_mad_u64_u32 v[1:2], null, v86, s5, v[12:13]
	v_mad_u64_u32 v[98:99], null, v87, s5, v[12:13]
	;; [unrolled: 1-line block ×4, first 2 shown]
	s_delay_alu instid0(VALU_DEP_4)
	v_ashrrev_i32_e32 v2, 31, v1
	s_waitcnt lgkmcnt(1)
	v_mad_u64_u32 v[88:89], null, v90, s5, v[12:13]
	v_ashrrev_i32_e32 v99, 31, v98
	v_ashrrev_i32_e32 v87, 31, v86
	v_lshlrev_b64 v[1:2], 1, v[1:2]
	v_mad_u64_u32 v[102:103], null, v91, s5, v[12:13]
	v_mad_u64_u32 v[90:91], null, v92, s5, v[12:13]
	v_lshlrev_b64 v[91:92], 1, v[98:99]
	v_ashrrev_i32_e32 v101, 31, v100
	v_lshlrev_b64 v[86:87], 1, v[86:87]
	v_add_co_u32 v1, vcc_lo, s12, v1
	v_add_co_ci_u32_e32 v2, vcc_lo, s13, v2, vcc_lo
	s_delay_alu instid0(VALU_DEP_4)
	v_lshlrev_b64 v[98:99], 1, v[100:101]
	v_add_co_u32 v91, vcc_lo, s12, v91
	v_ashrrev_i32_e32 v89, 31, v88
	v_add_co_ci_u32_e32 v92, vcc_lo, s13, v92, vcc_lo
	v_add_co_u32 v86, vcc_lo, s12, v86
	v_add_co_ci_u32_e32 v87, vcc_lo, s13, v87, vcc_lo
	s_delay_alu instid0(VALU_DEP_4) | instskip(SKIP_3) | instid1(VALU_DEP_4)
	v_lshlrev_b64 v[88:89], 1, v[88:89]
	v_add_co_u32 v98, vcc_lo, s12, v98
	v_add_co_ci_u32_e32 v99, vcc_lo, s13, v99, vcc_lo
	v_ashrrev_i32_e32 v103, 31, v102
	v_add_co_u32 v100, vcc_lo, s12, v88
	s_clause 0x3
	global_store_b64 v[1:2], v[40:41], off
	global_store_b64 v[91:92], v[10:11], off
	;; [unrolled: 1-line block ×4, first 2 shown]
	v_ashrrev_i32_e32 v91, 31, v90
	v_mad_u64_u32 v[98:99], null, v93, s5, v[12:13]
	v_add_co_ci_u32_e32 v101, vcc_lo, s13, v89, vcc_lo
	v_lshlrev_b64 v[1:2], 1, v[102:103]
	s_waitcnt lgkmcnt(0)
	v_mad_u64_u32 v[92:93], null, v94, s5, v[12:13]
	v_lshlrev_b64 v[90:91], 1, v[90:91]
	ds_load_b128 v[86:89], v0 offset:48
	global_store_b64 v[100:101], v[48:49], off
	v_mad_u64_u32 v[100:101], null, v95, s5, v[12:13]
	v_add_co_u32 v1, vcc_lo, s12, v1
	v_ashrrev_i32_e32 v99, 31, v98
	v_add_co_ci_u32_e32 v2, vcc_lo, s13, v2, vcc_lo
	v_add_co_u32 v90, vcc_lo, s12, v90
	v_ashrrev_i32_e32 v93, 31, v92
	v_add_co_ci_u32_e32 v91, vcc_lo, s13, v91, vcc_lo
	v_lshlrev_b64 v[98:99], 1, v[98:99]
	v_ashrrev_i32_e32 v101, 31, v100
	s_clause 0x1
	global_store_b64 v[1:2], v[50:51], off
	global_store_b64 v[90:91], v[44:45], off
	v_lshlrev_b64 v[1:2], 1, v[92:93]
	v_mad_u64_u32 v[94:95], null, v96, s5, v[12:13]
	v_add_co_u32 v90, vcc_lo, s12, v98
	v_lshlrev_b64 v[92:93], 1, v[100:101]
	v_add_co_ci_u32_e32 v91, vcc_lo, s13, v99, vcc_lo
	v_mad_u64_u32 v[98:99], null, v97, s5, v[12:13]
	v_add_co_u32 v1, vcc_lo, s12, v1
	v_add_co_ci_u32_e32 v2, vcc_lo, s13, v2, vcc_lo
	v_add_co_u32 v92, vcc_lo, s12, v92
	v_ashrrev_i32_e32 v95, 31, v94
	s_waitcnt lgkmcnt(0)
	v_mad_u64_u32 v[96:97], null, v86, s5, v[12:13]
	v_add_co_ci_u32_e32 v93, vcc_lo, s13, v93, vcc_lo
	v_ashrrev_i32_e32 v99, 31, v98
	s_clause 0x2
	global_store_b64 v[90:91], v[42:43], off
	global_store_b64 v[1:2], v[46:47], off
	;; [unrolled: 1-line block ×3, first 2 shown]
	v_lshlrev_b64 v[1:2], 1, v[94:95]
	v_mad_u64_u32 v[94:95], null, v87, s5, v[12:13]
	v_lshlrev_b64 v[90:91], 1, v[98:99]
	v_ashrrev_i32_e32 v97, 31, v96
	v_mad_u64_u32 v[98:99], null, v88, s5, v[12:13]
	v_add_co_u32 v1, vcc_lo, s12, v1
	v_add_co_ci_u32_e32 v2, vcc_lo, s13, v2, vcc_lo
	s_delay_alu instid0(VALU_DEP_4)
	v_lshlrev_b64 v[86:87], 1, v[96:97]
	v_add_co_u32 v96, vcc_lo, s12, v90
	v_add_co_ci_u32_e32 v97, vcc_lo, s13, v91, vcc_lo
	ds_load_b128 v[90:93], v0 offset:64
	v_ashrrev_i32_e32 v95, 31, v94
	v_mad_u64_u32 v[100:101], null, v89, s5, v[12:13]
	v_add_co_u32 v86, vcc_lo, s12, v86
	s_delay_alu instid0(VALU_DEP_3)
	v_lshlrev_b64 v[94:95], 1, v[94:95]
	v_add_co_ci_u32_e32 v87, vcc_lo, s13, v87, vcc_lo
	v_ashrrev_i32_e32 v99, 31, v98
	v_ashrrev_i32_e32 v101, 31, v100
	global_store_b64 v[1:2], v[34:35], off
	v_add_co_u32 v88, vcc_lo, s12, v94
	v_add_co_ci_u32_e32 v89, vcc_lo, s13, v95, vcc_lo
	v_lshlrev_b64 v[1:2], 1, v[98:99]
	s_clause 0x2
	global_store_b64 v[96:97], v[24:25], off
	global_store_b64 v[86:87], v[22:23], off
	;; [unrolled: 1-line block ×3, first 2 shown]
	v_lshlrev_b64 v[96:97], 1, v[100:101]
	ds_load_b128 v[86:89], v0 offset:80
	s_waitcnt lgkmcnt(1)
	v_mad_u64_u32 v[94:95], null, v90, s5, v[12:13]
	v_add_co_u32 v1, vcc_lo, s12, v1
	v_mad_u64_u32 v[98:99], null, v91, s5, v[12:13]
	v_add_co_ci_u32_e32 v2, vcc_lo, s13, v2, vcc_lo
	s_delay_alu instid0(VALU_DEP_4) | instskip(SKIP_2) | instid1(VALU_DEP_3)
	v_ashrrev_i32_e32 v95, 31, v94
	v_add_co_u32 v90, vcc_lo, s12, v96
	v_add_co_ci_u32_e32 v91, vcc_lo, s13, v97, vcc_lo
	v_lshlrev_b64 v[94:95], 1, v[94:95]
	v_mad_u64_u32 v[96:97], null, v92, s5, v[12:13]
	s_clause 0x1
	global_store_b64 v[1:2], v[28:29], off
	global_store_b64 v[90:91], v[30:31], off
	v_ashrrev_i32_e32 v99, 31, v98
	v_add_co_u32 v90, vcc_lo, s12, v94
	v_add_co_ci_u32_e32 v91, vcc_lo, s13, v95, vcc_lo
	v_mad_u64_u32 v[94:95], null, v93, s5, v[12:13]
	v_ashrrev_i32_e32 v97, 31, v96
	v_lshlrev_b64 v[1:2], 1, v[98:99]
	global_store_b64 v[90:91], v[18:19], off
	s_waitcnt lgkmcnt(0)
	v_mad_u64_u32 v[98:99], null, v87, s5, v[12:13]
	v_lshlrev_b64 v[92:93], 1, v[96:97]
	v_ashrrev_i32_e32 v95, 31, v94
	v_add_co_u32 v1, vcc_lo, s12, v1
	v_add_co_ci_u32_e32 v2, vcc_lo, s13, v2, vcc_lo
	v_mad_u64_u32 v[96:97], null, v86, s5, v[12:13]
	v_add_co_u32 v86, vcc_lo, s12, v92
	v_lshlrev_b64 v[90:91], 1, v[94:95]
	v_add_co_ci_u32_e32 v87, vcc_lo, s13, v93, vcc_lo
	s_clause 0x1
	global_store_b64 v[1:2], v[16:17], off
	global_store_b64 v[86:87], v[20:21], off
	v_add_co_u32 v86, vcc_lo, s12, v90
	v_add_co_ci_u32_e32 v87, vcc_lo, s13, v91, vcc_lo
	ds_load_b128 v[90:93], v0 offset:96
	v_ashrrev_i32_e32 v97, 31, v96
	v_ashrrev_i32_e32 v99, 31, v98
	s_delay_alu instid0(VALU_DEP_2) | instskip(SKIP_1) | instid1(VALU_DEP_3)
	v_lshlrev_b64 v[1:2], 1, v[96:97]
	v_mad_u64_u32 v[96:97], null, v88, s5, v[12:13]
	v_lshlrev_b64 v[94:95], 1, v[98:99]
	v_mad_u64_u32 v[98:99], null, v89, s5, v[12:13]
	s_delay_alu instid0(VALU_DEP_4) | instskip(SKIP_4) | instid1(VALU_DEP_3)
	v_add_co_u32 v1, vcc_lo, s12, v1
	v_add_co_ci_u32_e32 v2, vcc_lo, s13, v2, vcc_lo
	v_ashrrev_i32_e32 v97, 31, v96
	v_add_co_u32 v88, vcc_lo, s12, v94
	v_add_co_ci_u32_e32 v89, vcc_lo, s13, v95, vcc_lo
	v_lshlrev_b64 v[94:95], 1, v[96:97]
	s_waitcnt lgkmcnt(0)
	v_mad_u64_u32 v[96:97], null, v90, s5, v[12:13]
	v_ashrrev_i32_e32 v99, 31, v98
	s_clause 0x1
	global_store_b64 v[86:87], v[6:7], off
	global_store_b64 v[1:2], v[8:9], off
	ds_load_b128 v[0:3], v0 offset:112
	v_mad_u64_u32 v[100:101], null, v91, s5, v[12:13]
	global_store_b64 v[88:89], v[4:5], off
	v_ashrrev_i32_e32 v97, 31, v96
	v_lshlrev_b64 v[88:89], 1, v[98:99]
	v_mad_u64_u32 v[102:103], null, v92, s5, v[12:13]
	v_add_co_u32 v90, vcc_lo, s12, v94
	s_delay_alu instid0(VALU_DEP_4)
	v_lshlrev_b64 v[96:97], 1, v[96:97]
	v_mad_u64_u32 v[106:107], null, v93, s5, v[12:13]
	v_add_co_ci_u32_e32 v91, vcc_lo, s13, v95, vcc_lo
	v_ashrrev_i32_e32 v101, 31, v100
	v_add_co_u32 v88, vcc_lo, s12, v88
	v_add_co_ci_u32_e32 v89, vcc_lo, s13, v89, vcc_lo
	v_pack_b32_f16 v86, v82, v83
	v_pack_b32_f16 v87, v84, v85
	v_add_co_u32 v96, vcc_lo, s12, v96
	v_ashrrev_i32_e32 v103, 31, v102
	v_perm_b32 v94, v83, v82, 0x7060302
	v_perm_b32 v95, v85, v84, 0x7060302
	v_pack_b32_f16 v98, v78, v79
	v_pack_b32_f16 v99, v80, v81
	v_lshlrev_b64 v[100:101], 1, v[100:101]
	v_add_co_ci_u32_e32 v97, vcc_lo, s13, v97, vcc_lo
	v_ashrrev_i32_e32 v107, 31, v106
	s_clause 0x2
	global_store_b64 v[90:91], v[86:87], off
	global_store_b64 v[88:89], v[94:95], off
	;; [unrolled: 1-line block ×3, first 2 shown]
	v_lshlrev_b64 v[86:87], 1, v[102:103]
	v_add_co_u32 v100, vcc_lo, s12, v100
	v_lshlrev_b64 v[92:93], 1, v[106:107]
	s_waitcnt lgkmcnt(0)
	v_mad_u64_u32 v[94:95], null, v0, s5, v[12:13]
	v_add_co_ci_u32_e32 v101, vcc_lo, s13, v101, vcc_lo
	v_add_co_u32 v86, vcc_lo, s12, v86
	v_add_co_ci_u32_e32 v87, vcc_lo, s13, v87, vcc_lo
	v_mad_u64_u32 v[96:97], null, v1, s5, v[12:13]
	v_add_co_u32 v0, vcc_lo, s12, v92
	v_pack_b32_f16 v88, v74, v75
	v_pack_b32_f16 v89, v76, v77
	v_perm_b32 v90, v75, v74, 0x7060302
	v_perm_b32 v91, v77, v76, 0x7060302
	v_add_co_ci_u32_e32 v1, vcc_lo, s13, v93, vcc_lo
	v_ashrrev_i32_e32 v95, 31, v94
	v_mad_u64_u32 v[92:93], null, v2, s5, v[12:13]
	s_clause 0x1
	global_store_b64 v[100:101], v[104:105], off
	global_store_b64 v[86:87], v[88:89], off
	v_ashrrev_i32_e32 v97, 31, v96
	global_store_b64 v[0:1], v[90:91], off
	v_lshlrev_b64 v[0:1], 1, v[94:95]
	v_pack_b32_f16 v86, v70, v71
	v_ashrrev_i32_e32 v93, 31, v92
	v_lshlrev_b64 v[88:89], 1, v[96:97]
	v_pack_b32_f16 v87, v72, v73
	v_perm_b32 v94, v71, v70, 0x7060302
	v_add_co_u32 v90, vcc_lo, s12, v0
	v_add_co_ci_u32_e32 v91, vcc_lo, s13, v1, vcc_lo
	v_lshlrev_b64 v[0:1], 1, v[92:93]
	v_add_co_u32 v88, vcc_lo, s12, v88
	v_add_co_ci_u32_e32 v89, vcc_lo, s13, v89, vcc_lo
	v_pack_b32_f16 v92, v66, v67
	s_delay_alu instid0(VALU_DEP_4)
	v_add_co_u32 v96, vcc_lo, s12, v0
	v_pack_b32_f16 v93, v68, v69
	v_add_co_ci_u32_e32 v97, vcc_lo, s13, v1, vcc_lo
	v_perm_b32 v0, v67, v66, 0x7060302
	v_perm_b32 v1, v69, v68, 0x7060302
	v_perm_b32 v95, v73, v72, 0x7060302
	s_clause 0x2
	global_store_b64 v[90:91], v[86:87], off
	global_store_b64 v[88:89], v[94:95], off
	;; [unrolled: 1-line block ×3, first 2 shown]
	s_cbranch_execnz .LBB2_23
	s_branch .LBB2_45
.LBB2_44:                               ;   in Loop: Header=BB2_24 Depth=1
                                        ; implicit-def: $vgpr1
                                        ; implicit-def: $vgpr3
.LBB2_45:                               ;   in Loop: Header=BB2_24 Depth=1
	s_add_i32 s57, s18, 31
	v_add_nc_u32_e32 v0, s17, v52
	v_add_nc_u32_e32 v2, s53, v52
	;; [unrolled: 1-line block ×5, first 2 shown]
	v_ashrrev_i32_e32 v1, 31, v0
	v_ashrrev_i32_e32 v3, 31, v2
	;; [unrolled: 1-line block ×5, first 2 shown]
	v_lshlrev_b64 v[0:1], 1, v[0:1]
	v_lshlrev_b64 v[2:3], 1, v[2:3]
	;; [unrolled: 1-line block ×4, first 2 shown]
	s_delay_alu instid0(VALU_DEP_4)
	v_add_co_u32 v0, vcc_lo, s12, v0
	v_add_co_ci_u32_e32 v1, vcc_lo, s13, v1, vcc_lo
	v_add_co_u32 v2, vcc_lo, s12, v2
	v_add_co_ci_u32_e32 v3, vcc_lo, s13, v3, vcc_lo
	global_store_b64 v[0:1], v[40:41], off
	v_add_nc_u32_e32 v40, s50, v52
	v_add_co_u32 v0, vcc_lo, s12, v86
	v_add_co_ci_u32_e32 v1, vcc_lo, s13, v87, vcc_lo
	v_add_co_u32 v86, vcc_lo, s12, v88
	s_delay_alu instid0(VALU_DEP_4)
	v_ashrrev_i32_e32 v41, 31, v40
	v_add_co_ci_u32_e32 v87, vcc_lo, s13, v89, vcc_lo
	global_store_b64 v[2:3], v[10:11], off
	v_lshlrev_b64 v[2:3], 1, v[90:91]
	v_add_nc_u32_e32 v10, s47, v52
	s_clause 0x1
	global_store_b64 v[0:1], v[36:37], off
	global_store_b64 v[86:87], v[38:39], off
	v_lshlrev_b64 v[0:1], 1, v[40:41]
	v_add_nc_u32_e32 v36, s48, v52
	v_add_nc_u32_e32 v38, s45, v52
	v_ashrrev_i32_e32 v11, 31, v10
	v_add_co_u32 v2, vcc_lo, s12, v2
	v_add_co_ci_u32_e32 v3, vcc_lo, s13, v3, vcc_lo
	v_add_co_u32 v0, vcc_lo, s12, v0
	v_ashrrev_i32_e32 v37, 31, v36
	v_lshlrev_b64 v[10:11], 1, v[10:11]
	v_add_co_ci_u32_e32 v1, vcc_lo, s13, v1, vcc_lo
	v_ashrrev_i32_e32 v39, 31, v38
	s_clause 0x1
	global_store_b64 v[2:3], v[48:49], off
	global_store_b64 v[0:1], v[50:51], off
	v_lshlrev_b64 v[0:1], 1, v[36:37]
	v_add_co_u32 v2, vcc_lo, s12, v10
	v_add_co_ci_u32_e32 v3, vcc_lo, s13, v11, vcc_lo
	v_lshlrev_b64 v[10:11], 1, v[38:39]
	v_add_nc_u32_e32 v36, s46, v52
	v_add_co_u32 v0, vcc_lo, s12, v0
	v_add_co_ci_u32_e32 v1, vcc_lo, s13, v1, vcc_lo
	v_add_nc_u32_e32 v38, s43, v52
	v_add_co_u32 v10, vcc_lo, s12, v10
	v_ashrrev_i32_e32 v37, 31, v36
	v_add_co_ci_u32_e32 v11, vcc_lo, s13, v11, vcc_lo
	s_delay_alu instid0(VALU_DEP_4)
	v_ashrrev_i32_e32 v39, 31, v38
	global_store_b64 v[2:3], v[44:45], off
	v_lshlrev_b64 v[2:3], 1, v[36:37]
	s_clause 0x1
	global_store_b64 v[0:1], v[42:43], off
	global_store_b64 v[10:11], v[46:47], off
	v_add_nc_u32_e32 v10, s44, v52
	v_lshlrev_b64 v[0:1], 1, v[38:39]
	v_add_nc_u32_e32 v36, s41, v52
	v_add_nc_u32_e32 v38, s42, v52
	v_add_co_u32 v2, vcc_lo, s12, v2
	v_ashrrev_i32_e32 v11, 31, v10
	v_add_co_ci_u32_e32 v3, vcc_lo, s13, v3, vcc_lo
	v_add_co_u32 v0, vcc_lo, s12, v0
	v_ashrrev_i32_e32 v37, 31, v36
	s_delay_alu instid0(VALU_DEP_4)
	v_lshlrev_b64 v[10:11], 1, v[10:11]
	v_add_co_ci_u32_e32 v1, vcc_lo, s13, v1, vcc_lo
	v_ashrrev_i32_e32 v39, 31, v38
	s_clause 0x1
	global_store_b64 v[2:3], v[32:33], off
	global_store_b64 v[0:1], v[34:35], off
	v_lshlrev_b64 v[0:1], 1, v[36:37]
	v_add_co_u32 v2, vcc_lo, s12, v10
	v_add_co_ci_u32_e32 v3, vcc_lo, s13, v11, vcc_lo
	v_lshlrev_b64 v[10:11], 1, v[38:39]
	v_add_nc_u32_e32 v32, s39, v52
	v_add_co_u32 v0, vcc_lo, s12, v0
	v_add_co_ci_u32_e32 v1, vcc_lo, s13, v1, vcc_lo
	v_add_nc_u32_e32 v34, s40, v52
	v_add_co_u32 v10, vcc_lo, s12, v10
	v_ashrrev_i32_e32 v33, 31, v32
	v_add_co_ci_u32_e32 v11, vcc_lo, s13, v11, vcc_lo
	s_delay_alu instid0(VALU_DEP_4)
	v_ashrrev_i32_e32 v35, 31, v34
	global_store_b64 v[2:3], v[24:25], off
	v_lshlrev_b64 v[2:3], 1, v[32:33]
	s_clause 0x1
	global_store_b64 v[0:1], v[22:23], off
	global_store_b64 v[10:11], v[26:27], off
	v_add_nc_u32_e32 v10, s37, v52
	v_lshlrev_b64 v[0:1], 1, v[34:35]
	v_add_nc_u32_e32 v22, s38, v52
	v_add_nc_u32_e32 v24, s35, v52
	v_add_co_u32 v2, vcc_lo, s12, v2
	v_ashrrev_i32_e32 v11, 31, v10
	v_add_co_ci_u32_e32 v3, vcc_lo, s13, v3, vcc_lo
	v_add_co_u32 v0, vcc_lo, s12, v0
	v_ashrrev_i32_e32 v23, 31, v22
	s_delay_alu instid0(VALU_DEP_4)
	v_lshlrev_b64 v[10:11], 1, v[10:11]
	v_add_co_ci_u32_e32 v1, vcc_lo, s13, v1, vcc_lo
	v_ashrrev_i32_e32 v25, 31, v24
	s_clause 0x1
	global_store_b64 v[2:3], v[28:29], off
	global_store_b64 v[0:1], v[30:31], off
	v_lshlrev_b64 v[0:1], 1, v[22:23]
	v_add_co_u32 v2, vcc_lo, s12, v10
	v_add_co_ci_u32_e32 v3, vcc_lo, s13, v11, vcc_lo
	v_lshlrev_b64 v[10:11], 1, v[24:25]
	v_add_nc_u32_e32 v22, s36, v52
	v_add_co_u32 v0, vcc_lo, s12, v0
	v_add_nc_u32_e32 v24, s33, v52
	v_add_co_ci_u32_e32 v1, vcc_lo, s13, v1, vcc_lo
	s_delay_alu instid0(VALU_DEP_4)
	v_ashrrev_i32_e32 v23, 31, v22
	v_add_co_u32 v10, vcc_lo, s12, v10
	v_add_co_ci_u32_e32 v11, vcc_lo, s13, v11, vcc_lo
	v_ashrrev_i32_e32 v25, 31, v24
	global_store_b64 v[2:3], v[18:19], off
	v_lshlrev_b64 v[2:3], 1, v[22:23]
	s_clause 0x1
	global_store_b64 v[0:1], v[16:17], off
	global_store_b64 v[10:11], v[20:21], off
	v_add_nc_u32_e32 v10, s34, v52
	v_lshlrev_b64 v[0:1], 1, v[24:25]
	v_add_nc_u32_e32 v16, s30, v52
	v_add_nc_u32_e32 v18, s31, v52
	v_add_co_u32 v2, vcc_lo, s12, v2
	v_ashrrev_i32_e32 v11, 31, v10
	v_add_co_ci_u32_e32 v3, vcc_lo, s13, v3, vcc_lo
	v_add_co_u32 v0, vcc_lo, s12, v0
	v_ashrrev_i32_e32 v17, 31, v16
	v_add_co_ci_u32_e32 v1, vcc_lo, s13, v1, vcc_lo
	v_lshlrev_b64 v[10:11], 1, v[10:11]
	v_ashrrev_i32_e32 v19, 31, v18
	s_clause 0x1
	global_store_b64 v[2:3], v[6:7], off
	global_store_b64 v[0:1], v[8:9], off
	v_lshlrev_b64 v[0:1], 1, v[16:17]
	v_add_nc_u32_e32 v16, s28, v52
	v_pack_b32_f16 v6, v82, v83
	v_add_co_u32 v2, vcc_lo, s12, v10
	v_lshlrev_b64 v[8:9], 1, v[18:19]
	v_add_co_ci_u32_e32 v3, vcc_lo, s13, v11, vcc_lo
	v_add_co_u32 v0, vcc_lo, s12, v0
	v_add_co_ci_u32_e32 v1, vcc_lo, s13, v1, vcc_lo
	s_delay_alu instid0(VALU_DEP_4)
	v_add_co_u32 v8, vcc_lo, s12, v8
	v_pack_b32_f16 v7, v84, v85
	v_perm_b32 v10, v83, v82, 0x7060302
	v_perm_b32 v11, v85, v84, 0x7060302
	v_add_co_ci_u32_e32 v9, vcc_lo, s13, v9, vcc_lo
	v_add_nc_u32_e32 v18, s29, v52
	v_ashrrev_i32_e32 v17, 31, v16
	s_clause 0x2
	global_store_b64 v[2:3], v[4:5], off
	global_store_b64 v[0:1], v[6:7], off
	global_store_b64 v[8:9], v[10:11], off
	v_add_nc_u32_e32 v0, s26, v52
	v_ashrrev_i32_e32 v19, 31, v18
	v_lshlrev_b64 v[2:3], 1, v[16:17]
	v_add_nc_u32_e32 v16, s27, v52
	v_pack_b32_f16 v4, v78, v79
	v_ashrrev_i32_e32 v1, 31, v0
	v_lshlrev_b64 v[6:7], 1, v[18:19]
	v_pack_b32_f16 v5, v80, v81
	v_add_co_u32 v2, vcc_lo, s12, v2
	s_delay_alu instid0(VALU_DEP_4) | instskip(SKIP_3) | instid1(VALU_DEP_4)
	v_lshlrev_b64 v[0:1], 1, v[0:1]
	v_add_co_ci_u32_e32 v3, vcc_lo, s13, v3, vcc_lo
	v_add_co_u32 v6, vcc_lo, s12, v6
	v_add_co_ci_u32_e32 v7, vcc_lo, s13, v7, vcc_lo
	v_add_co_u32 v0, vcc_lo, s12, v0
	v_pack_b32_f16 v10, v74, v75
	v_pack_b32_f16 v11, v76, v77
	v_add_co_ci_u32_e32 v1, vcc_lo, s13, v1, vcc_lo
	v_ashrrev_i32_e32 v17, 31, v16
	v_perm_b32 v8, v79, v78, 0x7060302
	v_perm_b32 v9, v81, v80, 0x7060302
	s_clause 0x1
	global_store_b64 v[2:3], v[4:5], off
	global_store_b64 v[6:7], v[8:9], off
	v_add_nc_u32_e32 v2, s24, v52
	global_store_b64 v[0:1], v[10:11], off
	v_lshlrev_b64 v[0:1], 1, v[16:17]
	v_add_nc_u32_e32 v6, s25, v52
	v_perm_b32 v4, v75, v74, 0x7060302
	v_ashrrev_i32_e32 v3, 31, v2
	v_perm_b32 v5, v77, v76, 0x7060302
	v_pack_b32_f16 v10, v70, v71
	v_add_co_u32 v8, vcc_lo, s12, v0
	v_add_nc_u32_e32 v0, s23, v52
	v_ashrrev_i32_e32 v7, 31, v6
	v_lshlrev_b64 v[2:3], 1, v[2:3]
	v_add_co_ci_u32_e32 v9, vcc_lo, s13, v1, vcc_lo
	s_delay_alu instid0(VALU_DEP_4) | instskip(NEXT) | instid1(VALU_DEP_4)
	v_ashrrev_i32_e32 v1, 31, v0
	v_lshlrev_b64 v[6:7], 1, v[6:7]
	v_pack_b32_f16 v11, v72, v73
	v_add_co_u32 v16, vcc_lo, s12, v2
	s_delay_alu instid0(VALU_DEP_4)
	v_lshlrev_b64 v[0:1], 1, v[0:1]
	v_add_co_ci_u32_e32 v17, vcc_lo, s13, v3, vcc_lo
	v_mov_b32_e32 v3, s57
	v_add_co_u32 v6, vcc_lo, s12, v6
	v_add_co_ci_u32_e32 v7, vcc_lo, s13, v7, vcc_lo
	v_add_co_u32 v22, vcc_lo, s12, v0
	v_add_co_ci_u32_e32 v23, vcc_lo, s13, v1, vcc_lo
	v_perm_b32 v0, v67, v66, 0x7060302
	v_perm_b32 v1, v69, v68, 0x7060302
	;; [unrolled: 1-line block ×4, first 2 shown]
	v_pack_b32_f16 v20, v66, v67
	v_pack_b32_f16 v21, v68, v69
	s_clause 0x3
	global_store_b64 v[8:9], v[4:5], off
	global_store_b64 v[16:17], v[10:11], off
	;; [unrolled: 1-line block ×4, first 2 shown]
	s_branch .LBB2_23
.LBB2_46:
	s_nop 0
	s_sendmsg sendmsg(MSG_DEALLOC_VGPRS)
	s_endpgm
	.section	.rodata,"a",@progbits
	.p2align	6, 0x0
	.amdhsa_kernel _ZN4vllm4gptq31reconstruct_exllama_3bit_kernelEPKjPKiS2_PK6__halfiiibPS5_
		.amdhsa_group_segment_fixed_size 512
		.amdhsa_private_segment_fixed_size 0
		.amdhsa_kernarg_size 56
		.amdhsa_user_sgpr_count 14
		.amdhsa_user_sgpr_dispatch_ptr 0
		.amdhsa_user_sgpr_queue_ptr 0
		.amdhsa_user_sgpr_kernarg_segment_ptr 1
		.amdhsa_user_sgpr_dispatch_id 0
		.amdhsa_user_sgpr_private_segment_size 0
		.amdhsa_wavefront_size32 1
		.amdhsa_uses_dynamic_stack 0
		.amdhsa_enable_private_segment 0
		.amdhsa_system_sgpr_workgroup_id_x 1
		.amdhsa_system_sgpr_workgroup_id_y 1
		.amdhsa_system_sgpr_workgroup_id_z 0
		.amdhsa_system_sgpr_workgroup_info 0
		.amdhsa_system_vgpr_workitem_id 0
		.amdhsa_next_free_vgpr 113
		.amdhsa_next_free_sgpr 62
		.amdhsa_reserve_vcc 1
		.amdhsa_float_round_mode_32 0
		.amdhsa_float_round_mode_16_64 0
		.amdhsa_float_denorm_mode_32 3
		.amdhsa_float_denorm_mode_16_64 3
		.amdhsa_dx10_clamp 1
		.amdhsa_ieee_mode 1
		.amdhsa_fp16_overflow 0
		.amdhsa_workgroup_processor_mode 1
		.amdhsa_memory_ordered 1
		.amdhsa_forward_progress 0
		.amdhsa_shared_vgpr_count 0
		.amdhsa_exception_fp_ieee_invalid_op 0
		.amdhsa_exception_fp_denorm_src 0
		.amdhsa_exception_fp_ieee_div_zero 0
		.amdhsa_exception_fp_ieee_overflow 0
		.amdhsa_exception_fp_ieee_underflow 0
		.amdhsa_exception_fp_ieee_inexact 0
		.amdhsa_exception_int_div_zero 0
	.end_amdhsa_kernel
	.text
.Lfunc_end2:
	.size	_ZN4vllm4gptq31reconstruct_exllama_3bit_kernelEPKjPKiS2_PK6__halfiiibPS5_, .Lfunc_end2-_ZN4vllm4gptq31reconstruct_exllama_3bit_kernelEPKjPKiS2_PK6__halfiiibPS5_
                                        ; -- End function
	.section	.AMDGPU.csdata,"",@progbits
; Kernel info:
; codeLenInByte = 8392
; NumSgprs: 64
; NumVgprs: 113
; ScratchSize: 0
; MemoryBound: 0
; FloatMode: 240
; IeeeMode: 1
; LDSByteSize: 512 bytes/workgroup (compile time only)
; SGPRBlocks: 7
; VGPRBlocks: 14
; NumSGPRsForWavesPerEU: 64
; NumVGPRsForWavesPerEU: 113
; Occupancy: 12
; WaveLimiterHint : 0
; COMPUTE_PGM_RSRC2:SCRATCH_EN: 0
; COMPUTE_PGM_RSRC2:USER_SGPR: 14
; COMPUTE_PGM_RSRC2:TRAP_HANDLER: 0
; COMPUTE_PGM_RSRC2:TGID_X_EN: 1
; COMPUTE_PGM_RSRC2:TGID_Y_EN: 1
; COMPUTE_PGM_RSRC2:TGID_Z_EN: 0
; COMPUTE_PGM_RSRC2:TIDIG_COMP_CNT: 0
	.text
	.protected	_ZN4vllm4gptq31reconstruct_exllama_2bit_kernelEPKjPKiS2_PK6__halfiiibPS5_ ; -- Begin function _ZN4vllm4gptq31reconstruct_exllama_2bit_kernelEPKjPKiS2_PK6__halfiiibPS5_
	.globl	_ZN4vllm4gptq31reconstruct_exllama_2bit_kernelEPKjPKiS2_PK6__halfiiibPS5_
	.p2align	8
	.type	_ZN4vllm4gptq31reconstruct_exllama_2bit_kernelEPKjPKiS2_PK6__halfiiibPS5_,@function
_ZN4vllm4gptq31reconstruct_exllama_2bit_kernelEPKjPKiS2_PK6__halfiiibPS5_: ; @_ZN4vllm4gptq31reconstruct_exllama_2bit_kernelEPKjPKiS2_PK6__halfiiibPS5_
; %bb.0:
	s_clause 0x1
	s_load_b64 s[2:3], s[0:1], 0x8
	s_load_b128 s[4:7], s[0:1], 0x20
	s_lshl_b32 s12, s15, 7
	s_waitcnt lgkmcnt(0)
	s_cmp_lg_u64 s[2:3], 0
	s_cselect_b32 s13, -1, 0
	s_cmp_eq_u64 s[2:3], 0
	s_cbranch_scc1 .LBB3_4
; %bb.1:
	v_add_nc_u32_e32 v1, s12, v0
	s_mov_b32 s8, exec_lo
	s_delay_alu instid0(VALU_DEP_1)
	v_cmpx_gt_u32_e64 s4, v1
	s_cbranch_execz .LBB3_3
; %bb.2:
	v_mov_b32_e32 v2, 0
	s_delay_alu instid0(VALU_DEP_1) | instskip(NEXT) | instid1(VALU_DEP_1)
	v_lshlrev_b64 v[1:2], 2, v[1:2]
	v_add_co_u32 v1, vcc_lo, s2, v1
	s_delay_alu instid0(VALU_DEP_2)
	v_add_co_ci_u32_e32 v2, vcc_lo, s3, v2, vcc_lo
	global_load_b32 v1, v[1:2], off
	v_lshlrev_b32_e32 v2, 2, v0
	s_waitcnt vmcnt(0)
	ds_store_b32 v2, v1
.LBB3_3:
	s_or_b32 exec_lo, exec_lo, s8
.LBB3_4:
	v_lshlrev_b32_e32 v38, 2, v0
	s_lshl_b32 s14, s14, 9
	s_mov_b32 s2, exec_lo
	s_delay_alu instid0(VALU_DEP_1) | instskip(NEXT) | instid1(VALU_DEP_1)
	v_add_nc_u32_e32 v1, s14, v38
	v_cmpx_gt_i32_e64 s5, v1
	s_cbranch_execz .LBB3_16
; %bb.5:
	s_add_i32 s2, s12, 0x80
	v_cvt_f64_i32_e32 v[2:3], s4
	v_cvt_f64_u32_e32 v[4:5], s2
	s_abs_i32 s2, s6
	s_abs_i32 s9, s4
	v_cvt_f32_u32_e32 v6, s2
	s_sub_i32 s8, 0, s2
	s_xor_b32 s4, s4, s6
	s_waitcnt lgkmcnt(0)
	s_ashr_i32 s4, s4, 31
	s_barrier
	buffer_gl0_inv
	v_min_f64 v[2:3], v[4:5], v[2:3]
	v_rcp_iflag_f32_e32 v4, v6
	s_waitcnt_depctr 0xfff
	v_mul_f32_e32 v4, 0x4f7ffffe, v4
	s_delay_alu instid0(VALU_DEP_1) | instskip(NEXT) | instid1(VALU_DEP_1)
	v_cvt_u32_f32_e32 v4, v4
	v_readfirstlane_b32 s3, v4
	s_delay_alu instid0(VALU_DEP_1) | instskip(NEXT) | instid1(SALU_CYCLE_1)
	s_mul_i32 s8, s8, s3
	s_mul_hi_u32 s8, s3, s8
	s_delay_alu instid0(SALU_CYCLE_1) | instskip(NEXT) | instid1(SALU_CYCLE_1)
	s_add_i32 s3, s3, s8
	s_mul_hi_u32 s3, s9, s3
	s_delay_alu instid0(SALU_CYCLE_1) | instskip(SKIP_2) | instid1(SALU_CYCLE_1)
	s_mul_i32 s6, s3, s2
	s_add_i32 s8, s3, 1
	s_sub_i32 s6, s9, s6
	s_sub_i32 s9, s6, s2
	v_cvt_i32_f64_e32 v39, v[2:3]
	s_cmp_ge_u32 s6, s2
	s_cselect_b32 s3, s8, s3
	s_cselect_b32 s6, s9, s6
	s_add_i32 s8, s3, 1
	s_cmp_ge_u32 s6, s2
	s_mov_b32 s6, 0
	s_cselect_b32 s2, s8, s3
	s_delay_alu instid0(SALU_CYCLE_1) | instskip(NEXT) | instid1(SALU_CYCLE_1)
	s_xor_b32 s2, s2, s4
	s_sub_i32 s4, s2, s4
	s_delay_alu instid0(SALU_CYCLE_1) | instskip(NEXT) | instid1(VALU_DEP_1)
	v_cvt_f32_u32_e32 v2, s4
	v_rcp_iflag_f32_e32 v2, v2
	s_waitcnt_depctr 0xfff
	v_mul_f32_e32 v2, 0x4f7ffffe, v2
	s_delay_alu instid0(VALU_DEP_1) | instskip(SKIP_1) | instid1(VALU_DEP_2)
	v_cvt_u32_f32_e32 v2, v2
	v_cmp_ge_i32_e32 vcc_lo, s12, v39
	v_readfirstlane_b32 s2, v2
	s_cbranch_vccnz .LBB3_16
; %bb.6:
	s_sub_i32 s3, 0, s4
	v_ashrrev_i32_e32 v2, 31, v1
	s_delay_alu instid0(VALU_DEP_2)
	s_mul_i32 s3, s3, s2
	s_mov_b32 s34, s5
	s_mul_hi_u32 s3, s2, s3
	s_mov_b32 s36, 0xc000c0
	s_add_i32 s2, s2, s3
	v_lshrrev_b32_e32 v3, 28, v2
	s_mul_hi_u32 s2, s12, s2
	s_mov_b32 s37, s12
	s_mul_i32 s3, s2, s4
	s_add_i32 s8, s2, 1
	s_sub_i32 s3, s12, s3
	v_add_nc_u32_e32 v3, v1, v3
	s_sub_i32 s9, s3, s4
	s_cmp_ge_u32 s3, s4
	s_cselect_b32 s2, s8, s2
	s_cselect_b32 s3, s9, s3
	s_add_i32 s8, s2, 1
	s_cmp_ge_u32 s3, s4
	v_ashrrev_i32_e32 v40, 4, v3
	s_cselect_b32 s15, s8, s2
	s_load_b128 s[8:11], s[0:1], 0x10
	s_mul_i32 s2, s15, s5
	s_delay_alu instid0(SALU_CYCLE_1) | instskip(SKIP_2) | instid1(SALU_CYCLE_1)
	s_ashr_i32 s3, s2, 31
	v_add_nc_u32_e32 v3, s2, v1
	s_lshr_b32 s3, s3, 28
	s_add_i32 s2, s2, s3
	s_delay_alu instid0(VALU_DEP_1)
	v_ashrrev_i32_e32 v4, 31, v3
	s_ashr_i32 s2, s2, 4
	s_bitcmp1_b32 s7, 0
	v_add_nc_u32_e32 v5, s2, v40
	s_cselect_b32 s18, -1, 0
	v_lshlrev_b64 v[3:4], 1, v[3:4]
	s_lshr_b32 s16, s12, 4
	s_xor_b32 s18, s18, -1
	v_ashrrev_i32_e32 v6, 31, v5
	s_mul_i32 s16, s16, s5
	v_cndmask_b32_e64 v41, 0, 1, s18
	s_waitcnt lgkmcnt(0)
	v_add_co_u32 v3, vcc_lo, s10, v3
	v_lshlrev_b64 v[5:6], 2, v[5:6]
	v_add_co_ci_u32_e32 v4, vcc_lo, s11, v4, vcc_lo
	s_ashr_i32 s17, s16, 31
	s_mov_b32 s7, 0x30003
	s_lshl_b64 s[16:17], s[16:17], 2
	s_delay_alu instid0(VALU_DEP_2)
	v_add_co_u32 v5, vcc_lo, s8, v5
	v_add_co_ci_u32_e32 v6, vcc_lo, s9, v6, vcc_lo
	global_load_b64 v[7:8], v[3:4], off
	global_load_b32 v4, v[5:6], off
	s_clause 0x1
	s_load_b64 s[2:3], s[0:1], 0x0
	s_load_b64 s[0:1], s[0:1], 0x30
	v_lshlrev_b32_e32 v5, 3, v0
	v_lshlrev_b64 v[2:3], 2, v[1:2]
	s_delay_alu instid0(VALU_DEP_2) | instskip(SKIP_3) | instid1(VALU_DEP_2)
	v_and_b32_e32 v0, 24, v5
	s_waitcnt lgkmcnt(0)
	s_add_u32 s2, s2, s16
	s_addc_u32 s3, s3, s17
	v_add_co_u32 v2, vcc_lo, s2, v2
	v_add_co_ci_u32_e32 v3, vcc_lo, s3, v3, vcc_lo
	s_ashr_i32 s35, s5, 31
	s_add_i32 s16, s4, s12
	s_add_i32 s17, s12, 15
	;; [unrolled: 1-line block ×3, first 2 shown]
	s_lshl_b32 s19, s5, 4
	s_add_i32 s20, s12, 13
	s_add_i32 s21, s12, 12
	;; [unrolled: 1-line block ×13, first 2 shown]
	s_lshl_b64 s[2:3], s[34:35], 2
	s_mov_b32 s34, 0xc000c
	s_mov_b32 s35, 0x300030
	s_waitcnt vmcnt(1)
	v_perm_b32 v45, v8, v8, 0x7060302
	s_waitcnt vmcnt(0)
	v_lshrrev_b32_e32 v5, v5, v4
	v_perm_b32 v42, v8, v8, 0x5040100
	v_perm_b32 v43, v7, v7, 0x7060302
	;; [unrolled: 1-line block ×3, first 2 shown]
	v_bfe_u32 v46, v4, v0, 2
	v_bfe_u32 v47, v5, 2, 2
	;; [unrolled: 1-line block ×4, first 2 shown]
	s_branch .LBB3_8
.LBB3_7:                                ;   in Loop: Header=BB3_8 Depth=1
	s_add_i32 s37, s37, 32
	s_delay_alu instid0(SALU_CYCLE_1)
	v_cmp_ge_i32_e32 vcc_lo, s37, v39
	s_cbranch_vccnz .LBB3_16
.LBB3_8:                                ; =>This Loop Header: Depth=1
                                        ;     Child Loop BB3_12 Depth 2
	s_cmp_lg_u32 s37, s16
	s_cbranch_scc1 .LBB3_10
; %bb.9:                                ;   in Loop: Header=BB3_8 Depth=1
	s_add_i32 s15, s15, 1
	s_add_i32 s16, s16, s4
	s_mul_i32 s38, s15, s5
	s_delay_alu instid0(SALU_CYCLE_1) | instskip(SKIP_2) | instid1(SALU_CYCLE_1)
	s_ashr_i32 s39, s38, 31
	v_add_nc_u32_e32 v6, s38, v1
	s_lshr_b32 s39, s39, 28
	s_add_i32 s39, s38, s39
	s_delay_alu instid0(VALU_DEP_1) | instskip(SKIP_1) | instid1(SALU_CYCLE_1)
	v_ashrrev_i32_e32 v7, 31, v6
	s_ashr_i32 s39, s39, 4
	v_add_nc_u32_e32 v4, s39, v40
	s_delay_alu instid0(VALU_DEP_2) | instskip(NEXT) | instid1(VALU_DEP_2)
	v_lshlrev_b64 v[6:7], 1, v[6:7]
	v_ashrrev_i32_e32 v5, 31, v4
	s_delay_alu instid0(VALU_DEP_1) | instskip(NEXT) | instid1(VALU_DEP_1)
	v_lshlrev_b64 v[4:5], 2, v[4:5]
	v_add_co_u32 v4, vcc_lo, s8, v4
	s_delay_alu instid0(VALU_DEP_2)
	v_add_co_ci_u32_e32 v5, vcc_lo, s9, v5, vcc_lo
	v_add_co_u32 v6, vcc_lo, s10, v6
	v_add_co_ci_u32_e32 v7, vcc_lo, s11, v7, vcc_lo
	global_load_b32 v8, v[4:5], off
	global_load_b64 v[4:5], v[6:7], off
	s_waitcnt vmcnt(1)
	v_lshrrev_b32_e32 v6, v0, v8
	s_waitcnt vmcnt(0)
	v_perm_b32 v44, v4, v4, 0x5040100
	v_perm_b32 v43, v4, v4, 0x7060302
	v_perm_b32 v42, v5, v5, 0x5040100
	v_bfe_u32 v46, v8, v0, 2
	v_bfe_u32 v47, v6, 2, 2
	v_bfe_u32 v48, v6, 4, 2
	v_bfe_u32 v49, v6, 6, 2
	v_perm_b32 v45, v5, v5, 0x7060302
.LBB3_10:                               ;   in Loop: Header=BB3_8 Depth=1
	v_add_nc_u32_e32 v4, v46, v41
	v_add_nc_u32_e32 v5, v47, v41
	;; [unrolled: 1-line block ×3, first 2 shown]
	s_add_i32 s38, s18, s6
	s_add_i32 s40, s20, s6
	v_cvt_f32_i32_e32 v6, v4
	v_or_b32_e32 v4, 0xffffe400, v4
	v_cvt_f32_i32_e32 v8, v5
	v_or_b32_e32 v5, 0xffffe400, v5
	v_cvt_f32_i32_e32 v9, v7
	v_cvt_f16_f32_e32 v6, v6
	v_perm_b32 v50, v4, v4, 0x5040100
	v_cvt_f16_f32_e32 v4, v8
	v_perm_b32 v51, v5, v5, 0x5040100
	v_or_b32_e32 v7, 0xffffe400, v7
	v_sub_f16_e32 v5, 0xdc00, v6
	v_sub_f16_e32 v8, 0xd400, v6
	;; [unrolled: 1-line block ×6, first 2 shown]
	v_pack_b32_f16 v52, v5, v5
	v_add_nc_u32_e32 v5, v49, v41
	v_pack_b32_f16 v54, v6, v6
	v_cvt_f16_f32_e32 v6, v9
	v_pack_b32_f16 v57, v4, v4
	v_pack_b32_f16 v53, v8, v8
	v_cvt_f32_i32_e32 v4, v5
	v_perm_b32 v58, v7, v7, 0x5040100
	v_sub_f16_e32 v8, 0xdc00, v6
	v_sub_f16_e32 v9, 0xd400, v6
	;; [unrolled: 1-line block ×3, first 2 shown]
	v_cvt_f16_f32_e32 v4, v4
	v_or_b32_e32 v5, 0xffffe400, v5
	v_pack_b32_f16 v59, v8, v8
	s_add_i32 s41, s21, s6
	s_add_i32 s42, s22, s6
	v_sub_f16_e32 v7, 0xdc00, v4
	v_sub_f16_e32 v8, 0xd400, v4
	;; [unrolled: 1-line block ×3, first 2 shown]
	s_add_i32 s43, s23, s6
	s_add_i32 s44, s24, s6
	;; [unrolled: 1-line block ×11, first 2 shown]
	v_pack_b32_f16 v55, v10, v10
	v_pack_b32_f16 v56, v11, v11
	;; [unrolled: 1-line block ×4, first 2 shown]
	v_perm_b32 v62, v5, v5, 0x5040100
	v_pack_b32_f16 v63, v7, v7
	v_pack_b32_f16 v64, v8, v8
	;; [unrolled: 1-line block ×3, first 2 shown]
	s_mul_i32 s39, s5, s38
	s_mul_i32 s40, s5, s40
	;; [unrolled: 1-line block ×15, first 2 shown]
	s_lshl_b32 s38, s6, 2
	s_add_i32 s39, s14, s39
	s_add_i32 s40, s14, s40
	;; [unrolled: 1-line block ×15, first 2 shown]
	s_mov_b32 s54, -1
	s_branch .LBB3_12
.LBB3_11:                               ;   in Loop: Header=BB3_12 Depth=2
	v_mad_u64_u32 v[4:5], null, v35, s5, v[1:2]
	v_add_co_u32 v2, vcc_lo, v2, s2
	v_add_co_ci_u32_e32 v3, vcc_lo, s3, v3, vcc_lo
	s_xor_b32 s54, s54, -1
	s_add_i32 s6, s6, 16
	s_delay_alu instid0(VALU_DEP_3)
	v_ashrrev_i32_e32 v5, 31, v4
	s_add_i32 s38, s38, 64
	s_add_i32 s39, s39, s19
	;; [unrolled: 1-line block ×4, first 2 shown]
	v_lshlrev_b64 v[4:5], 1, v[4:5]
	s_add_i32 s42, s42, s19
	s_add_i32 s43, s43, s19
	;; [unrolled: 1-line block ×5, first 2 shown]
	v_add_co_u32 v4, vcc_lo, s0, v4
	v_add_co_ci_u32_e32 v5, vcc_lo, s1, v5, vcc_lo
	s_add_i32 s47, s47, s19
	s_add_i32 s48, s48, s19
	;; [unrolled: 1-line block ×7, first 2 shown]
	s_and_b32 vcc_lo, exec_lo, s54
	s_mov_b32 s54, 0
	global_store_b64 v[4:5], v[36:37], off
	s_cbranch_vccnz .LBB3_7
.LBB3_12:                               ;   Parent Loop BB3_8 Depth=1
                                        ; =>  This Inner Loop Header: Depth=2
	global_load_b128 v[4:7], v[2:3], off
	s_and_not1_b32 vcc_lo, exec_lo, s13
	s_waitcnt vmcnt(0)
	v_and_or_b32 v8, v4, s7, 0x64006400
	v_and_or_b32 v9, v4, s34, 0x64006400
	v_and_or_b32 v10, v4, s35, 0x64006400
	v_and_or_b32 v11, v4, s36, 0x64006400
	v_lshrrev_b32_e32 v4, 8, v4
	v_and_or_b32 v12, v5, s7, 0x64006400
	v_and_or_b32 v13, v5, s34, 0x64006400
	v_and_or_b32 v14, v5, s35, 0x64006400
	v_and_or_b32 v15, v5, s36, 0x64006400
	v_lshrrev_b32_e32 v5, 8, v5
	;; [unrolled: 5-line block ×4, first 2 shown]
	v_and_or_b32 v24, v4, s7, 0x64006400
	v_and_or_b32 v25, v4, s34, 0x64006400
	;; [unrolled: 1-line block ×16, first 2 shown]
	v_pk_add_f16 v8, v50, v8
	v_pk_fma_f16 v9, 0x3400, v9, v52 op_sel_hi:[0,1,1]
	v_pk_fma_f16 v10, 0x2c00, v10, v53 op_sel_hi:[0,1,1]
	v_pk_fma_f16 v11, 0x2400, v11, v54 op_sel_hi:[0,1,1]
	v_pk_add_f16 v12, v51, v12
	v_pk_fma_f16 v13, 0x3400, v13, v55 op_sel_hi:[0,1,1]
	v_pk_fma_f16 v14, 0x2c00, v14, v56 op_sel_hi:[0,1,1]
	v_pk_fma_f16 v15, 0x2400, v15, v57 op_sel_hi:[0,1,1]
	;; [unrolled: 4-line block ×8, first 2 shown]
	v_pk_mul_f16 v8, v44, v8
	v_pk_mul_f16 v12, v43, v12
	;; [unrolled: 1-line block ×32, first 2 shown]
	v_perm_b32 v26, v12, v8, 0x7060302
	v_perm_b32 v27, v20, v16, 0x7060302
	v_perm_b32 v32, v12, v8, 0x5040100
	v_perm_b32 v33, v20, v16, 0x5040100
	v_pack_b32_f16 v28, v9, v13
	v_pack_b32_f16 v29, v17, v21
	v_perm_b32 v30, v13, v9, 0x7060302
	v_perm_b32 v31, v21, v17, 0x7060302
	v_pack_b32_f16 v22, v10, v14
	v_pack_b32_f16 v23, v18, v66
	v_perm_b32 v24, v14, v10, 0x7060302
	v_perm_b32 v25, v66, v18, 0x7060302
	;; [unrolled: 4-line block ×7, first 2 shown]
	s_cbranch_vccnz .LBB3_14
; %bb.13:                               ;   in Loop: Header=BB3_12 Depth=2
	v_mov_b32_e32 v86, s38
	v_perm_b32 v36, v37, v36, 0x7060302
	v_perm_b32 v37, v69, v68, 0x7060302
	ds_load_2addr_b32 v[34:35], v86 offset1:1
	ds_load_2addr_b32 v[70:71], v86 offset0:2 offset1:3
	ds_load_2addr_b32 v[72:73], v86 offset0:4 offset1:5
	;; [unrolled: 1-line block ×4, first 2 shown]
	s_waitcnt lgkmcnt(4)
	v_mad_u64_u32 v[78:79], null, v34, s5, v[1:2]
	v_mad_u64_u32 v[80:81], null, v35, s5, v[1:2]
	s_waitcnt lgkmcnt(3)
	v_mad_u64_u32 v[34:35], null, v70, s5, v[1:2]
	v_mad_u64_u32 v[82:83], null, v71, s5, v[1:2]
	s_delay_alu instid0(VALU_DEP_4)
	v_ashrrev_i32_e32 v79, 31, v78
	s_waitcnt lgkmcnt(2)
	v_mad_u64_u32 v[70:71], null, v72, s5, v[1:2]
	v_ashrrev_i32_e32 v81, 31, v80
	v_mad_u64_u32 v[84:85], null, v73, s5, v[1:2]
	s_waitcnt lgkmcnt(1)
	v_mad_u64_u32 v[72:73], null, v74, s5, v[1:2]
	v_lshlrev_b64 v[73:74], 1, v[78:79]
	v_ashrrev_i32_e32 v35, 31, v34
	v_lshlrev_b64 v[78:79], 1, v[80:81]
	v_ashrrev_i32_e32 v83, 31, v82
	v_ashrrev_i32_e32 v71, 31, v70
	;; [unrolled: 1-line block ×3, first 2 shown]
	v_lshlrev_b64 v[34:35], 1, v[34:35]
	v_add_co_u32 v73, vcc_lo, s0, v73
	v_add_co_ci_u32_e32 v74, vcc_lo, s1, v74, vcc_lo
	v_lshlrev_b64 v[80:81], 1, v[82:83]
	v_add_co_u32 v78, vcc_lo, s0, v78
	v_add_co_ci_u32_e32 v79, vcc_lo, s1, v79, vcc_lo
	v_add_co_u32 v34, vcc_lo, s0, v34
	v_add_co_ci_u32_e32 v35, vcc_lo, s1, v35, vcc_lo
	;; [unrolled: 2-line block ×3, first 2 shown]
	v_lshlrev_b64 v[70:71], 1, v[70:71]
	s_clause 0x3
	global_store_b64 v[73:74], v[32:33], off
	global_store_b64 v[78:79], v[26:27], off
	;; [unrolled: 1-line block ×4, first 2 shown]
	v_ashrrev_i32_e32 v73, 31, v72
	ds_load_2addr_b32 v[80:81], v86 offset0:10 offset1:11
	v_lshlrev_b64 v[34:35], 1, v[84:85]
	v_mad_u64_u32 v[82:83], null, v75, s5, v[1:2]
	v_add_co_u32 v70, vcc_lo, s0, v70
	v_lshlrev_b64 v[72:73], 1, v[72:73]
	v_add_co_ci_u32_e32 v71, vcc_lo, s1, v71, vcc_lo
	v_add_co_u32 v78, vcc_lo, s0, v34
	s_waitcnt lgkmcnt(1)
	v_mad_u64_u32 v[84:85], null, v76, s5, v[1:2]
	v_add_co_ci_u32_e32 v79, vcc_lo, s1, v35, vcc_lo
	v_add_co_u32 v72, vcc_lo, s0, v72
	v_add_co_ci_u32_e32 v73, vcc_lo, s1, v73, vcc_lo
	v_ashrrev_i32_e32 v83, 31, v82
	ds_load_2addr_b32 v[74:75], v86 offset0:12 offset1:13
	ds_load_2addr_b32 v[34:35], v86 offset0:14 offset1:15
	v_ashrrev_i32_e32 v85, 31, v84
	s_clause 0x2
	global_store_b64 v[70:71], v[22:23], off
	global_store_b64 v[78:79], v[24:25], off
	;; [unrolled: 1-line block ×3, first 2 shown]
	v_lshlrev_b64 v[70:71], 1, v[82:83]
	v_mad_u64_u32 v[72:73], null, v77, s5, v[1:2]
	v_lshlrev_b64 v[76:77], 1, v[84:85]
	s_waitcnt lgkmcnt(2)
	v_mad_u64_u32 v[78:79], null, v80, s5, v[1:2]
	s_delay_alu instid0(VALU_DEP_4)
	v_add_co_u32 v70, vcc_lo, s0, v70
	v_mad_u64_u32 v[82:83], null, v81, s5, v[1:2]
	v_add_co_ci_u32_e32 v71, vcc_lo, s1, v71, vcc_lo
	v_ashrrev_i32_e32 v73, 31, v72
	v_add_co_u32 v76, vcc_lo, s0, v76
	v_add_co_ci_u32_e32 v77, vcc_lo, s1, v77, vcc_lo
	v_ashrrev_i32_e32 v79, 31, v78
	s_delay_alu instid0(VALU_DEP_4)
	v_lshlrev_b64 v[72:73], 1, v[72:73]
	v_ashrrev_i32_e32 v83, 31, v82
	s_clause 0x1
	global_store_b64 v[70:71], v[16:17], off
	global_store_b64 v[76:77], v[20:21], off
	s_waitcnt lgkmcnt(1)
	v_mad_u64_u32 v[76:77], null, v74, s5, v[1:2]
	v_lshlrev_b64 v[70:71], 1, v[78:79]
	v_mad_u64_u32 v[80:81], null, v75, s5, v[1:2]
	v_add_co_u32 v72, vcc_lo, s0, v72
	v_lshlrev_b64 v[78:79], 1, v[82:83]
	v_add_co_ci_u32_e32 v73, vcc_lo, s1, v73, vcc_lo
	s_waitcnt lgkmcnt(0)
	v_mad_u64_u32 v[74:75], null, v34, s5, v[1:2]
	v_add_co_u32 v70, vcc_lo, s0, v70
	v_ashrrev_i32_e32 v77, 31, v76
	v_add_co_ci_u32_e32 v71, vcc_lo, s1, v71, vcc_lo
	v_add_co_u32 v78, vcc_lo, s0, v78
	v_ashrrev_i32_e32 v81, 31, v80
	v_add_co_ci_u32_e32 v79, vcc_lo, s1, v79, vcc_lo
	global_store_b64 v[72:73], v[14:15], off
	v_lshlrev_b64 v[72:73], 1, v[76:77]
	v_ashrrev_i32_e32 v75, 31, v74
	s_clause 0x1
	global_store_b64 v[70:71], v[12:13], off
	global_store_b64 v[78:79], v[4:5], off
	v_lshlrev_b64 v[70:71], 1, v[80:81]
	v_add_co_u32 v72, vcc_lo, s0, v72
	v_lshlrev_b64 v[74:75], 1, v[74:75]
	v_add_co_ci_u32_e32 v73, vcc_lo, s1, v73, vcc_lo
	s_delay_alu instid0(VALU_DEP_4) | instskip(SKIP_1) | instid1(VALU_DEP_4)
	v_add_co_u32 v70, vcc_lo, s0, v70
	v_add_co_ci_u32_e32 v71, vcc_lo, s1, v71, vcc_lo
	v_add_co_u32 v74, vcc_lo, s0, v74
	v_add_co_ci_u32_e32 v75, vcc_lo, s1, v75, vcc_lo
	s_clause 0x2
	global_store_b64 v[72:73], v[6:7], off
	global_store_b64 v[70:71], v[8:9], off
	;; [unrolled: 1-line block ×3, first 2 shown]
	s_cbranch_execnz .LBB3_11
	s_branch .LBB3_15
.LBB3_14:                               ;   in Loop: Header=BB3_12 Depth=2
                                        ; implicit-def: $vgpr37
                                        ; implicit-def: $vgpr35
.LBB3_15:                               ;   in Loop: Header=BB3_12 Depth=2
	s_add_i32 s55, s17, s6
	v_add_nc_u32_e32 v34, s53, v38
	v_add_nc_u32_e32 v36, s50, v38
	;; [unrolled: 1-line block ×5, first 2 shown]
	v_ashrrev_i32_e32 v35, 31, v34
	v_ashrrev_i32_e32 v37, 31, v36
	;; [unrolled: 1-line block ×5, first 2 shown]
	v_lshlrev_b64 v[34:35], 1, v[34:35]
	v_lshlrev_b64 v[36:37], 1, v[36:37]
	;; [unrolled: 1-line block ×4, first 2 shown]
	s_delay_alu instid0(VALU_DEP_4)
	v_add_co_u32 v34, vcc_lo, s0, v34
	v_add_co_ci_u32_e32 v35, vcc_lo, s1, v35, vcc_lo
	v_add_co_u32 v36, vcc_lo, s0, v36
	v_add_co_ci_u32_e32 v37, vcc_lo, s1, v37, vcc_lo
	global_store_b64 v[34:35], v[32:33], off
	v_add_co_u32 v32, vcc_lo, s0, v68
	v_add_nc_u32_e32 v34, s48, v38
	v_add_co_ci_u32_e32 v33, vcc_lo, s1, v69, vcc_lo
	v_add_co_u32 v68, vcc_lo, s0, v70
	v_add_co_ci_u32_e32 v69, vcc_lo, s1, v71, vcc_lo
	s_delay_alu instid0(VALU_DEP_4)
	v_ashrrev_i32_e32 v35, 31, v34
	global_store_b64 v[36:37], v[26:27], off
	v_mov_b32_e32 v37, v67
	v_lshlrev_b64 v[26:27], 1, v[72:73]
	s_clause 0x1
	global_store_b64 v[32:33], v[28:29], off
	global_store_b64 v[68:69], v[30:31], off
	v_add_nc_u32_e32 v30, s47, v38
	v_lshlrev_b64 v[28:29], 1, v[34:35]
	v_add_nc_u32_e32 v32, s46, v38
	v_add_nc_u32_e32 v34, s45, v38
	v_add_co_u32 v26, vcc_lo, s0, v26
	v_ashrrev_i32_e32 v31, 31, v30
	v_add_co_ci_u32_e32 v27, vcc_lo, s1, v27, vcc_lo
	v_add_co_u32 v28, vcc_lo, s0, v28
	v_ashrrev_i32_e32 v33, 31, v32
	v_add_co_ci_u32_e32 v29, vcc_lo, s1, v29, vcc_lo
	v_lshlrev_b64 v[30:31], 1, v[30:31]
	v_ashrrev_i32_e32 v35, 31, v34
	s_clause 0x1
	global_store_b64 v[26:27], v[22:23], off
	global_store_b64 v[28:29], v[24:25], off
	v_lshlrev_b64 v[22:23], 1, v[32:33]
	v_add_nc_u32_e32 v28, s44, v38
	v_mov_b32_e32 v36, v66
	v_add_co_u32 v24, vcc_lo, s0, v30
	v_lshlrev_b64 v[26:27], 1, v[34:35]
	v_add_co_ci_u32_e32 v25, vcc_lo, s1, v31, vcc_lo
	v_add_nc_u32_e32 v30, s43, v38
	v_add_co_u32 v22, vcc_lo, s0, v22
	v_ashrrev_i32_e32 v29, 31, v28
	v_add_co_ci_u32_e32 v23, vcc_lo, s1, v23, vcc_lo
	v_add_co_u32 v26, vcc_lo, s0, v26
	v_ashrrev_i32_e32 v31, 31, v30
	v_add_co_ci_u32_e32 v27, vcc_lo, s1, v27, vcc_lo
	global_store_b64 v[24:25], v[18:19], off
	v_lshlrev_b64 v[18:19], 1, v[28:29]
	s_clause 0x1
	global_store_b64 v[22:23], v[16:17], off
	global_store_b64 v[26:27], v[20:21], off
	v_lshlrev_b64 v[16:17], 1, v[30:31]
	v_add_nc_u32_e32 v20, s42, v38
	v_add_nc_u32_e32 v22, s41, v38
	;; [unrolled: 1-line block ×3, first 2 shown]
	v_add_co_u32 v18, vcc_lo, s0, v18
	v_add_co_ci_u32_e32 v19, vcc_lo, s1, v19, vcc_lo
	v_add_co_u32 v16, vcc_lo, s0, v16
	v_add_co_ci_u32_e32 v17, vcc_lo, s1, v17, vcc_lo
	v_ashrrev_i32_e32 v21, 31, v20
	v_ashrrev_i32_e32 v23, 31, v22
	s_clause 0x1
	global_store_b64 v[18:19], v[14:15], off
	global_store_b64 v[16:17], v[12:13], off
	v_add_nc_u32_e32 v16, s39, v38
	v_lshlrev_b64 v[14:15], 1, v[20:21]
	v_ashrrev_i32_e32 v25, 31, v24
	v_lshlrev_b64 v[12:13], 1, v[22:23]
	v_mov_b32_e32 v35, s55
	v_ashrrev_i32_e32 v17, 31, v16
	v_add_co_u32 v14, vcc_lo, s0, v14
	v_lshlrev_b64 v[18:19], 1, v[24:25]
	v_add_co_ci_u32_e32 v15, vcc_lo, s1, v15, vcc_lo
	v_add_co_u32 v12, vcc_lo, s0, v12
	v_lshlrev_b64 v[16:17], 1, v[16:17]
	v_add_co_ci_u32_e32 v13, vcc_lo, s1, v13, vcc_lo
	v_add_co_u32 v18, vcc_lo, s0, v18
	v_add_co_ci_u32_e32 v19, vcc_lo, s1, v19, vcc_lo
	s_delay_alu instid0(VALU_DEP_4)
	v_add_co_u32 v16, vcc_lo, s0, v16
	v_add_co_ci_u32_e32 v17, vcc_lo, s1, v17, vcc_lo
	s_clause 0x3
	global_store_b64 v[14:15], v[4:5], off
	global_store_b64 v[12:13], v[6:7], off
	global_store_b64 v[18:19], v[8:9], off
	global_store_b64 v[16:17], v[10:11], off
	s_branch .LBB3_11
.LBB3_16:
	s_nop 0
	s_sendmsg sendmsg(MSG_DEALLOC_VGPRS)
	s_endpgm
	.section	.rodata,"a",@progbits
	.p2align	6, 0x0
	.amdhsa_kernel _ZN4vllm4gptq31reconstruct_exllama_2bit_kernelEPKjPKiS2_PK6__halfiiibPS5_
		.amdhsa_group_segment_fixed_size 512
		.amdhsa_private_segment_fixed_size 0
		.amdhsa_kernarg_size 56
		.amdhsa_user_sgpr_count 14
		.amdhsa_user_sgpr_dispatch_ptr 0
		.amdhsa_user_sgpr_queue_ptr 0
		.amdhsa_user_sgpr_kernarg_segment_ptr 1
		.amdhsa_user_sgpr_dispatch_id 0
		.amdhsa_user_sgpr_private_segment_size 0
		.amdhsa_wavefront_size32 1
		.amdhsa_uses_dynamic_stack 0
		.amdhsa_enable_private_segment 0
		.amdhsa_system_sgpr_workgroup_id_x 1
		.amdhsa_system_sgpr_workgroup_id_y 1
		.amdhsa_system_sgpr_workgroup_id_z 0
		.amdhsa_system_sgpr_workgroup_info 0
		.amdhsa_system_vgpr_workitem_id 0
		.amdhsa_next_free_vgpr 87
		.amdhsa_next_free_sgpr 56
		.amdhsa_reserve_vcc 1
		.amdhsa_float_round_mode_32 0
		.amdhsa_float_round_mode_16_64 0
		.amdhsa_float_denorm_mode_32 3
		.amdhsa_float_denorm_mode_16_64 3
		.amdhsa_dx10_clamp 1
		.amdhsa_ieee_mode 1
		.amdhsa_fp16_overflow 0
		.amdhsa_workgroup_processor_mode 1
		.amdhsa_memory_ordered 1
		.amdhsa_forward_progress 0
		.amdhsa_shared_vgpr_count 0
		.amdhsa_exception_fp_ieee_invalid_op 0
		.amdhsa_exception_fp_denorm_src 0
		.amdhsa_exception_fp_ieee_div_zero 0
		.amdhsa_exception_fp_ieee_overflow 0
		.amdhsa_exception_fp_ieee_underflow 0
		.amdhsa_exception_fp_ieee_inexact 0
		.amdhsa_exception_int_div_zero 0
	.end_amdhsa_kernel
	.text
.Lfunc_end3:
	.size	_ZN4vllm4gptq31reconstruct_exllama_2bit_kernelEPKjPKiS2_PK6__halfiiibPS5_, .Lfunc_end3-_ZN4vllm4gptq31reconstruct_exllama_2bit_kernelEPKjPKiS2_PK6__halfiiibPS5_
                                        ; -- End function
	.section	.AMDGPU.csdata,"",@progbits
; Kernel info:
; codeLenInByte = 4508
; NumSgprs: 58
; NumVgprs: 87
; ScratchSize: 0
; MemoryBound: 0
; FloatMode: 240
; IeeeMode: 1
; LDSByteSize: 512 bytes/workgroup (compile time only)
; SGPRBlocks: 7
; VGPRBlocks: 10
; NumSGPRsForWavesPerEU: 58
; NumVGPRsForWavesPerEU: 87
; Occupancy: 16
; WaveLimiterHint : 0
; COMPUTE_PGM_RSRC2:SCRATCH_EN: 0
; COMPUTE_PGM_RSRC2:USER_SGPR: 14
; COMPUTE_PGM_RSRC2:TRAP_HANDLER: 0
; COMPUTE_PGM_RSRC2:TGID_X_EN: 1
; COMPUTE_PGM_RSRC2:TGID_Y_EN: 1
; COMPUTE_PGM_RSRC2:TGID_Z_EN: 0
; COMPUTE_PGM_RSRC2:TIDIG_COMP_CNT: 0
	.text
	.protected	_ZN4vllm4gptq32gemm_half_q_half_alt_4bit_kernelEPK7__half2PKjP6__halfPKS6_S5_PKiiiib ; -- Begin function _ZN4vllm4gptq32gemm_half_q_half_alt_4bit_kernelEPK7__half2PKjP6__halfPKS6_S5_PKiiiib
	.globl	_ZN4vllm4gptq32gemm_half_q_half_alt_4bit_kernelEPK7__half2PKjP6__halfPKS6_S5_PKiiiib
	.p2align	8
	.type	_ZN4vllm4gptq32gemm_half_q_half_alt_4bit_kernelEPK7__half2PKjP6__halfPKS6_S5_PKiiiib,@function
_ZN4vllm4gptq32gemm_half_q_half_alt_4bit_kernelEPK7__half2PKjP6__halfPKS6_S5_PKiiiib: ; @_ZN4vllm4gptq32gemm_half_q_half_alt_4bit_kernelEPK7__half2PKjP6__halfPKS6_S5_PKiiiib
; %bb.0:
	s_load_b128 s[16:19], s[2:3], 0x30
	s_lshl_b32 s4, s15, 4
	s_lshl_b32 s12, s14, 3
	s_and_b32 s24, s4, 0x1ffffff0
	v_and_b32_e32 v6, 0x3ff, v0
	s_mov_b32 s26, 0
	s_waitcnt lgkmcnt(0)
	s_sub_i32 s4, s17, s24
	s_delay_alu instid0(SALU_CYCLE_1) | instskip(SKIP_1) | instid1(SALU_CYCLE_1)
	v_cvt_f64_u32_e32 v[1:2], s4
	s_sub_i32 s4, s16, s12
	v_cvt_f64_u32_e32 v[3:4], s4
	s_clause 0x1
	s_load_b64 s[20:21], s[2:3], 0x28
	s_load_b256 s[4:11], s[2:3], 0x8
	s_delay_alu instid0(VALU_DEP_2) | instskip(NEXT) | instid1(VALU_DEP_2)
	v_min_f64 v[1:2], 0x40300000, v[1:2]
	v_min_f64 v[3:4], 0x40200000, v[3:4]
	s_delay_alu instid0(VALU_DEP_2) | instskip(NEXT) | instid1(VALU_DEP_2)
	v_mul_f64 v[1:2], v[1:2], 4.0
	v_cvt_i32_f64_e32 v3, v[3:4]
	s_delay_alu instid0(VALU_DEP_2) | instskip(NEXT) | instid1(VALU_DEP_2)
	v_cvt_i32_f64_e32 v1, v[1:2]
	v_readfirstlane_b32 s16, v3
	s_delay_alu instid0(VALU_DEP_1) | instskip(SKIP_1) | instid1(VALU_DEP_2)
	s_cmp_gt_i32 s16, 0
	s_cselect_b32 s22, -1, 0
	v_cmp_lt_u32_e32 vcc_lo, v6, v1
	v_readfirstlane_b32 s23, v1
	s_and_b32 s27, vcc_lo, s22
	s_delay_alu instid0(SALU_CYCLE_1)
	s_and_saveexec_b32 s25, s27
	s_cbranch_execz .LBB4_7
; %bb.1:
	s_load_b64 s[2:3], s[2:3], 0x0
	s_lshl_b32 s15, s15, 6
	s_delay_alu instid0(SALU_CYCLE_1)
	s_and_b32 s15, s15, 0x7fffffc0
	s_cmp_lt_u32 s16, 8
	s_cbranch_scc1 .LBB4_4
; %bb.2:
	s_add_i32 s26, s12, 7
	s_add_i32 s27, s12, 6
	s_mul_i32 s26, s17, s26
	s_mul_i32 s27, s17, s27
	v_lshl_add_u32 v3, s26, 2, v6
	s_add_i32 s26, s12, 5
	v_lshl_add_u32 v4, s27, 2, v6
	s_mul_i32 s26, s17, s26
	s_add_i32 s27, s12, 4
	v_lshl_add_u32 v5, s26, 2, v6
	s_mul_i32 s26, s17, s27
	;; [unrolled: 3-line block ×5, first 2 shown]
	s_mul_i32 s14, s14, s17
	v_lshl_add_u32 v10, s26, 2, v6
	v_lshl_add_u32 v11, s14, 5, v6
	v_lshl_or_b32 v12, v6, 2, 0x2000
	v_mov_b32_e32 v2, 0
	s_and_b32 s26, s16, 0x7ffffff8
	s_lshl_b32 s14, s17, 5
	s_mov_b32 s27, 0
.LBB4_3:                                ; =>This Inner Loop Header: Depth=1
	v_add_nc_u32_e32 v1, s15, v11
	v_add_nc_u32_e32 v11, s14, v11
	s_add_i32 s27, s27, 8
	s_delay_alu instid0(SALU_CYCLE_1) | instskip(NEXT) | instid1(VALU_DEP_2)
	s_cmp_lg_u32 s26, s27
	v_lshlrev_b64 v[13:14], 2, v[1:2]
	v_add_nc_u32_e32 v1, s15, v10
	v_add_nc_u32_e32 v10, s14, v10
	s_delay_alu instid0(VALU_DEP_2) | instskip(SKIP_4) | instid1(VALU_DEP_4)
	v_lshlrev_b64 v[15:16], 2, v[1:2]
	v_add_nc_u32_e32 v1, s15, v9
	s_waitcnt lgkmcnt(0)
	v_add_co_u32 v13, vcc_lo, s2, v13
	v_add_co_ci_u32_e32 v14, vcc_lo, s3, v14, vcc_lo
	v_add_co_u32 v15, vcc_lo, s2, v15
	v_lshlrev_b64 v[17:18], 2, v[1:2]
	v_add_nc_u32_e32 v1, s15, v8
	v_add_co_ci_u32_e32 v16, vcc_lo, s3, v16, vcc_lo
	global_load_b32 v21, v[13:14], off
	v_add_nc_u32_e32 v9, s14, v9
	v_add_nc_u32_e32 v8, s14, v8
	global_load_b32 v22, v[15:16], off
	v_lshlrev_b64 v[13:14], 2, v[1:2]
	v_add_nc_u32_e32 v1, s15, v7
	v_add_co_u32 v15, vcc_lo, s2, v17
	v_add_co_ci_u32_e32 v16, vcc_lo, s3, v18, vcc_lo
	s_delay_alu instid0(VALU_DEP_4) | instskip(NEXT) | instid1(VALU_DEP_4)
	v_add_co_u32 v13, vcc_lo, s2, v13
	v_lshlrev_b64 v[17:18], 2, v[1:2]
	v_add_nc_u32_e32 v1, s15, v5
	v_add_co_ci_u32_e32 v14, vcc_lo, s3, v14, vcc_lo
	global_load_b32 v23, v[15:16], off
	v_add_nc_u32_e32 v7, s14, v7
	v_add_nc_u32_e32 v5, s14, v5
	global_load_b32 v24, v[13:14], off
	v_lshlrev_b64 v[15:16], 2, v[1:2]
	v_add_nc_u32_e32 v1, s15, v4
	v_add_co_u32 v13, vcc_lo, s2, v17
	v_add_co_ci_u32_e32 v14, vcc_lo, s3, v18, vcc_lo
	s_delay_alu instid0(VALU_DEP_3) | instskip(SKIP_3) | instid1(VALU_DEP_3)
	v_lshlrev_b64 v[17:18], 2, v[1:2]
	v_add_nc_u32_e32 v1, s15, v3
	v_add_co_u32 v15, vcc_lo, s2, v15
	v_add_co_ci_u32_e32 v16, vcc_lo, s3, v16, vcc_lo
	v_lshlrev_b64 v[19:20], 2, v[1:2]
	v_add_co_u32 v17, vcc_lo, s2, v17
	v_add_co_ci_u32_e32 v18, vcc_lo, s3, v18, vcc_lo
	v_add_nc_u32_e32 v4, s14, v4
	s_delay_alu instid0(VALU_DEP_4)
	v_add_co_u32 v19, vcc_lo, s2, v19
	v_add_co_ci_u32_e32 v20, vcc_lo, s3, v20, vcc_lo
	s_clause 0x3
	global_load_b32 v1, v[13:14], off
	global_load_b32 v13, v[15:16], off
	;; [unrolled: 1-line block ×4, first 2 shown]
	v_add_nc_u32_e32 v3, s14, v3
	s_waitcnt vmcnt(6)
	ds_store_2addr_stride64_b32 v12, v21, v22 offset1:1
	s_waitcnt vmcnt(4)
	ds_store_2addr_stride64_b32 v12, v23, v24 offset0:2 offset1:3
	s_waitcnt vmcnt(2)
	ds_store_2addr_stride64_b32 v12, v1, v13 offset0:4 offset1:5
	;; [unrolled: 2-line block ×3, first 2 shown]
	v_add_nc_u32_e32 v12, 0x800, v12
	s_cbranch_scc1 .LBB4_3
.LBB4_4:
	s_and_b32 s14, s16, 7
	s_delay_alu instid0(SALU_CYCLE_1)
	s_cmp_eq_u32 s14, 0
	s_cbranch_scc1 .LBB4_7
; %bb.5:
	s_add_i32 s27, s26, s12
	v_dual_mov_b32 v2, 0 :: v_dual_lshlrev_b32 v1, 2, v6
	s_mul_i32 s27, s17, s27
	s_lshl_b32 s26, s26, 8
	s_lshl_b32 s27, s27, 2
	s_delay_alu instid0(VALU_DEP_1)
	v_add3_u32 v3, s26, v1, 0x2000
	v_add3_u32 v1, s15, s27, v6
	s_lshl_b32 s15, s17, 2
.LBB4_6:                                ; =>This Inner Loop Header: Depth=1
	s_delay_alu instid0(VALU_DEP_1) | instskip(SKIP_2) | instid1(SALU_CYCLE_1)
	v_lshlrev_b64 v[4:5], 2, v[1:2]
	v_add_nc_u32_e32 v1, s15, v1
	s_add_i32 s14, s14, -1
	s_cmp_lg_u32 s14, 0
	s_waitcnt lgkmcnt(0)
	s_delay_alu instid0(VALU_DEP_2)
	v_add_co_u32 v4, vcc_lo, s2, v4
	v_add_co_ci_u32_e32 v5, vcc_lo, s3, v5, vcc_lo
	global_load_b32 v4, v[4:5], off
	s_waitcnt vmcnt(0)
	ds_store_b32 v3, v4
	v_add_nc_u32_e32 v3, 0x100, v3
	s_cbranch_scc1 .LBB4_6
.LBB4_7:
	s_or_b32 exec_lo, exec_lo, s25
	v_bfe_u32 v1, v6, 3, 4
	v_and_b32_e32 v2, 7, v6
	v_lshrrev_b32_e32 v4, 3, v6
	s_waitcnt lgkmcnt(0)
	s_mov_b32 s2, 0
	v_cvt_f32_ubyte0_e32 v3, v1
	v_lshlrev_b32_e32 v5, 2, v2
	v_lshrrev_b32_e32 v1, 7, v6
	v_add_nc_u32_e32 v2, -16, v4
	s_delay_alu instid0(VALU_DEP_4) | instskip(NEXT) | instid1(VALU_DEP_4)
	v_cvt_f16_f32_e32 v3, v3
	v_lshl_or_b32 v4, v4, 5, v5
.LBB4_8:                                ; =>This Inner Loop Header: Depth=1
	s_delay_alu instid0(VALU_DEP_4) | instskip(NEXT) | instid1(VALU_DEP_4)
	v_cvt_f32_u32_e32 v7, v1
	v_add_nc_u32_e32 v2, 16, v2
	v_add_nc_u32_e32 v1, 1, v1
	s_delay_alu instid0(VALU_DEP_3) | instskip(NEXT) | instid1(VALU_DEP_3)
	v_cvt_f16_f32_e32 v7, v7
	v_cmp_lt_u32_e32 vcc_lo, 0xef, v2
	s_delay_alu instid0(VALU_DEP_2)
	v_perm_b32 v7, v7, v3, 0x5040100
	s_or_b32 s2, vcc_lo, s2
	ds_store_b32 v4, v7
	v_add_nc_u32_e32 v4, 0x200, v4
	s_and_not1_b32 exec_lo, exec_lo, s2
	s_cbranch_execnz .LBB4_8
; %bb.9:
	s_or_b32 exec_lo, exec_lo, s2
	s_load_b64 s[0:1], s[0:1], 0x4
	v_bfe_u32 v2, v0, 10, 10
	v_bfe_u32 v3, v0, 20, 10
	v_lshl_add_u32 v4, s13, 7, v6
	s_mov_b32 s13, 0
	s_waitcnt lgkmcnt(0)
	s_barrier
	buffer_gl0_inv
	s_lshr_b32 s0, s0, 16
	s_cmp_lt_i32 s23, 1
	s_mul_i32 s0, s0, s1
	s_delay_alu instid0(SALU_CYCLE_1) | instskip(NEXT) | instid1(VALU_DEP_1)
	v_mul_lo_u32 v1, s0, v6
	v_mad_u32_u24 v1, v2, s1, v1
	s_delay_alu instid0(VALU_DEP_1) | instskip(NEXT) | instid1(VALU_DEP_1)
	v_add_lshl_u32 v8, v1, v3, 4
	v_dual_mov_b32 v0, 0 :: v_dual_add_nc_u32 v7, 0x2800, v8
	s_delay_alu instid0(VALU_DEP_1)
	v_mov_b32_e32 v1, v0
	v_mov_b32_e32 v2, v0
	;; [unrolled: 1-line block ×3, first 2 shown]
	ds_store_b128 v8, v[0:3] offset:10240
	s_cbranch_scc1 .LBB4_18
; %bb.10:
	s_ashr_i32 s0, s18, 31
	v_lshlrev_b32_e32 v2, 2, v6
	s_lshr_b32 s0, s0, 29
	s_and_b32 s17, s19, 1
	s_add_i32 s0, s18, s0
	s_lshl_b32 s14, s24, 3
	v_and_b32_e32 v6, 28, v2
	s_ashr_i32 s15, s0, 3
	s_add_i32 s17, s17, -1
	v_mad_u64_u32 v[2:3], null, s24, s18, v[4:5]
	s_cmp_lg_u32 s16, 1
	v_lshrrev_b32_e32 v1, 3, v4
	s_cselect_b32 s19, -1, 0
	s_and_b32 s24, s16, 0x7ffffffe
	s_bitcmp1_b32 s16, 0
	s_movk_i32 s27, 0x2000
	s_cselect_b32 s25, -1, 0
	s_ashr_i32 s26, s14, 31
	s_branch .LBB4_12
.LBB4_11:                               ;   in Loop: Header=BB4_12 Depth=1
	v_add_nc_u32_e32 v2, s18, v2
	s_add_i32 s13, s13, 4
	s_add_i32 s27, s27, 16
	s_cmp_ge_i32 s13, s23
	s_cbranch_scc1 .LBB4_18
.LBB4_12:                               ; =>This Loop Header: Depth=1
                                        ;     Child Loop BB4_15 Depth 2
	s_and_not1_b32 vcc_lo, exec_lo, s22
	s_cbranch_vccnz .LBB4_11
; %bb.13:                               ;   in Loop: Header=BB4_12 Depth=1
	s_lshl_b32 s30, s13, 1
	v_ashrrev_i32_e32 v3, 31, v2
	s_ashr_i32 s1, s30, 31
	s_add_u32 s0, s30, s14
	s_addc_u32 s1, s1, s26
	s_delay_alu instid0(SALU_CYCLE_1) | instskip(NEXT) | instid1(SALU_CYCLE_1)
	s_lshl_b64 s[0:1], s[0:1], 2
	s_add_u32 s0, s20, s0
	s_addc_u32 s1, s21, s1
	s_clause 0x1
	s_load_b64 s[28:29], s[0:1], 0x18
	s_load_b128 s[0:3], s[0:1], 0x8
	s_waitcnt lgkmcnt(0)
	v_mad_u64_u32 v[8:9], null, s28, s18, v[4:5]
	v_mad_u64_u32 v[10:11], null, s28, s15, v[1:2]
	;; [unrolled: 1-line block ×3, first 2 shown]
	v_mov_b32_e32 v9, v0
	v_mad_u64_u32 v[14:15], null, s29, s15, v[1:2]
	v_mov_b32_e32 v13, v0
	v_ashrrev_i32_e32 v11, 31, v10
	s_delay_alu instid0(VALU_DEP_4) | instskip(SKIP_1) | instid1(VALU_DEP_4)
	v_lshlrev_b64 v[8:9], 1, v[8:9]
	v_mad_u64_u32 v[18:19], null, s2, s15, v[1:2]
	v_lshlrev_b64 v[12:13], 1, v[12:13]
	v_ashrrev_i32_e32 v15, 31, v14
	v_lshlrev_b64 v[10:11], 2, v[10:11]
	v_add_co_u32 v8, vcc_lo, s8, v8
	v_mad_u64_u32 v[16:17], null, s2, s18, v[4:5]
	v_add_co_ci_u32_e32 v9, vcc_lo, s9, v9, vcc_lo
	v_lshlrev_b64 v[14:15], 2, v[14:15]
	v_add_co_u32 v12, vcc_lo, s8, v12
	v_mov_b32_e32 v17, v0
	v_add_co_ci_u32_e32 v13, vcc_lo, s9, v13, vcc_lo
	v_add_co_u32 v10, vcc_lo, s10, v10
	v_mad_u64_u32 v[20:21], null, s3, s18, v[4:5]
	v_ashrrev_i32_e32 v19, 31, v18
	v_add_co_ci_u32_e32 v11, vcc_lo, s11, v11, vcc_lo
	v_lshlrev_b64 v[16:17], 1, v[16:17]
	v_add_co_u32 v14, vcc_lo, s10, v14
	v_mov_b32_e32 v21, v0
	v_add_co_ci_u32_e32 v15, vcc_lo, s11, v15, vcc_lo
	v_lshlrev_b64 v[18:19], 2, v[18:19]
	s_clause 0x1
	global_load_u16 v22, v[8:9], off
	global_load_u16 v23, v[12:13], off
	s_clause 0x1
	global_load_b32 v24, v[10:11], off
	global_load_b32 v25, v[14:15], off
	v_mad_u64_u32 v[8:9], null, s3, s15, v[1:2]
	v_add_co_u32 v10, vcc_lo, s8, v16
	v_lshlrev_b64 v[12:13], 1, v[20:21]
	v_add_co_ci_u32_e32 v11, vcc_lo, s9, v17, vcc_lo
	v_add_co_u32 v14, vcc_lo, s10, v18
	v_add_co_ci_u32_e32 v15, vcc_lo, s11, v19, vcc_lo
	v_ashrrev_i32_e32 v9, 31, v8
	v_add_co_u32 v12, vcc_lo, s8, v12
	v_mad_u64_u32 v[16:17], null, s0, s18, v[4:5]
	v_add_co_ci_u32_e32 v13, vcc_lo, s9, v13, vcc_lo
	s_add_i32 s2, s30, s14
	v_mov_b32_e32 v17, v0
	s_ashr_i32 s3, s2, 31
	v_lshlrev_b64 v[8:9], 2, v[8:9]
	global_load_u16 v18, v[10:11], off
	global_load_b32 v19, v[14:15], off
	global_load_u16 v20, v[12:13], off
	v_mad_u64_u32 v[12:13], null, s0, s15, v[1:2]
	s_lshl_b64 s[2:3], s[2:3], 2
	v_lshlrev_b64 v[10:11], 1, v[16:17]
	s_add_u32 s2, s20, s2
	s_addc_u32 s3, s21, s3
	v_add_co_u32 v8, vcc_lo, s10, v8
	s_load_b64 s[2:3], s[2:3], 0x0
	v_add_co_ci_u32_e32 v9, vcc_lo, s11, v9, vcc_lo
	v_ashrrev_i32_e32 v13, 31, v12
	v_add_co_u32 v10, vcc_lo, s8, v10
	v_add_co_ci_u32_e32 v11, vcc_lo, s9, v11, vcc_lo
	global_load_b32 v21, v[8:9], off
	v_lshlrev_b64 v[8:9], 2, v[12:13]
	v_lshlrev_b64 v[14:15], 2, v[2:3]
	global_load_u16 v26, v[10:11], off
	v_mad_u64_u32 v[10:11], null, s1, s15, v[1:2]
	v_mad_u64_u32 v[12:13], null, s1, s18, v[4:5]
	v_add_co_u32 v8, vcc_lo, s10, v8
	v_add_co_ci_u32_e32 v9, vcc_lo, s11, v9, vcc_lo
	v_add_co_u32 v14, vcc_lo, s4, v14
	v_mov_b32_e32 v13, v0
	v_add_co_ci_u32_e32 v15, vcc_lo, s5, v15, vcc_lo
	v_ashrrev_i32_e32 v11, 31, v10
	s_waitcnt lgkmcnt(0)
	v_mad_u64_u32 v[16:17], null, s2, s15, v[1:2]
	v_lshlrev_b64 v[12:13], 1, v[12:13]
	global_load_b32 v3, v[14:15], off
	v_mad_u64_u32 v[14:15], null, s3, s15, v[1:2]
	v_lshlrev_b64 v[10:11], 2, v[10:11]
	v_add_co_u32 v12, vcc_lo, s8, v12
	v_ashrrev_i32_e32 v17, 31, v16
	v_add_co_ci_u32_e32 v13, vcc_lo, s9, v13, vcc_lo
	s_delay_alu instid0(VALU_DEP_4)
	v_add_co_u32 v10, vcc_lo, s10, v10
	v_ashrrev_i32_e32 v15, 31, v14
	v_add_co_ci_u32_e32 v11, vcc_lo, s11, v11, vcc_lo
	v_lshlrev_b64 v[16:17], 2, v[16:17]
	global_load_u16 v27, v[12:13], off
	s_clause 0x1
	global_load_b32 v28, v[8:9], off
	global_load_b32 v29, v[10:11], off
	v_lshlrev_b64 v[8:9], 2, v[14:15]
	v_mad_u64_u32 v[12:13], null, s2, s18, v[4:5]
	v_mov_b32_e32 v13, v0
	v_add_co_u32 v10, vcc_lo, s10, v16
	v_add_co_ci_u32_e32 v11, vcc_lo, s11, v17, vcc_lo
	v_add_co_u32 v8, vcc_lo, s10, v8
	v_add_co_ci_u32_e32 v9, vcc_lo, s11, v9, vcc_lo
	s_clause 0x1
	global_load_b32 v14, v[10:11], off
	global_load_b32 v15, v[8:9], off
	v_mad_u64_u32 v[8:9], null, s3, s18, v[4:5]
	v_mov_b32_e32 v9, v0
	v_lshlrev_b64 v[10:11], 1, v[12:13]
	s_mov_b32 s2, 0
	s_delay_alu instid0(VALU_DEP_2) | instskip(NEXT) | instid1(VALU_DEP_2)
	v_lshlrev_b64 v[8:9], 1, v[8:9]
	v_add_co_u32 v10, vcc_lo, s8, v10
	s_delay_alu instid0(VALU_DEP_3) | instskip(NEXT) | instid1(VALU_DEP_3)
	v_add_co_ci_u32_e32 v11, vcc_lo, s9, v11, vcc_lo
	v_add_co_u32 v8, vcc_lo, s8, v8
	s_delay_alu instid0(VALU_DEP_4)
	v_add_co_ci_u32_e32 v9, vcc_lo, s9, v9, vcc_lo
	s_clause 0x1
	global_load_u16 v10, v[10:11], off
	global_load_u16 v8, v[8:9], off
	s_and_not1_b32 vcc_lo, exec_lo, s19
	s_waitcnt vmcnt(15)
	v_perm_b32 v17, v23, v22, 0x5040100
	s_waitcnt vmcnt(14)
	v_bfe_u32 v24, v24, v6, 4
	s_waitcnt vmcnt(13)
	v_bfe_u32 v25, v25, v6, 4
	s_delay_alu instid0(VALU_DEP_2) | instskip(NEXT) | instid1(VALU_DEP_2)
	v_sub_nc_u32_e32 v24, s17, v24
	v_sub_nc_u32_e32 v25, s17, v25
	s_delay_alu instid0(VALU_DEP_2) | instskip(NEXT) | instid1(VALU_DEP_2)
	v_cvt_f32_i32_e32 v24, v24
	v_cvt_f32_i32_e32 v25, v25
	s_delay_alu instid0(VALU_DEP_2) | instskip(NEXT) | instid1(VALU_DEP_2)
	v_cvt_f16_f32_e32 v24, v24
	v_cvt_f16_f32_e32 v25, v25
	s_delay_alu instid0(VALU_DEP_2) | instskip(NEXT) | instid1(VALU_DEP_2)
	v_mul_f16_e32 v22, v22, v24
	v_mul_f16_e32 v23, v23, v25
	s_waitcnt vmcnt(11)
	v_bfe_u32 v19, v19, v6, 4
	s_waitcnt vmcnt(10)
	v_perm_b32 v16, v20, v18, 0x5040100
	s_delay_alu instid0(VALU_DEP_2) | instskip(NEXT) | instid1(VALU_DEP_1)
	v_sub_nc_u32_e32 v19, s17, v19
	v_cvt_f32_i32_e32 v19, v19
	s_delay_alu instid0(VALU_DEP_1) | instskip(SKIP_2) | instid1(VALU_DEP_2)
	v_cvt_f16_f32_e32 v19, v19
	s_waitcnt vmcnt(9)
	v_bfe_u32 v21, v21, v6, 4
	v_mul_f16_e32 v18, v18, v19
	s_delay_alu instid0(VALU_DEP_2) | instskip(NEXT) | instid1(VALU_DEP_1)
	v_sub_nc_u32_e32 v21, s17, v21
	v_cvt_f32_i32_e32 v21, v21
	s_delay_alu instid0(VALU_DEP_1) | instskip(NEXT) | instid1(VALU_DEP_1)
	v_cvt_f16_f32_e32 v21, v21
	v_mul_f16_e32 v19, v20, v21
	s_waitcnt vmcnt(7)
	v_and_b32_e32 v9, 0xff, v3
	v_lshrrev_b32_e32 v11, 3, v3
	v_lshrrev_b32_e32 v12, 11, v3
	v_lshrrev_b32_e32 v3, 19, v3
	v_pack_b32_f16 v18, v18, v19
	v_lshl_or_b32 v9, v9, 5, v5
	v_and_or_b32 v11, 0x1fe0, v11, v5
	v_and_or_b32 v12, 0x1fe0, v12, v5
	;; [unrolled: 1-line block ×3, first 2 shown]
	ds_load_b32 v13, v9
	ds_load_b32 v9, v11
	;; [unrolled: 1-line block ×4, first 2 shown]
	s_waitcnt vmcnt(6)
	v_perm_b32 v12, v27, v26, 0x5040100
	s_waitcnt vmcnt(5)
	v_bfe_u32 v28, v28, v6, 4
	s_waitcnt vmcnt(4)
	v_bfe_u32 v29, v29, v6, 4
	s_delay_alu instid0(VALU_DEP_2) | instskip(NEXT) | instid1(VALU_DEP_2)
	v_sub_nc_u32_e32 v28, s17, v28
	v_sub_nc_u32_e32 v29, s17, v29
	s_delay_alu instid0(VALU_DEP_2) | instskip(NEXT) | instid1(VALU_DEP_2)
	v_cvt_f32_i32_e32 v28, v28
	v_cvt_f32_i32_e32 v29, v29
	s_waitcnt vmcnt(3)
	v_bfe_u32 v14, v14, v6, 4
	s_waitcnt vmcnt(2)
	v_bfe_u32 v15, v15, v6, 4
	v_cvt_f16_f32_e32 v28, v28
	v_cvt_f16_f32_e32 v29, v29
	v_sub_nc_u32_e32 v14, s17, v14
	s_delay_alu instid0(VALU_DEP_4) | instskip(NEXT) | instid1(VALU_DEP_4)
	v_sub_nc_u32_e32 v15, s17, v15
	v_mul_f16_e32 v20, v26, v28
	s_delay_alu instid0(VALU_DEP_4) | instskip(NEXT) | instid1(VALU_DEP_4)
	v_mul_f16_e32 v21, v27, v29
	v_cvt_f32_i32_e32 v14, v14
	s_delay_alu instid0(VALU_DEP_4) | instskip(NEXT) | instid1(VALU_DEP_2)
	v_cvt_f32_i32_e32 v15, v15
	v_cvt_f16_f32_e32 v14, v14
	s_delay_alu instid0(VALU_DEP_2) | instskip(SKIP_1) | instid1(VALU_DEP_2)
	v_cvt_f16_f32_e32 v15, v15
	s_waitcnt vmcnt(1)
	v_mul_f16_e32 v14, v10, v14
	s_waitcnt vmcnt(0)
	s_delay_alu instid0(VALU_DEP_2) | instskip(SKIP_2) | instid1(VALU_DEP_3)
	v_mul_f16_e32 v15, v8, v15
	v_perm_b32 v10, v8, v10, 0x5040100
	v_pack_b32_f16 v8, v20, v21
	v_pack_b32_f16 v14, v14, v15
	;; [unrolled: 1-line block ×3, first 2 shown]
	s_waitcnt lgkmcnt(2)
	s_delay_alu instid0(VALU_DEP_3)
	v_pk_fma_f16 v9, v9, v12, v8
	s_waitcnt lgkmcnt(1)
	v_pk_fma_f16 v8, v11, v16, v18
	v_pk_fma_f16 v10, v13, v10, v14
	s_waitcnt lgkmcnt(0)
	v_pk_fma_f16 v3, v3, v17, v15
	s_cbranch_vccnz .LBB4_16
; %bb.14:                               ;   in Loop: Header=BB4_12 Depth=1
	v_mov_b32_e32 v11, v7
	s_mov_b32 s0, 0
	s_mov_b32 s1, s27
.LBB4_15:                               ;   Parent Loop BB4_12 Depth=1
                                        ; =>  This Inner Loop Header: Depth=2
	s_delay_alu instid0(SALU_CYCLE_1)
	v_mov_b32_e32 v16, s1
	s_add_i32 s0, s0, 2
	s_addk_i32 s1, 0x200
	s_cmp_eq_u32 s24, s0
	s_mov_b32 s2, s24
	ds_load_b128 v[12:15], v16
	ds_load_b128 v[16:19], v16 offset:256
	s_waitcnt lgkmcnt(1)
	v_pk_fma_f16 v12, v10, v12, 0
	s_waitcnt lgkmcnt(0)
	v_pk_fma_f16 v16, v10, v16, 0
	s_delay_alu instid0(VALU_DEP_2) | instskip(NEXT) | instid1(VALU_DEP_2)
	v_and_b32_e32 v20, 0xffff0000, v12
	v_and_b32_e32 v21, 0xffff0000, v16
	s_delay_alu instid0(VALU_DEP_2) | instskip(NEXT) | instid1(VALU_DEP_2)
	v_and_or_b32 v12, 0xffff, v12, v20
	v_and_or_b32 v16, 0xffff, v16, v21
	s_delay_alu instid0(VALU_DEP_2) | instskip(NEXT) | instid1(VALU_DEP_2)
	v_pk_fma_f16 v12, v9, v13, v12
	v_pk_fma_f16 v13, v9, v17, v16
	s_delay_alu instid0(VALU_DEP_2) | instskip(NEXT) | instid1(VALU_DEP_2)
	v_and_b32_e32 v16, 0xffff0000, v12
	v_and_b32_e32 v17, 0xffff0000, v13
	s_delay_alu instid0(VALU_DEP_2) | instskip(NEXT) | instid1(VALU_DEP_2)
	v_and_or_b32 v12, 0xffff, v12, v16
	v_and_or_b32 v13, 0xffff, v13, v17
	ds_load_b32 v17, v11
	v_pk_fma_f16 v12, v8, v14, v12
	v_pk_fma_f16 v13, v8, v18, v13
	s_delay_alu instid0(VALU_DEP_2) | instskip(NEXT) | instid1(VALU_DEP_2)
	v_and_b32_e32 v14, 0xffff0000, v12
	v_and_b32_e32 v16, 0xffff0000, v13
	s_delay_alu instid0(VALU_DEP_2) | instskip(NEXT) | instid1(VALU_DEP_2)
	v_and_or_b32 v12, 0xffff, v12, v14
	v_and_or_b32 v13, 0xffff, v13, v16
	s_delay_alu instid0(VALU_DEP_2) | instskip(NEXT) | instid1(VALU_DEP_2)
	v_pk_fma_f16 v12, v3, v15, v12
	v_pk_fma_f16 v13, v3, v19, v13
	s_waitcnt lgkmcnt(0)
	v_lshrrev_b32_e32 v16, 16, v17
	s_delay_alu instid0(VALU_DEP_3) | instskip(NEXT) | instid1(VALU_DEP_3)
	v_lshrrev_b32_e32 v14, 16, v12
	v_lshrrev_b32_e32 v15, 16, v13
	v_cvt_u16_f16_e32 v12, v12
	v_cvt_u16_f16_e32 v13, v13
	s_delay_alu instid0(VALU_DEP_4) | instskip(NEXT) | instid1(VALU_DEP_4)
	v_cvt_u16_f16_e32 v14, v14
	v_cvt_u16_f16_e32 v15, v15
	s_delay_alu instid0(VALU_DEP_2) | instskip(NEXT) | instid1(VALU_DEP_2)
	v_add_f16_e32 v12, v12, v14
	v_add_f16_e32 v13, v13, v15
	s_delay_alu instid0(VALU_DEP_2) | instskip(NEXT) | instid1(VALU_DEP_2)
	v_add_f16_e32 v12, v17, v12
	v_add_f16_e32 v13, v16, v13
	s_delay_alu instid0(VALU_DEP_1)
	v_pack_b32_f16 v12, v12, v13
	ds_store_b32 v11, v12
	v_add_nc_u32_e32 v11, 4, v11
	s_cbranch_scc0 .LBB4_15
.LBB4_16:                               ;   in Loop: Header=BB4_12 Depth=1
	s_and_not1_b32 vcc_lo, exec_lo, s25
	s_cbranch_vccnz .LBB4_11
; %bb.17:                               ;   in Loop: Header=BB4_12 Depth=1
	s_lshl_b32 s0, s13, 2
	s_lshl_b32 s1, s2, 8
	s_delay_alu instid0(SALU_CYCLE_1) | instskip(NEXT) | instid1(SALU_CYCLE_1)
	s_add_i32 s0, s1, s0
	v_mov_b32_e32 v11, s0
	ds_load_b128 v[11:14], v11 offset:8192
	s_waitcnt lgkmcnt(0)
	v_pk_fma_f16 v10, v10, v11, 0
	s_delay_alu instid0(VALU_DEP_1) | instskip(NEXT) | instid1(VALU_DEP_1)
	v_and_b32_e32 v11, 0xffff0000, v10
	v_and_or_b32 v10, 0xffff, v10, v11
	s_delay_alu instid0(VALU_DEP_1) | instskip(NEXT) | instid1(VALU_DEP_1)
	v_pk_fma_f16 v9, v9, v12, v10
	v_and_b32_e32 v10, 0xffff0000, v9
	s_delay_alu instid0(VALU_DEP_1) | instskip(NEXT) | instid1(VALU_DEP_1)
	v_and_or_b32 v9, 0xffff, v9, v10
	v_pk_fma_f16 v8, v8, v13, v9
	s_delay_alu instid0(VALU_DEP_1) | instskip(NEXT) | instid1(VALU_DEP_1)
	v_and_b32_e32 v9, 0xffff0000, v8
	v_and_or_b32 v8, 0xffff, v8, v9
	v_lshl_add_u32 v9, s2, 1, v7
	s_delay_alu instid0(VALU_DEP_2) | instskip(SKIP_3) | instid1(VALU_DEP_2)
	v_pk_fma_f16 v3, v3, v14, v8
	ds_load_u16 v8, v9
	v_lshrrev_b32_e32 v10, 16, v3
	v_cvt_u16_f16_e32 v3, v3
	v_cvt_u16_f16_e32 v10, v10
	s_delay_alu instid0(VALU_DEP_1) | instskip(SKIP_1) | instid1(VALU_DEP_1)
	v_add_f16_e32 v3, v3, v10
	s_waitcnt lgkmcnt(0)
	v_add_f16_e32 v3, v8, v3
	ds_store_b16 v9, v3
	s_branch .LBB4_11
.LBB4_18:
	s_and_not1_b32 vcc_lo, exec_lo, s22
	s_cbranch_vccnz .LBB4_27
; %bb.19:
	v_mov_b32_e32 v1, 0
	s_mov_b32 s2, 0
	s_branch .LBB4_21
.LBB4_20:                               ;   in Loop: Header=BB4_21 Depth=1
	s_set_inst_prefetch_distance 0x2
	s_or_b32 exec_lo, exec_lo, s3
	s_add_i32 s2, s2, 1
	s_delay_alu instid0(SALU_CYCLE_1)
	s_cmp_eq_u32 s2, s16
	s_cbranch_scc1 .LBB4_27
.LBB4_21:                               ; =>This Loop Header: Depth=1
                                        ;     Child Loop BB4_23 Depth 2
	s_add_i32 s0, s2, s12
	s_mov_b32 s3, 0
	v_mad_u64_u32 v[2:3], null, s0, s18, v[4:5]
	v_mov_b32_e32 v3, v1
	v_lshl_add_u32 v5, s2, 1, v7
	ds_load_u16 v8, v5
	v_lshlrev_b64 v[2:3], 1, v[2:3]
	s_delay_alu instid0(VALU_DEP_1) | instskip(NEXT) | instid1(VALU_DEP_2)
	v_add_co_u32 v0, vcc_lo, s6, v2
	v_add_co_ci_u32_e32 v3, vcc_lo, s7, v3, vcc_lo
	s_delay_alu instid0(VALU_DEP_2)
	v_and_b32_e32 v2, -3, v0
	v_and_b32_e32 v0, 2, v0
	global_load_b32 v6, v[2:3], off
	v_cmp_eq_u64_e32 vcc_lo, 0, v[0:1]
	v_cmp_ne_u32_e64 s0, 0, v0
	s_set_inst_prefetch_distance 0x1
	s_branch .LBB4_23
	.p2align	6
.LBB4_22:                               ;   in Loop: Header=BB4_23 Depth=2
	s_or_b32 exec_lo, exec_lo, s1
	global_atomic_cmpswap_b32 v0, v[2:3], v[5:6], off glc
	s_waitcnt vmcnt(0)
	v_cmp_eq_u32_e64 s1, v6, v0
	v_mov_b32_e32 v6, v0
	s_delay_alu instid0(VALU_DEP_2) | instskip(NEXT) | instid1(SALU_CYCLE_1)
	s_or_b32 s3, s1, s3
	s_and_not1_b32 exec_lo, exec_lo, s3
	s_cbranch_execz .LBB4_20
.LBB4_23:                               ;   Parent Loop BB4_21 Depth=1
                                        ; =>  This Inner Loop Header: Depth=2
	s_waitcnt vmcnt(0)
	v_lshrrev_b32_e32 v0, 16, v6
	s_delay_alu instid0(VALU_DEP_1) | instskip(SKIP_1) | instid1(VALU_DEP_1)
	v_cndmask_b32_e32 v0, v0, v6, vcc_lo
	s_waitcnt lgkmcnt(0)
	v_add_f16_e32 v0, v8, v0
	s_delay_alu instid0(VALU_DEP_1) | instskip(SKIP_1) | instid1(SALU_CYCLE_1)
	v_and_b32_e32 v0, 0xffff, v0
	s_and_saveexec_b32 s1, s0
	s_xor_b32 s1, exec_lo, s1
; %bb.24:                               ;   in Loop: Header=BB4_23 Depth=2
	v_and_b32_e32 v5, 0xffff, v6
	s_delay_alu instid0(VALU_DEP_1)
	v_lshl_or_b32 v5, v0, 16, v5
                                        ; implicit-def: $vgpr0
; %bb.25:                               ;   in Loop: Header=BB4_23 Depth=2
	s_and_not1_saveexec_b32 s1, s1
	s_cbranch_execz .LBB4_22
; %bb.26:                               ;   in Loop: Header=BB4_23 Depth=2
	v_and_or_b32 v5, 0xffff0000, v6, v0
	s_branch .LBB4_22
.LBB4_27:
	s_endpgm
	.section	.rodata,"a",@progbits
	.p2align	6, 0x0
	.amdhsa_kernel _ZN4vllm4gptq32gemm_half_q_half_alt_4bit_kernelEPK7__half2PKjP6__halfPKS6_S5_PKiiiib
		.amdhsa_group_segment_fixed_size 26624
		.amdhsa_private_segment_fixed_size 0
		.amdhsa_kernarg_size 64
		.amdhsa_user_sgpr_count 13
		.amdhsa_user_sgpr_dispatch_ptr 1
		.amdhsa_user_sgpr_queue_ptr 0
		.amdhsa_user_sgpr_kernarg_segment_ptr 1
		.amdhsa_user_sgpr_dispatch_id 0
		.amdhsa_user_sgpr_private_segment_size 0
		.amdhsa_wavefront_size32 1
		.amdhsa_uses_dynamic_stack 0
		.amdhsa_enable_private_segment 0
		.amdhsa_system_sgpr_workgroup_id_x 1
		.amdhsa_system_sgpr_workgroup_id_y 1
		.amdhsa_system_sgpr_workgroup_id_z 1
		.amdhsa_system_sgpr_workgroup_info 0
		.amdhsa_system_vgpr_workitem_id 2
		.amdhsa_next_free_vgpr 30
		.amdhsa_next_free_sgpr 31
		.amdhsa_reserve_vcc 1
		.amdhsa_float_round_mode_32 0
		.amdhsa_float_round_mode_16_64 0
		.amdhsa_float_denorm_mode_32 3
		.amdhsa_float_denorm_mode_16_64 3
		.amdhsa_dx10_clamp 1
		.amdhsa_ieee_mode 1
		.amdhsa_fp16_overflow 0
		.amdhsa_workgroup_processor_mode 1
		.amdhsa_memory_ordered 1
		.amdhsa_forward_progress 0
		.amdhsa_shared_vgpr_count 0
		.amdhsa_exception_fp_ieee_invalid_op 0
		.amdhsa_exception_fp_denorm_src 0
		.amdhsa_exception_fp_ieee_div_zero 0
		.amdhsa_exception_fp_ieee_overflow 0
		.amdhsa_exception_fp_ieee_underflow 0
		.amdhsa_exception_fp_ieee_inexact 0
		.amdhsa_exception_int_div_zero 0
	.end_amdhsa_kernel
	.text
.Lfunc_end4:
	.size	_ZN4vllm4gptq32gemm_half_q_half_alt_4bit_kernelEPK7__half2PKjP6__halfPKS6_S5_PKiiiib, .Lfunc_end4-_ZN4vllm4gptq32gemm_half_q_half_alt_4bit_kernelEPK7__half2PKjP6__halfPKS6_S5_PKiiiib
                                        ; -- End function
	.section	.AMDGPU.csdata,"",@progbits
; Kernel info:
; codeLenInByte = 3484
; NumSgprs: 33
; NumVgprs: 30
; ScratchSize: 0
; MemoryBound: 0
; FloatMode: 240
; IeeeMode: 1
; LDSByteSize: 26624 bytes/workgroup (compile time only)
; SGPRBlocks: 4
; VGPRBlocks: 3
; NumSGPRsForWavesPerEU: 33
; NumVGPRsForWavesPerEU: 30
; Occupancy: 16
; WaveLimiterHint : 1
; COMPUTE_PGM_RSRC2:SCRATCH_EN: 0
; COMPUTE_PGM_RSRC2:USER_SGPR: 13
; COMPUTE_PGM_RSRC2:TRAP_HANDLER: 0
; COMPUTE_PGM_RSRC2:TGID_X_EN: 1
; COMPUTE_PGM_RSRC2:TGID_Y_EN: 1
; COMPUTE_PGM_RSRC2:TGID_Z_EN: 1
; COMPUTE_PGM_RSRC2:TIDIG_COMP_CNT: 2
	.text
	.protected	_ZN4vllm4gptq32gemm_half_q_half_alt_8bit_kernelEPK7__half2PKjP6__halfPKS6_S5_PKiiiib ; -- Begin function _ZN4vllm4gptq32gemm_half_q_half_alt_8bit_kernelEPK7__half2PKjP6__halfPKS6_S5_PKiiiib
	.globl	_ZN4vllm4gptq32gemm_half_q_half_alt_8bit_kernelEPK7__half2PKjP6__halfPKS6_S5_PKiiiib
	.p2align	8
	.type	_ZN4vllm4gptq32gemm_half_q_half_alt_8bit_kernelEPK7__half2PKjP6__halfPKS6_S5_PKiiiib,@function
_ZN4vllm4gptq32gemm_half_q_half_alt_8bit_kernelEPK7__half2PKjP6__halfPKS6_S5_PKiiiib: ; @_ZN4vllm4gptq32gemm_half_q_half_alt_8bit_kernelEPK7__half2PKjP6__halfPKS6_S5_PKiiiib
; %bb.0:
	s_load_b128 s[16:19], s[2:3], 0x30
	s_lshl_b32 s4, s15, 5
	s_lshl_b32 s12, s14, 3
	s_and_b32 s24, s4, 0x3fffffe0
	v_and_b32_e32 v5, 0x3ff, v0
	s_mov_b32 s26, 0
	s_waitcnt lgkmcnt(0)
	s_sub_i32 s4, s17, s24
	s_delay_alu instid0(SALU_CYCLE_1) | instskip(SKIP_1) | instid1(SALU_CYCLE_1)
	v_cvt_f64_u32_e32 v[1:2], s4
	s_sub_i32 s4, s16, s12
	v_cvt_f64_u32_e32 v[3:4], s4
	s_clause 0x1
	s_load_b64 s[20:21], s[2:3], 0x28
	s_load_b256 s[4:11], s[2:3], 0x8
	s_delay_alu instid0(VALU_DEP_2) | instskip(NEXT) | instid1(VALU_DEP_2)
	v_min_f64 v[1:2], 0x40400000, v[1:2]
	v_min_f64 v[3:4], 0x40200000, v[3:4]
	s_delay_alu instid0(VALU_DEP_2) | instskip(NEXT) | instid1(VALU_DEP_2)
	v_add_f64 v[1:2], v[1:2], v[1:2]
	v_cvt_i32_f64_e32 v3, v[3:4]
	s_delay_alu instid0(VALU_DEP_2) | instskip(NEXT) | instid1(VALU_DEP_2)
	v_cvt_i32_f64_e32 v1, v[1:2]
	v_readfirstlane_b32 s16, v3
	s_delay_alu instid0(VALU_DEP_1) | instskip(SKIP_1) | instid1(VALU_DEP_2)
	s_cmp_gt_i32 s16, 0
	s_cselect_b32 s22, -1, 0
	v_cmp_lt_u32_e32 vcc_lo, v5, v1
	v_readfirstlane_b32 s23, v1
	s_and_b32 s27, vcc_lo, s22
	s_delay_alu instid0(SALU_CYCLE_1)
	s_and_saveexec_b32 s25, s27
	s_cbranch_execz .LBB5_7
; %bb.1:
	s_load_b64 s[2:3], s[2:3], 0x0
	s_lshl_b32 s15, s15, 6
	v_lshlrev_b32_e32 v3, 2, v5
	s_and_b32 s15, s15, 0x7fffffc0
	s_cmp_lt_u32 s16, 8
	s_cbranch_scc1 .LBB5_4
; %bb.2:
	s_add_i32 s26, s12, 7
	s_add_i32 s27, s12, 6
	s_mul_i32 s26, s17, s26
	s_mul_i32 s27, s17, s27
	v_lshl_add_u32 v4, s26, 1, v5
	s_add_i32 s26, s12, 5
	v_lshl_add_u32 v6, s27, 1, v5
	s_mul_i32 s26, s17, s26
	s_add_i32 s27, s12, 4
	v_lshl_add_u32 v7, s26, 1, v5
	s_mul_i32 s26, s17, s27
	;; [unrolled: 3-line block ×5, first 2 shown]
	s_mul_i32 s14, s14, s17
	v_lshl_add_u32 v11, s26, 1, v5
	v_lshl_add_u32 v12, s14, 4, v5
	v_dual_mov_b32 v2, 0 :: v_dual_mov_b32 v13, v3
	s_and_b32 s26, s16, 0x7ffffff8
	s_lshl_b32 s14, s17, 4
	s_mov_b32 s27, 0
.LBB5_3:                                ; =>This Inner Loop Header: Depth=1
	v_add_nc_u32_e32 v1, s15, v12
	v_add_nc_u32_e32 v12, s14, v12
	s_add_i32 s27, s27, 8
	s_delay_alu instid0(SALU_CYCLE_1) | instskip(NEXT) | instid1(VALU_DEP_2)
	s_cmp_lg_u32 s26, s27
	v_lshlrev_b64 v[14:15], 2, v[1:2]
	v_add_nc_u32_e32 v1, s15, v11
	v_add_nc_u32_e32 v11, s14, v11
	s_delay_alu instid0(VALU_DEP_2) | instskip(SKIP_4) | instid1(VALU_DEP_4)
	v_lshlrev_b64 v[16:17], 2, v[1:2]
	v_add_nc_u32_e32 v1, s15, v10
	s_waitcnt lgkmcnt(0)
	v_add_co_u32 v14, vcc_lo, s2, v14
	v_add_co_ci_u32_e32 v15, vcc_lo, s3, v15, vcc_lo
	v_add_co_u32 v16, vcc_lo, s2, v16
	v_lshlrev_b64 v[18:19], 2, v[1:2]
	v_add_nc_u32_e32 v1, s15, v9
	v_add_co_ci_u32_e32 v17, vcc_lo, s3, v17, vcc_lo
	global_load_b32 v22, v[14:15], off
	v_add_nc_u32_e32 v10, s14, v10
	v_add_nc_u32_e32 v9, s14, v9
	global_load_b32 v23, v[16:17], off
	v_lshlrev_b64 v[14:15], 2, v[1:2]
	v_add_nc_u32_e32 v1, s15, v8
	v_add_co_u32 v16, vcc_lo, s2, v18
	v_add_co_ci_u32_e32 v17, vcc_lo, s3, v19, vcc_lo
	s_delay_alu instid0(VALU_DEP_4) | instskip(NEXT) | instid1(VALU_DEP_4)
	v_add_co_u32 v14, vcc_lo, s2, v14
	v_lshlrev_b64 v[18:19], 2, v[1:2]
	v_add_nc_u32_e32 v1, s15, v7
	v_add_co_ci_u32_e32 v15, vcc_lo, s3, v15, vcc_lo
	global_load_b32 v24, v[16:17], off
	v_add_nc_u32_e32 v8, s14, v8
	v_add_nc_u32_e32 v7, s14, v7
	global_load_b32 v25, v[14:15], off
	v_lshlrev_b64 v[16:17], 2, v[1:2]
	v_add_nc_u32_e32 v1, s15, v6
	v_add_co_u32 v14, vcc_lo, s2, v18
	v_add_co_ci_u32_e32 v15, vcc_lo, s3, v19, vcc_lo
	s_delay_alu instid0(VALU_DEP_3) | instskip(SKIP_3) | instid1(VALU_DEP_3)
	v_lshlrev_b64 v[18:19], 2, v[1:2]
	v_add_nc_u32_e32 v1, s15, v4
	v_add_co_u32 v16, vcc_lo, s2, v16
	v_add_co_ci_u32_e32 v17, vcc_lo, s3, v17, vcc_lo
	v_lshlrev_b64 v[20:21], 2, v[1:2]
	v_add_co_u32 v18, vcc_lo, s2, v18
	v_add_co_ci_u32_e32 v19, vcc_lo, s3, v19, vcc_lo
	v_add_nc_u32_e32 v6, s14, v6
	s_delay_alu instid0(VALU_DEP_4)
	v_add_co_u32 v20, vcc_lo, s2, v20
	v_add_co_ci_u32_e32 v21, vcc_lo, s3, v21, vcc_lo
	s_clause 0x3
	global_load_b32 v1, v[14:15], off
	global_load_b32 v14, v[16:17], off
	;; [unrolled: 1-line block ×4, first 2 shown]
	v_add_nc_u32_e32 v4, s14, v4
	s_waitcnt vmcnt(6)
	ds_store_2addr_stride64_b32 v13, v22, v23 offset1:1
	s_waitcnt vmcnt(4)
	ds_store_2addr_stride64_b32 v13, v24, v25 offset0:2 offset1:3
	s_waitcnt vmcnt(2)
	ds_store_2addr_stride64_b32 v13, v1, v14 offset0:4 offset1:5
	;; [unrolled: 2-line block ×3, first 2 shown]
	v_add_nc_u32_e32 v13, 0x800, v13
	s_cbranch_scc1 .LBB5_3
.LBB5_4:
	s_and_b32 s14, s16, 7
	s_delay_alu instid0(SALU_CYCLE_1)
	s_cmp_eq_u32 s14, 0
	s_cbranch_scc1 .LBB5_7
; %bb.5:
	s_add_i32 s27, s26, s12
	v_lshl_add_u32 v3, s26, 8, v3
	s_mul_i32 s27, s17, s27
	v_mov_b32_e32 v2, 0
	s_lshl_b32 s27, s27, 1
	s_delay_alu instid0(SALU_CYCLE_1)
	v_add3_u32 v1, s15, s27, v5
	s_lshl_b32 s15, s17, 1
.LBB5_6:                                ; =>This Inner Loop Header: Depth=1
	s_delay_alu instid0(VALU_DEP_1) | instskip(SKIP_2) | instid1(SALU_CYCLE_1)
	v_lshlrev_b64 v[6:7], 2, v[1:2]
	v_add_nc_u32_e32 v1, s15, v1
	s_add_i32 s14, s14, -1
	s_cmp_lg_u32 s14, 0
	s_waitcnt lgkmcnt(0)
	s_delay_alu instid0(VALU_DEP_2)
	v_add_co_u32 v6, vcc_lo, s2, v6
	v_add_co_ci_u32_e32 v7, vcc_lo, s3, v7, vcc_lo
	global_load_b32 v4, v[6:7], off
	s_waitcnt vmcnt(0)
	ds_store_b32 v3, v4
	v_add_nc_u32_e32 v3, 0x100, v3
	s_cbranch_scc1 .LBB5_6
.LBB5_7:
	s_or_b32 exec_lo, exec_lo, s25
	s_load_b64 s[0:1], s[0:1], 0x4
	v_bfe_u32 v1, v0, 10, 10
	v_bfe_u32 v0, v0, 20, 10
	v_lshl_add_u32 v4, s13, 7, v5
	s_waitcnt lgkmcnt(0)
	s_mov_b32 s2, 0
	s_barrier
	buffer_gl0_inv
	s_lshr_b32 s0, s0, 16
	v_mul_u32_u24_e32 v1, s1, v1
	s_mul_i32 s0, s0, s1
	s_cmp_lt_i32 s23, 1
	v_mul_lo_u32 v2, s0, v5
	s_delay_alu instid0(VALU_DEP_1) | instskip(NEXT) | instid1(VALU_DEP_1)
	v_add3_u32 v6, v2, v1, v0
	v_lshlrev_b32_e32 v8, 4, v6
	s_delay_alu instid0(VALU_DEP_1) | instskip(NEXT) | instid1(VALU_DEP_1)
	v_dual_mov_b32 v0, 0 :: v_dual_add_nc_u32 v7, 0x800, v8
	v_mov_b32_e32 v1, v0
	v_mov_b32_e32 v2, v0
	;; [unrolled: 1-line block ×3, first 2 shown]
	ds_store_b128 v8, v[0:3] offset:2048
	s_cbranch_scc1 .LBB5_17
; %bb.8:
	v_lshlrev_b32_e32 v2, 3, v5
	s_ashr_i32 s0, s18, 31
	s_and_b32 s14, s19, 1
	s_lshr_b32 s0, s0, 30
	s_lshl_b32 s3, s24, 2
	v_and_b32_e32 v5, 24, v2
	s_add_i32 s0, s18, s0
	s_add_i32 s14, s14, -1
	s_ashr_i32 s13, s0, 2
	s_and_b32 s15, s16, 3
	v_mad_u64_u32 v[2:3], null, s24, s18, v[4:5]
	s_cmp_gt_u32 s16, 3
	v_lshrrev_b32_e32 v1, 2, v4
	s_cselect_b32 s17, -1, 0
	s_and_b32 s19, s16, 0x7ffffffc
	v_lshl_add_u32 v6, v6, 4, 0x800
	s_cmp_lg_u32 s15, 0
	s_mov_b32 s26, 0
	s_cselect_b32 s24, -1, 0
	s_ashr_i32 s25, s3, 31
	s_branch .LBB5_10
.LBB5_9:                                ;   in Loop: Header=BB5_10 Depth=1
	v_add_nc_u32_e32 v2, s18, v2
	s_add_i32 s26, s26, 2
	s_add_i32 s2, s2, 8
	s_cmp_ge_i32 s26, s23
	s_cbranch_scc1 .LBB5_17
.LBB5_10:                               ; =>This Loop Header: Depth=1
                                        ;     Child Loop BB5_13 Depth 2
                                        ;     Child Loop BB5_16 Depth 2
	s_and_not1_b32 vcc_lo, exec_lo, s22
	s_cbranch_vccnz .LBB5_9
; %bb.11:                               ;   in Loop: Header=BB5_10 Depth=1
	s_lshl_b32 s27, s26, 1
	v_ashrrev_i32_e32 v3, 31, v2
	s_ashr_i32 s1, s27, 31
	s_add_u32 s0, s27, s3
	s_addc_u32 s1, s1, s25
	s_delay_alu instid0(VALU_DEP_1) | instskip(SKIP_1) | instid1(SALU_CYCLE_1)
	v_lshlrev_b64 v[8:9], 2, v[2:3]
	s_lshl_b64 s[0:1], s[0:1], 2
	s_add_u32 s0, s20, s0
	s_addc_u32 s1, s21, s1
	s_add_i32 s28, s27, s3
	s_load_b64 s[0:1], s[0:1], 0x8
	s_ashr_i32 s29, s28, 31
	s_mov_b32 s27, 0
	s_lshl_b64 s[28:29], s[28:29], 2
	s_delay_alu instid0(SALU_CYCLE_1)
	s_add_u32 s28, s20, s28
	s_addc_u32 s29, s21, s29
	s_load_b64 s[28:29], s[28:29], 0x0
	s_waitcnt lgkmcnt(0)
	v_mad_u64_u32 v[12:13], null, s0, s13, v[1:2]
	v_mad_u64_u32 v[16:17], null, s1, s13, v[1:2]
	;; [unrolled: 1-line block ×3, first 2 shown]
	v_mov_b32_e32 v11, v0
	v_mad_u64_u32 v[14:15], null, s1, s18, v[4:5]
	v_ashrrev_i32_e32 v13, 31, v12
	v_mad_u64_u32 v[18:19], null, s28, s13, v[1:2]
	v_ashrrev_i32_e32 v17, 31, v16
	v_mad_u64_u32 v[20:21], null, s29, s13, v[1:2]
	s_delay_alu instid0(VALU_DEP_4) | instskip(SKIP_1) | instid1(VALU_DEP_4)
	v_lshlrev_b64 v[12:13], 2, v[12:13]
	v_mad_u64_u32 v[22:23], null, s28, s18, v[4:5]
	v_lshlrev_b64 v[16:17], 2, v[16:17]
	v_ashrrev_i32_e32 v19, 31, v18
	v_mov_b32_e32 v23, v0
	v_add_co_u32 v12, vcc_lo, s10, v12
	v_ashrrev_i32_e32 v21, 31, v20
	v_add_co_ci_u32_e32 v13, vcc_lo, s11, v13, vcc_lo
	v_add_co_u32 v16, vcc_lo, s10, v16
	v_lshlrev_b64 v[18:19], 2, v[18:19]
	v_add_co_ci_u32_e32 v17, vcc_lo, s11, v17, vcc_lo
	v_add_co_u32 v8, vcc_lo, s4, v8
	v_lshlrev_b64 v[20:21], 2, v[20:21]
	v_add_co_ci_u32_e32 v9, vcc_lo, s5, v9, vcc_lo
	s_clause 0x1
	global_load_b32 v3, v[12:13], off
	global_load_b32 v16, v[16:17], off
	v_add_co_u32 v12, vcc_lo, s10, v18
	v_add_co_ci_u32_e32 v13, vcc_lo, s11, v19, vcc_lo
	global_load_b32 v17, v[8:9], off
	v_add_co_u32 v8, vcc_lo, s10, v20
	v_add_co_ci_u32_e32 v9, vcc_lo, s11, v21, vcc_lo
	global_load_b32 v18, v[12:13], off
	v_lshlrev_b64 v[10:11], 1, v[10:11]
	v_lshlrev_b64 v[22:23], 1, v[22:23]
	global_load_b32 v19, v[8:9], off
	v_mad_u64_u32 v[12:13], null, s29, s18, v[4:5]
	v_mov_b32_e32 v13, v0
	v_mov_b32_e32 v15, v0
	v_add_co_u32 v8, vcc_lo, s8, v10
	v_add_co_ci_u32_e32 v9, vcc_lo, s9, v11, vcc_lo
	s_delay_alu instid0(VALU_DEP_4) | instskip(NEXT) | instid1(VALU_DEP_4)
	v_lshlrev_b64 v[12:13], 1, v[12:13]
	v_lshlrev_b64 v[10:11], 1, v[14:15]
	v_add_co_u32 v14, vcc_lo, s8, v22
	v_add_co_ci_u32_e32 v15, vcc_lo, s9, v23, vcc_lo
	s_delay_alu instid0(VALU_DEP_4)
	v_add_co_u32 v12, vcc_lo, s8, v12
	v_add_co_ci_u32_e32 v13, vcc_lo, s9, v13, vcc_lo
	v_add_co_u32 v10, vcc_lo, s8, v10
	v_add_co_ci_u32_e32 v11, vcc_lo, s9, v11, vcc_lo
	s_clause 0x3
	global_load_u16 v8, v[8:9], off
	global_load_u16 v9, v[14:15], off
	;; [unrolled: 1-line block ×4, first 2 shown]
	s_and_not1_b32 vcc_lo, exec_lo, s17
	s_waitcnt vmcnt(8)
	v_bfe_u32 v3, v3, v5, 8
	s_waitcnt vmcnt(7)
	v_bfe_u32 v16, v16, v5, 8
	s_delay_alu instid0(VALU_DEP_2)
	v_sub_nc_u32_e32 v3, s14, v3
	s_waitcnt vmcnt(6)
	v_cvt_f32_ubyte0_e32 v11, v17
	v_cvt_f32_ubyte1_e32 v13, v17
	v_cvt_f32_ubyte2_e32 v14, v17
	v_cvt_f32_ubyte3_e32 v15, v17
	v_sub_nc_u32_e32 v16, s14, v16
	s_waitcnt vmcnt(5)
	v_bfe_u32 v17, v18, v5, 8
	v_cvt_f32_i32_e32 v3, v3
	v_cvt_f16_f32_e32 v11, v11
	s_waitcnt vmcnt(4)
	v_bfe_u32 v18, v19, v5, 8
	v_cvt_f32_i32_e32 v16, v16
	v_sub_nc_u32_e32 v17, s14, v17
	v_cvt_f16_f32_e32 v13, v13
	v_cvt_f16_f32_e32 v3, v3
	v_sub_nc_u32_e32 v18, s14, v18
	v_cvt_f16_f32_e32 v16, v16
	v_cvt_f32_i32_e32 v17, v17
	v_cvt_f16_f32_e32 v14, v14
	v_cvt_f16_f32_e32 v15, v15
	v_cvt_f32_i32_e32 v18, v18
	v_pack_b32_f16 v11, v11, v13
	v_cvt_f16_f32_e32 v17, v17
	s_delay_alu instid0(VALU_DEP_4) | instskip(NEXT) | instid1(VALU_DEP_4)
	v_pack_b32_f16 v14, v14, v15
	v_cvt_f16_f32_e32 v18, v18
	s_waitcnt vmcnt(3)
	v_mul_f16_e32 v3, v8, v3
	s_waitcnt vmcnt(2)
	v_mul_f16_e32 v13, v9, v17
	;; [unrolled: 2-line block ×4, first 2 shown]
	v_perm_b32 v8, v10, v8, 0x5040100
	v_perm_b32 v9, v12, v9, 0x5040100
	v_pack_b32_f16 v10, v13, v17
	s_delay_alu instid0(VALU_DEP_4) | instskip(NEXT) | instid1(VALU_DEP_2)
	v_pack_b32_f16 v12, v3, v16
	v_pk_fma_f16 v3, v11, v9, v10
	s_delay_alu instid0(VALU_DEP_2)
	v_pk_fma_f16 v8, v14, v8, v12
	s_cbranch_vccnz .LBB5_14
; %bb.12:                               ;   in Loop: Header=BB5_10 Depth=1
	v_mov_b32_e32 v9, v7
	s_mov_b32 s0, 0
	s_mov_b32 s1, s2
.LBB5_13:                               ;   Parent Loop BB5_10 Depth=1
                                        ; =>  This Inner Loop Header: Depth=2
	s_delay_alu instid0(SALU_CYCLE_1)
	v_mov_b32_e32 v14, s1
	s_add_i32 s0, s0, 4
	s_addk_i32 s1, 0x400
	s_cmp_eq_u32 s19, s0
	s_mov_b32 s27, s19
	ds_load_2addr_b64 v[10:13], v14 offset1:32
	ds_load_2addr_b64 v[14:17], v14 offset0:64 offset1:96
	ds_load_b64 v[18:19], v9
	s_waitcnt lgkmcnt(2)
	v_pk_fma_f16 v10, v3, v10, 0
	v_pk_fma_f16 v12, v3, v12, 0
	s_waitcnt lgkmcnt(1)
	v_pk_fma_f16 v14, v3, v14, 0
	v_pk_fma_f16 v16, v3, v16, 0
	s_waitcnt lgkmcnt(0)
	v_lshrrev_b32_e32 v20, 16, v18
	v_and_b32_e32 v22, 0xffff0000, v10
	v_and_b32_e32 v23, 0xffff0000, v12
	;; [unrolled: 1-line block ×4, first 2 shown]
	v_lshrrev_b32_e32 v21, 16, v19
	v_and_or_b32 v10, 0xffff, v10, v22
	v_and_or_b32 v12, 0xffff, v12, v23
	;; [unrolled: 1-line block ×4, first 2 shown]
	s_delay_alu instid0(VALU_DEP_4) | instskip(NEXT) | instid1(VALU_DEP_4)
	v_pk_fma_f16 v10, v8, v11, v10
	v_pk_fma_f16 v11, v8, v13, v12
	s_delay_alu instid0(VALU_DEP_4) | instskip(NEXT) | instid1(VALU_DEP_4)
	v_pk_fma_f16 v12, v8, v15, v14
	v_pk_fma_f16 v13, v8, v17, v16
	s_delay_alu instid0(VALU_DEP_4) | instskip(NEXT) | instid1(VALU_DEP_4)
	v_lshrrev_b32_e32 v14, 16, v10
	v_lshrrev_b32_e32 v15, 16, v11
	s_delay_alu instid0(VALU_DEP_4) | instskip(NEXT) | instid1(VALU_DEP_4)
	v_lshrrev_b32_e32 v16, 16, v12
	v_lshrrev_b32_e32 v17, 16, v13
	v_cvt_u16_f16_e32 v10, v10
	v_cvt_u16_f16_e32 v11, v11
	;; [unrolled: 1-line block ×8, first 2 shown]
	s_delay_alu instid0(VALU_DEP_4) | instskip(NEXT) | instid1(VALU_DEP_4)
	v_add_f16_e32 v10, v10, v14
	v_add_f16_e32 v12, v12, v16
	s_delay_alu instid0(VALU_DEP_4) | instskip(NEXT) | instid1(VALU_DEP_4)
	v_add_f16_e32 v13, v13, v17
	v_add_f16_e32 v11, v11, v15
	;; [unrolled: 3-line block ×4, first 2 shown]
	s_delay_alu instid0(VALU_DEP_2) | instskip(NEXT) | instid1(VALU_DEP_2)
	v_pack_b32_f16 v11, v12, v13
	v_pack_b32_f16 v10, v10, v14
	ds_store_b64 v9, v[10:11]
	v_add_nc_u32_e32 v9, 8, v9
	s_cbranch_scc0 .LBB5_13
.LBB5_14:                               ;   in Loop: Header=BB5_10 Depth=1
	s_and_not1_b32 vcc_lo, exec_lo, s24
	s_cbranch_vccnz .LBB5_9
; %bb.15:                               ;   in Loop: Header=BB5_10 Depth=1
	v_lshl_add_u32 v9, s27, 1, v6
	s_lshl_b32 s0, s27, 8
	s_mov_b32 s1, s15
	.p2align	6
.LBB5_16:                               ;   Parent Loop BB5_10 Depth=1
                                        ; =>  This Inner Loop Header: Depth=2
	s_add_i32 s27, s2, s0
	s_add_i32 s1, s1, -1
	v_mov_b32_e32 v10, s27
	s_addk_i32 s0, 0x100
	s_cmp_lg_u32 s1, 0
	ds_load_b64 v[10:11], v10
	s_waitcnt lgkmcnt(0)
	v_pk_fma_f16 v10, v3, v10, 0
	s_delay_alu instid0(VALU_DEP_1) | instskip(NEXT) | instid1(VALU_DEP_1)
	v_and_b32_e32 v12, 0xffff0000, v10
	v_and_or_b32 v10, 0xffff, v10, v12
	ds_load_u16 v12, v9
	v_pk_fma_f16 v10, v8, v11, v10
	s_delay_alu instid0(VALU_DEP_1) | instskip(SKIP_1) | instid1(VALU_DEP_2)
	v_lshrrev_b32_e32 v11, 16, v10
	v_cvt_u16_f16_e32 v10, v10
	v_cvt_u16_f16_e32 v11, v11
	s_delay_alu instid0(VALU_DEP_1) | instskip(SKIP_1) | instid1(VALU_DEP_1)
	v_add_f16_e32 v10, v10, v11
	s_waitcnt lgkmcnt(0)
	v_add_f16_e32 v10, v12, v10
	ds_store_b16 v9, v10
	v_add_nc_u32_e32 v9, 2, v9
	s_cbranch_scc1 .LBB5_16
	s_branch .LBB5_9
.LBB5_17:
	s_and_not1_b32 vcc_lo, exec_lo, s22
	s_cbranch_vccnz .LBB5_26
; %bb.18:
	v_mov_b32_e32 v1, 0
	s_mov_b32 s2, 0
	s_branch .LBB5_20
.LBB5_19:                               ;   in Loop: Header=BB5_20 Depth=1
	s_set_inst_prefetch_distance 0x2
	s_or_b32 exec_lo, exec_lo, s3
	s_add_i32 s2, s2, 1
	s_delay_alu instid0(SALU_CYCLE_1)
	s_cmp_eq_u32 s2, s16
	s_cbranch_scc1 .LBB5_26
.LBB5_20:                               ; =>This Loop Header: Depth=1
                                        ;     Child Loop BB5_22 Depth 2
	s_add_i32 s0, s2, s12
	s_mov_b32 s3, 0
	v_mad_u64_u32 v[2:3], null, s0, s18, v[4:5]
	v_mov_b32_e32 v3, v1
	v_lshl_add_u32 v5, s2, 1, v7
	ds_load_u16 v8, v5
	v_lshlrev_b64 v[2:3], 1, v[2:3]
	s_delay_alu instid0(VALU_DEP_1) | instskip(NEXT) | instid1(VALU_DEP_2)
	v_add_co_u32 v0, vcc_lo, s6, v2
	v_add_co_ci_u32_e32 v3, vcc_lo, s7, v3, vcc_lo
	s_delay_alu instid0(VALU_DEP_2)
	v_and_b32_e32 v2, -3, v0
	v_and_b32_e32 v0, 2, v0
	global_load_b32 v6, v[2:3], off
	v_cmp_eq_u64_e32 vcc_lo, 0, v[0:1]
	v_cmp_ne_u32_e64 s0, 0, v0
	s_set_inst_prefetch_distance 0x1
	s_branch .LBB5_22
	.p2align	6
.LBB5_21:                               ;   in Loop: Header=BB5_22 Depth=2
	s_or_b32 exec_lo, exec_lo, s1
	global_atomic_cmpswap_b32 v0, v[2:3], v[5:6], off glc
	s_waitcnt vmcnt(0)
	v_cmp_eq_u32_e64 s1, v6, v0
	v_mov_b32_e32 v6, v0
	s_delay_alu instid0(VALU_DEP_2) | instskip(NEXT) | instid1(SALU_CYCLE_1)
	s_or_b32 s3, s1, s3
	s_and_not1_b32 exec_lo, exec_lo, s3
	s_cbranch_execz .LBB5_19
.LBB5_22:                               ;   Parent Loop BB5_20 Depth=1
                                        ; =>  This Inner Loop Header: Depth=2
	s_waitcnt vmcnt(0)
	v_lshrrev_b32_e32 v0, 16, v6
	s_delay_alu instid0(VALU_DEP_1) | instskip(SKIP_1) | instid1(VALU_DEP_1)
	v_cndmask_b32_e32 v0, v0, v6, vcc_lo
	s_waitcnt lgkmcnt(0)
	v_add_f16_e32 v0, v8, v0
	s_delay_alu instid0(VALU_DEP_1) | instskip(SKIP_1) | instid1(SALU_CYCLE_1)
	v_and_b32_e32 v0, 0xffff, v0
	s_and_saveexec_b32 s1, s0
	s_xor_b32 s1, exec_lo, s1
; %bb.23:                               ;   in Loop: Header=BB5_22 Depth=2
	v_and_b32_e32 v5, 0xffff, v6
	s_delay_alu instid0(VALU_DEP_1)
	v_lshl_or_b32 v5, v0, 16, v5
                                        ; implicit-def: $vgpr0
; %bb.24:                               ;   in Loop: Header=BB5_22 Depth=2
	s_and_not1_saveexec_b32 s1, s1
	s_cbranch_execz .LBB5_21
; %bb.25:                               ;   in Loop: Header=BB5_22 Depth=2
	v_and_or_b32 v5, 0xffff0000, v6, v0
	s_branch .LBB5_21
.LBB5_26:
	s_endpgm
	.section	.rodata,"a",@progbits
	.p2align	6, 0x0
	.amdhsa_kernel _ZN4vllm4gptq32gemm_half_q_half_alt_8bit_kernelEPK7__half2PKjP6__halfPKS6_S5_PKiiiib
		.amdhsa_group_segment_fixed_size 18432
		.amdhsa_private_segment_fixed_size 0
		.amdhsa_kernarg_size 64
		.amdhsa_user_sgpr_count 13
		.amdhsa_user_sgpr_dispatch_ptr 1
		.amdhsa_user_sgpr_queue_ptr 0
		.amdhsa_user_sgpr_kernarg_segment_ptr 1
		.amdhsa_user_sgpr_dispatch_id 0
		.amdhsa_user_sgpr_private_segment_size 0
		.amdhsa_wavefront_size32 1
		.amdhsa_uses_dynamic_stack 0
		.amdhsa_enable_private_segment 0
		.amdhsa_system_sgpr_workgroup_id_x 1
		.amdhsa_system_sgpr_workgroup_id_y 1
		.amdhsa_system_sgpr_workgroup_id_z 1
		.amdhsa_system_sgpr_workgroup_info 0
		.amdhsa_system_vgpr_workitem_id 2
		.amdhsa_next_free_vgpr 26
		.amdhsa_next_free_sgpr 30
		.amdhsa_reserve_vcc 1
		.amdhsa_float_round_mode_32 0
		.amdhsa_float_round_mode_16_64 0
		.amdhsa_float_denorm_mode_32 3
		.amdhsa_float_denorm_mode_16_64 3
		.amdhsa_dx10_clamp 1
		.amdhsa_ieee_mode 1
		.amdhsa_fp16_overflow 0
		.amdhsa_workgroup_processor_mode 1
		.amdhsa_memory_ordered 1
		.amdhsa_forward_progress 0
		.amdhsa_shared_vgpr_count 0
		.amdhsa_exception_fp_ieee_invalid_op 0
		.amdhsa_exception_fp_denorm_src 0
		.amdhsa_exception_fp_ieee_div_zero 0
		.amdhsa_exception_fp_ieee_overflow 0
		.amdhsa_exception_fp_ieee_underflow 0
		.amdhsa_exception_fp_ieee_inexact 0
		.amdhsa_exception_int_div_zero 0
	.end_amdhsa_kernel
	.text
.Lfunc_end5:
	.size	_ZN4vllm4gptq32gemm_half_q_half_alt_8bit_kernelEPK7__half2PKjP6__halfPKS6_S5_PKiiiib, .Lfunc_end5-_ZN4vllm4gptq32gemm_half_q_half_alt_8bit_kernelEPK7__half2PKjP6__halfPKS6_S5_PKiiiib
                                        ; -- End function
	.section	.AMDGPU.csdata,"",@progbits
; Kernel info:
; codeLenInByte = 2652
; NumSgprs: 32
; NumVgprs: 26
; ScratchSize: 0
; MemoryBound: 0
; FloatMode: 240
; IeeeMode: 1
; LDSByteSize: 18432 bytes/workgroup (compile time only)
; SGPRBlocks: 3
; VGPRBlocks: 3
; NumSGPRsForWavesPerEU: 32
; NumVGPRsForWavesPerEU: 26
; Occupancy: 16
; WaveLimiterHint : 1
; COMPUTE_PGM_RSRC2:SCRATCH_EN: 0
; COMPUTE_PGM_RSRC2:USER_SGPR: 13
; COMPUTE_PGM_RSRC2:TRAP_HANDLER: 0
; COMPUTE_PGM_RSRC2:TGID_X_EN: 1
; COMPUTE_PGM_RSRC2:TGID_Y_EN: 1
; COMPUTE_PGM_RSRC2:TGID_Z_EN: 1
; COMPUTE_PGM_RSRC2:TIDIG_COMP_CNT: 2
	.text
	.protected	_ZN4vllm4gptq28reconstruct_gptq_3bit_kernelEPKjPK6__halfS2_PKiiiibPS3_ ; -- Begin function _ZN4vllm4gptq28reconstruct_gptq_3bit_kernelEPKjPK6__halfS2_PKiiiibPS3_
	.globl	_ZN4vllm4gptq28reconstruct_gptq_3bit_kernelEPKjPK6__halfS2_PKiiiibPS3_
	.p2align	8
	.type	_ZN4vllm4gptq28reconstruct_gptq_3bit_kernelEPKjPK6__halfS2_PKiiiibPS3_,@function
_ZN4vllm4gptq28reconstruct_gptq_3bit_kernelEPKjPK6__halfS2_PKiiiibPS3_: ; @_ZN4vllm4gptq28reconstruct_gptq_3bit_kernelEPKjPK6__halfS2_PKiiiibPS3_
; %bb.0:
	s_load_b32 s12, s[0:1], 0x24
	v_lshl_add_u32 v1, s14, 7, v0
	s_mov_b32 s2, exec_lo
	s_waitcnt lgkmcnt(0)
	s_delay_alu instid0(VALU_DEP_1)
	v_cmpx_gt_u32_e64 s12, v1
	s_cbranch_execz .LBB6_175
; %bb.1:
	s_clause 0x1
	s_load_b256 s[4:11], s[0:1], 0x0
	s_load_b64 s[16:17], s[0:1], 0x30
	s_lshl_b32 s18, s15, 5
	s_mov_b32 s19, 0
	s_mul_i32 s14, s12, 3
	s_lshl_b64 s[2:3], s[18:19], 2
	v_mad_u64_u32 v[2:3], null, s14, s15, v[1:2]
	v_lshl_add_u32 v8, v1, 1, v1
	v_mov_b32_e32 v3, 0
	s_delay_alu instid0(VALU_DEP_2) | instskip(NEXT) | instid1(VALU_DEP_2)
	v_ashrrev_i32_e32 v6, 31, v8
	v_lshlrev_b64 v[4:5], 2, v[2:3]
	v_add_nc_u32_e32 v2, s12, v2
	s_delay_alu instid0(VALU_DEP_3) | instskip(NEXT) | instid1(VALU_DEP_2)
	v_lshrrev_b32_e32 v9, 27, v6
	v_lshlrev_b64 v[6:7], 2, v[2:3]
	s_waitcnt lgkmcnt(0)
	s_add_u32 s10, s10, s2
	s_addc_u32 s11, s11, s3
	v_add_nc_u32_e32 v2, s12, v2
	s_load_b32 s2, s[10:11], 0x0
	v_add_nc_u32_e32 v10, v8, v9
	v_add_co_u32 v4, vcc_lo, s4, v4
	v_add_co_ci_u32_e32 v5, vcc_lo, s5, v5, vcc_lo
	s_delay_alu instid0(VALU_DEP_3)
	v_ashrrev_i32_e32 v11, 5, v10
	v_add_co_u32 v6, vcc_lo, s4, v6
	v_add_co_ci_u32_e32 v7, vcc_lo, s5, v7, vcc_lo
	s_waitcnt lgkmcnt(0)
	s_mul_i32 s3, s14, s2
	v_mad_u64_u32 v[8:9], null, s2, s12, v[1:2]
	s_ashr_i32 s2, s3, 31
	v_lshlrev_b64 v[2:3], 2, v[2:3]
	s_lshr_b32 s2, s2, 27
	s_delay_alu instid0(SALU_CYCLE_1) | instskip(NEXT) | instid1(SALU_CYCLE_1)
	s_add_i32 s3, s3, s2
	s_ashr_i32 s2, s3, 5
	s_delay_alu instid0(VALU_DEP_2) | instskip(SKIP_3) | instid1(VALU_DEP_3)
	v_ashrrev_i32_e32 v9, 31, v8
	v_add_nc_u32_e32 v12, s2, v11
	v_add_co_u32 v14, vcc_lo, s4, v2
	v_add_co_ci_u32_e32 v15, vcc_lo, s5, v3, vcc_lo
	v_ashrrev_i32_e32 v13, 31, v12
	v_lshlrev_b64 v[8:9], 1, v[8:9]
	s_mov_b32 s4, 0
	s_mov_b32 s5, exec_lo
	s_delay_alu instid0(VALU_DEP_2) | instskip(NEXT) | instid1(VALU_DEP_2)
	v_lshlrev_b64 v[2:3], 2, v[12:13]
	v_add_co_u32 v8, vcc_lo, s6, v8
	s_delay_alu instid0(VALU_DEP_3) | instskip(NEXT) | instid1(VALU_DEP_3)
	v_add_co_ci_u32_e32 v9, vcc_lo, s7, v9, vcc_lo
	v_add_co_u32 v2, vcc_lo, s8, v2
	s_delay_alu instid0(VALU_DEP_4)
	v_add_co_ci_u32_e32 v3, vcc_lo, s9, v3, vcc_lo
	s_clause 0x2
	global_load_b32 v13, v[4:5], off
	global_load_b32 v12, v[6:7], off
	;; [unrolled: 1-line block ×3, first 2 shown]
	global_load_u16 v4, v[8:9], off
	global_load_b32 v5, v[2:3], off
	v_and_b32_e32 v9, 31, v0
                                        ; implicit-def: $vgpr0
	s_delay_alu instid0(VALU_DEP_1)
	v_cmp_lt_u32_e64 s2, 9, v9
	v_cmp_lt_u32_e32 vcc_lo, 20, v9
	v_cmpx_lt_i32_e32 20, v9
	s_xor_b32 s5, exec_lo, s5
	s_cbranch_execz .LBB6_5
; %bb.2:
	s_mov_b32 s4, -1
	s_mov_b32 s13, exec_lo
                                        ; implicit-def: $vgpr0
	v_cmpx_eq_u32_e32 21, v9
	s_cbranch_execz .LBB6_4
; %bb.3:
	global_load_b32 v0, v[2:3], off offset:4
	s_xor_b32 s4, exec_lo, -1
	s_waitcnt vmcnt(0)
	v_alignbit_b32 v0, v0, v5, 31
	s_delay_alu instid0(VALU_DEP_1)
	v_and_b32_e32 v0, 7, v0
.LBB6_4:
	s_or_b32 exec_lo, exec_lo, s13
	s_delay_alu instid0(SALU_CYCLE_1)
	s_and_b32 s4, s4, exec_lo
.LBB6_5:
	s_and_not1_saveexec_b32 s5, s5
; %bb.6:
	v_cmp_ne_u32_e64 s3, 10, v9
	s_and_not1_b32 s4, s4, exec_lo
	s_mov_b32 s19, exec_lo
                                        ; implicit-def: $vgpr0
	s_delay_alu instid0(VALU_DEP_1) | instskip(NEXT) | instid1(SALU_CYCLE_1)
	s_and_b32 s3, s3, exec_lo
	s_or_b32 s4, s4, s3
; %bb.7:
	s_or_b32 exec_lo, exec_lo, s5
	v_mul_u32_u24_e32 v8, 3, v9
	v_mad_u32_u24 v10, v9, 3, 0xffffffc0
	v_mad_u32_u24 v7, v9, 3, 0xffffffe0
	s_and_saveexec_b32 s3, s4
	s_delay_alu instid0(SALU_CYCLE_1)
	s_xor_b32 s3, exec_lo, s3
	s_cbranch_execz .LBB6_17
; %bb.8:
                                        ; implicit-def: $vgpr0
	s_and_saveexec_b32 s4, s2
	s_delay_alu instid0(SALU_CYCLE_1)
	s_xor_b32 s4, exec_lo, s4
	s_cbranch_execz .LBB6_14
; %bb.9:
                                        ; implicit-def: $vgpr0
	s_and_saveexec_b32 s5, vcc_lo
	s_delay_alu instid0(SALU_CYCLE_1)
	s_xor_b32 s5, exec_lo, s5
	s_cbranch_execz .LBB6_11
; %bb.10:
	s_waitcnt vmcnt(0)
	v_bfe_u32 v0, v5, v10, 3
.LBB6_11:
	s_and_not1_saveexec_b32 s5, s5
	s_cbranch_execz .LBB6_13
; %bb.12:
	s_waitcnt vmcnt(0)
	v_bfe_u32 v0, v5, v7, 3
.LBB6_13:
	s_or_b32 exec_lo, exec_lo, s5
.LBB6_14:
	s_and_not1_saveexec_b32 s4, s4
	s_cbranch_execz .LBB6_16
; %bb.15:
	s_waitcnt vmcnt(0)
	v_bfe_u32 v0, v5, v8, 3
.LBB6_16:
	s_or_b32 exec_lo, exec_lo, s4
	s_delay_alu instid0(SALU_CYCLE_1)
	s_and_not1_b32 s19, s19, exec_lo
.LBB6_17:
	s_or_b32 exec_lo, exec_lo, s3
	s_and_saveexec_b32 s3, s19
	s_cbranch_execz .LBB6_19
; %bb.18:
	global_load_b32 v0, v[2:3], off offset:4
	s_waitcnt vmcnt(0)
	v_alignbit_b32 v0, v0, v5, 30
	s_delay_alu instid0(VALU_DEP_1)
	v_and_b32_e32 v0, 7, v0
.LBB6_19:
	s_or_b32 exec_lo, exec_lo, s3
	s_load_b32 s0, s[0:1], 0x2c
	v_mad_u64_u32 v[2:3], null, s18, s12, v[1:2]
	s_waitcnt vmcnt(4)
	v_and_b32_e32 v3, 7, v13
	s_mov_b32 s5, exec_lo
	s_waitcnt lgkmcnt(0)
	s_and_b32 s1, s0, 1
	s_delay_alu instid0(SALU_CYCLE_1) | instskip(NEXT) | instid1(SALU_CYCLE_1)
	s_add_i32 s1, s1, -1
	v_sub_nc_u32_e32 v0, s1, v0
	s_delay_alu instid0(VALU_DEP_1) | instskip(SKIP_1) | instid1(VALU_DEP_2)
	v_add_nc_u32_e32 v0, v0, v3
	v_ashrrev_i32_e32 v3, 31, v2
	v_cvt_f32_i32_e32 v0, v0
	s_delay_alu instid0(VALU_DEP_2) | instskip(NEXT) | instid1(VALU_DEP_2)
	v_lshlrev_b64 v[2:3], 1, v[2:3]
	v_cvt_f16_f32_e32 v0, v0
	s_delay_alu instid0(VALU_DEP_2) | instskip(NEXT) | instid1(VALU_DEP_1)
	v_add_co_u32 v2, s0, s16, v2
	v_add_co_ci_u32_e64 v3, s0, s17, v3, s0
	s_load_b32 s0, s[10:11], 0x4
	s_waitcnt vmcnt(1)
	v_mul_f16_e32 v0, v4, v0
	global_store_b16 v[2:3], v0, off
	s_waitcnt lgkmcnt(0)
	s_mul_i32 s3, s14, s0
	s_waitcnt vmcnt(0)
	v_mad_u64_u32 v[4:5], null, s0, s12, v[1:2]
	s_ashr_i32 s4, s3, 31
	s_delay_alu instid0(SALU_CYCLE_1) | instskip(SKIP_2) | instid1(SALU_CYCLE_1)
	s_lshr_b32 s0, s4, 27
	s_mov_b32 s4, 0
	s_add_i32 s3, s3, s0
	s_ashr_i32 s0, s3, 5
	s_delay_alu instid0(VALU_DEP_1) | instskip(SKIP_2) | instid1(VALU_DEP_2)
	v_ashrrev_i32_e32 v5, 31, v4
	v_add_nc_u32_e32 v14, s0, v11
	s_mov_b32 s3, 0
	v_lshlrev_b64 v[4:5], 1, v[4:5]
	s_delay_alu instid0(VALU_DEP_2) | instskip(NEXT) | instid1(VALU_DEP_2)
	v_ashrrev_i32_e32 v15, 31, v14
	v_add_co_u32 v16, s0, s6, v4
	s_delay_alu instid0(VALU_DEP_2) | instskip(NEXT) | instid1(VALU_DEP_4)
	v_lshlrev_b64 v[14:15], 2, v[14:15]
	v_add_co_ci_u32_e64 v17, s0, s7, v5, s0
	s_delay_alu instid0(VALU_DEP_2) | instskip(NEXT) | instid1(VALU_DEP_1)
	v_add_co_u32 v4, s0, s8, v14
	v_add_co_ci_u32_e64 v5, s0, s9, v15, s0
	global_load_u16 v0, v[16:17], off
	global_load_b32 v14, v[4:5], off
                                        ; implicit-def: $vgpr15
	v_cmpx_lt_i32_e32 20, v9
	s_xor_b32 s5, exec_lo, s5
	s_cbranch_execnz .LBB6_176
; %bb.20:
	s_and_not1_saveexec_b32 s5, s5
	s_cbranch_execnz .LBB6_179
.LBB6_21:
	s_or_b32 exec_lo, exec_lo, s5
	s_and_saveexec_b32 s0, s4
	s_delay_alu instid0(SALU_CYCLE_1)
	s_xor_b32 s0, exec_lo, s0
	s_cbranch_execnz .LBB6_180
.LBB6_22:
	s_or_b32 exec_lo, exec_lo, s0
	s_and_saveexec_b32 s0, s3
	s_cbranch_execz .LBB6_24
.LBB6_23:
	global_load_b32 v4, v[4:5], off offset:4
	s_waitcnt vmcnt(0)
	v_alignbit_b32 v4, v4, v14, 30
	s_delay_alu instid0(VALU_DEP_1)
	v_and_b32_e32 v15, 7, v4
.LBB6_24:
	s_or_b32 exec_lo, exec_lo, s0
	s_ashr_i32 s13, s12, 31
	v_bfe_u32 v4, v13, 3, 3
	s_lshl_b64 s[4:5], s[12:13], 1
	v_sub_nc_u32_e32 v5, s1, v15
	v_add_co_u32 v2, s0, v2, s4
	s_delay_alu instid0(VALU_DEP_1) | instskip(SKIP_1) | instid1(VALU_DEP_3)
	v_add_co_ci_u32_e64 v3, s0, s5, v3, s0
	s_load_b32 s0, s[10:11], 0x8
	v_add_nc_u32_e32 v4, v5, v4
	s_mov_b32 s15, exec_lo
	s_delay_alu instid0(VALU_DEP_1) | instskip(NEXT) | instid1(VALU_DEP_1)
	v_cvt_f32_i32_e32 v4, v4
	v_cvt_f16_f32_e32 v4, v4
	s_waitcnt vmcnt(1)
	s_delay_alu instid0(VALU_DEP_1)
	v_mul_f16_e32 v0, v0, v4
	s_waitcnt lgkmcnt(0)
	s_mul_i32 s3, s14, s0
	v_mad_u64_u32 v[4:5], null, s0, s12, v[1:2]
	s_ashr_i32 s13, s3, 31
	global_store_b16 v[2:3], v0, off
	s_lshr_b32 s0, s13, 27
	s_mov_b32 s13, 0
	s_add_i32 s3, s3, s0
	s_delay_alu instid0(SALU_CYCLE_1) | instskip(SKIP_4) | instid1(VALU_DEP_2)
	s_ashr_i32 s0, s3, 5
	v_ashrrev_i32_e32 v5, 31, v4
	s_waitcnt vmcnt(0)
	v_add_nc_u32_e32 v14, s0, v11
	s_mov_b32 s3, 0
	v_lshlrev_b64 v[4:5], 1, v[4:5]
	s_delay_alu instid0(VALU_DEP_2) | instskip(NEXT) | instid1(VALU_DEP_2)
	v_ashrrev_i32_e32 v15, 31, v14
	v_add_co_u32 v16, s0, s6, v4
	s_delay_alu instid0(VALU_DEP_2) | instskip(NEXT) | instid1(VALU_DEP_4)
	v_lshlrev_b64 v[14:15], 2, v[14:15]
	v_add_co_ci_u32_e64 v17, s0, s7, v5, s0
	s_delay_alu instid0(VALU_DEP_2) | instskip(NEXT) | instid1(VALU_DEP_1)
	v_add_co_u32 v4, s0, s8, v14
	v_add_co_ci_u32_e64 v5, s0, s9, v15, s0
	global_load_u16 v0, v[16:17], off
	global_load_b32 v14, v[4:5], off
                                        ; implicit-def: $vgpr15
	v_cmpx_lt_i32_e32 20, v9
	s_xor_b32 s15, exec_lo, s15
	s_cbranch_execnz .LBB6_189
; %bb.25:
	s_and_not1_saveexec_b32 s15, s15
	s_cbranch_execnz .LBB6_192
.LBB6_26:
	s_or_b32 exec_lo, exec_lo, s15
	s_and_saveexec_b32 s0, s13
	s_delay_alu instid0(SALU_CYCLE_1)
	s_xor_b32 s0, exec_lo, s0
	s_cbranch_execnz .LBB6_193
.LBB6_27:
	s_or_b32 exec_lo, exec_lo, s0
	s_and_saveexec_b32 s0, s3
	s_cbranch_execz .LBB6_29
.LBB6_28:
	global_load_b32 v4, v[4:5], off offset:4
	s_waitcnt vmcnt(0)
	v_alignbit_b32 v4, v4, v14, 30
	s_delay_alu instid0(VALU_DEP_1)
	v_and_b32_e32 v15, 7, v4
.LBB6_29:
	s_or_b32 exec_lo, exec_lo, s0
	v_add_co_u32 v2, s0, v2, s4
	s_delay_alu instid0(VALU_DEP_1) | instskip(SKIP_4) | instid1(VALU_DEP_1)
	v_add_co_ci_u32_e64 v3, s0, s5, v3, s0
	s_load_b32 s0, s[10:11], 0xc
	v_bfe_u32 v4, v13, 6, 3
	v_sub_nc_u32_e32 v5, s1, v15
	s_mov_b32 s15, exec_lo
	v_add_nc_u32_e32 v4, v5, v4
	s_delay_alu instid0(VALU_DEP_1) | instskip(NEXT) | instid1(VALU_DEP_1)
	v_cvt_f32_i32_e32 v4, v4
	v_cvt_f16_f32_e32 v4, v4
	s_waitcnt lgkmcnt(0)
	s_mul_i32 s3, s14, s0
	s_delay_alu instid0(SALU_CYCLE_1)
	s_ashr_i32 s13, s3, 31
	s_waitcnt vmcnt(1)
	v_mul_f16_e32 v0, v0, v4
	v_mad_u64_u32 v[4:5], null, s0, s12, v[1:2]
	s_lshr_b32 s0, s13, 27
	s_mov_b32 s13, 0
	s_add_i32 s3, s3, s0
	global_store_b16 v[2:3], v0, off
	s_ashr_i32 s0, s3, 5
	s_mov_b32 s3, 0
	s_waitcnt vmcnt(0)
	v_add_nc_u32_e32 v14, s0, v11
	v_ashrrev_i32_e32 v5, 31, v4
	s_delay_alu instid0(VALU_DEP_2) | instskip(NEXT) | instid1(VALU_DEP_2)
	v_ashrrev_i32_e32 v15, 31, v14
	v_lshlrev_b64 v[4:5], 1, v[4:5]
	s_delay_alu instid0(VALU_DEP_2) | instskip(NEXT) | instid1(VALU_DEP_2)
	v_lshlrev_b64 v[14:15], 2, v[14:15]
	v_add_co_u32 v16, s0, s6, v4
	s_delay_alu instid0(VALU_DEP_1) | instskip(NEXT) | instid1(VALU_DEP_3)
	v_add_co_ci_u32_e64 v17, s0, s7, v5, s0
	v_add_co_u32 v4, s0, s8, v14
	s_delay_alu instid0(VALU_DEP_1)
	v_add_co_ci_u32_e64 v5, s0, s9, v15, s0
	global_load_u16 v0, v[16:17], off
	global_load_b32 v14, v[4:5], off
                                        ; implicit-def: $vgpr15
	v_cmpx_lt_i32_e32 20, v9
	s_xor_b32 s15, exec_lo, s15
	s_cbranch_execnz .LBB6_202
; %bb.30:
	s_and_not1_saveexec_b32 s15, s15
	s_cbranch_execnz .LBB6_205
.LBB6_31:
	s_or_b32 exec_lo, exec_lo, s15
	s_and_saveexec_b32 s0, s13
	s_delay_alu instid0(SALU_CYCLE_1)
	s_xor_b32 s0, exec_lo, s0
	s_cbranch_execnz .LBB6_206
.LBB6_32:
	s_or_b32 exec_lo, exec_lo, s0
	s_and_saveexec_b32 s0, s3
	s_cbranch_execz .LBB6_34
.LBB6_33:
	global_load_b32 v4, v[4:5], off offset:4
	s_waitcnt vmcnt(0)
	v_alignbit_b32 v4, v4, v14, 30
	s_delay_alu instid0(VALU_DEP_1)
	v_and_b32_e32 v15, 7, v4
.LBB6_34:
	s_or_b32 exec_lo, exec_lo, s0
	v_add_co_u32 v2, s0, v2, s4
	s_delay_alu instid0(VALU_DEP_1) | instskip(SKIP_4) | instid1(VALU_DEP_1)
	v_add_co_ci_u32_e64 v3, s0, s5, v3, s0
	s_load_b32 s0, s[10:11], 0x10
	v_bfe_u32 v4, v13, 9, 3
	v_sub_nc_u32_e32 v5, s1, v15
	s_mov_b32 s15, exec_lo
	v_add_nc_u32_e32 v4, v5, v4
	s_delay_alu instid0(VALU_DEP_1) | instskip(NEXT) | instid1(VALU_DEP_1)
	v_cvt_f32_i32_e32 v4, v4
	v_cvt_f16_f32_e32 v4, v4
	s_waitcnt lgkmcnt(0)
	s_mul_i32 s3, s14, s0
	s_delay_alu instid0(SALU_CYCLE_1)
	s_ashr_i32 s13, s3, 31
	s_waitcnt vmcnt(1)
	v_mul_f16_e32 v0, v0, v4
	v_mad_u64_u32 v[4:5], null, s0, s12, v[1:2]
	s_lshr_b32 s0, s13, 27
	s_mov_b32 s13, 0
	s_add_i32 s3, s3, s0
	global_store_b16 v[2:3], v0, off
	s_ashr_i32 s0, s3, 5
	s_mov_b32 s3, 0
	s_waitcnt vmcnt(0)
	v_add_nc_u32_e32 v14, s0, v11
	v_ashrrev_i32_e32 v5, 31, v4
	s_delay_alu instid0(VALU_DEP_2) | instskip(NEXT) | instid1(VALU_DEP_2)
	v_ashrrev_i32_e32 v15, 31, v14
	v_lshlrev_b64 v[4:5], 1, v[4:5]
	s_delay_alu instid0(VALU_DEP_2) | instskip(NEXT) | instid1(VALU_DEP_2)
	v_lshlrev_b64 v[14:15], 2, v[14:15]
	v_add_co_u32 v16, s0, s6, v4
	s_delay_alu instid0(VALU_DEP_1) | instskip(NEXT) | instid1(VALU_DEP_3)
	v_add_co_ci_u32_e64 v17, s0, s7, v5, s0
	v_add_co_u32 v4, s0, s8, v14
	s_delay_alu instid0(VALU_DEP_1)
	v_add_co_ci_u32_e64 v5, s0, s9, v15, s0
	global_load_u16 v0, v[16:17], off
	global_load_b32 v14, v[4:5], off
                                        ; implicit-def: $vgpr15
	v_cmpx_lt_i32_e32 20, v9
	s_xor_b32 s15, exec_lo, s15
	s_cbranch_execnz .LBB6_215
; %bb.35:
	s_and_not1_saveexec_b32 s15, s15
	s_cbranch_execnz .LBB6_218
.LBB6_36:
	s_or_b32 exec_lo, exec_lo, s15
	s_and_saveexec_b32 s0, s13
	s_delay_alu instid0(SALU_CYCLE_1)
	s_xor_b32 s0, exec_lo, s0
	s_cbranch_execnz .LBB6_219
.LBB6_37:
	s_or_b32 exec_lo, exec_lo, s0
	s_and_saveexec_b32 s0, s3
	s_cbranch_execz .LBB6_39
.LBB6_38:
	global_load_b32 v4, v[4:5], off offset:4
	s_waitcnt vmcnt(0)
	v_alignbit_b32 v4, v4, v14, 30
	s_delay_alu instid0(VALU_DEP_1)
	v_and_b32_e32 v15, 7, v4
.LBB6_39:
	s_or_b32 exec_lo, exec_lo, s0
	v_add_co_u32 v2, s0, v2, s4
	s_delay_alu instid0(VALU_DEP_1) | instskip(SKIP_4) | instid1(VALU_DEP_1)
	v_add_co_ci_u32_e64 v3, s0, s5, v3, s0
	s_load_b32 s0, s[10:11], 0x14
	v_bfe_u32 v4, v13, 12, 3
	v_sub_nc_u32_e32 v5, s1, v15
	s_mov_b32 s15, exec_lo
	v_add_nc_u32_e32 v4, v5, v4
	s_delay_alu instid0(VALU_DEP_1) | instskip(NEXT) | instid1(VALU_DEP_1)
	v_cvt_f32_i32_e32 v4, v4
	v_cvt_f16_f32_e32 v4, v4
	s_waitcnt lgkmcnt(0)
	s_mul_i32 s3, s14, s0
	s_delay_alu instid0(SALU_CYCLE_1)
	s_ashr_i32 s13, s3, 31
	s_waitcnt vmcnt(1)
	v_mul_f16_e32 v0, v0, v4
	v_mad_u64_u32 v[4:5], null, s0, s12, v[1:2]
	s_lshr_b32 s0, s13, 27
	s_mov_b32 s13, 0
	s_add_i32 s3, s3, s0
	global_store_b16 v[2:3], v0, off
	s_ashr_i32 s0, s3, 5
	s_mov_b32 s3, 0
	s_waitcnt vmcnt(0)
	v_add_nc_u32_e32 v14, s0, v11
	v_ashrrev_i32_e32 v5, 31, v4
	s_delay_alu instid0(VALU_DEP_2) | instskip(NEXT) | instid1(VALU_DEP_2)
	v_ashrrev_i32_e32 v15, 31, v14
	v_lshlrev_b64 v[4:5], 1, v[4:5]
	s_delay_alu instid0(VALU_DEP_2) | instskip(NEXT) | instid1(VALU_DEP_2)
	v_lshlrev_b64 v[14:15], 2, v[14:15]
	v_add_co_u32 v16, s0, s6, v4
	s_delay_alu instid0(VALU_DEP_1) | instskip(NEXT) | instid1(VALU_DEP_3)
	v_add_co_ci_u32_e64 v17, s0, s7, v5, s0
	v_add_co_u32 v4, s0, s8, v14
	s_delay_alu instid0(VALU_DEP_1)
	v_add_co_ci_u32_e64 v5, s0, s9, v15, s0
	global_load_u16 v0, v[16:17], off
	global_load_b32 v14, v[4:5], off
                                        ; implicit-def: $vgpr15
	v_cmpx_lt_i32_e32 20, v9
	s_xor_b32 s15, exec_lo, s15
	s_cbranch_execnz .LBB6_228
; %bb.40:
	s_and_not1_saveexec_b32 s15, s15
	s_cbranch_execnz .LBB6_231
.LBB6_41:
	s_or_b32 exec_lo, exec_lo, s15
	s_and_saveexec_b32 s0, s13
	s_delay_alu instid0(SALU_CYCLE_1)
	s_xor_b32 s0, exec_lo, s0
	s_cbranch_execnz .LBB6_232
.LBB6_42:
	s_or_b32 exec_lo, exec_lo, s0
	s_and_saveexec_b32 s0, s3
	s_cbranch_execz .LBB6_44
.LBB6_43:
	global_load_b32 v4, v[4:5], off offset:4
	s_waitcnt vmcnt(0)
	v_alignbit_b32 v4, v4, v14, 30
	s_delay_alu instid0(VALU_DEP_1)
	v_and_b32_e32 v15, 7, v4
.LBB6_44:
	s_or_b32 exec_lo, exec_lo, s0
	v_add_co_u32 v2, s0, v2, s4
	s_delay_alu instid0(VALU_DEP_1) | instskip(SKIP_4) | instid1(VALU_DEP_1)
	v_add_co_ci_u32_e64 v3, s0, s5, v3, s0
	s_load_b32 s0, s[10:11], 0x18
	v_bfe_u32 v4, v13, 15, 3
	v_sub_nc_u32_e32 v5, s1, v15
	s_mov_b32 s15, exec_lo
	v_add_nc_u32_e32 v4, v5, v4
	s_delay_alu instid0(VALU_DEP_1) | instskip(NEXT) | instid1(VALU_DEP_1)
	v_cvt_f32_i32_e32 v4, v4
	v_cvt_f16_f32_e32 v4, v4
	s_waitcnt lgkmcnt(0)
	s_mul_i32 s3, s14, s0
	s_delay_alu instid0(SALU_CYCLE_1)
	s_ashr_i32 s13, s3, 31
	s_waitcnt vmcnt(1)
	v_mul_f16_e32 v0, v0, v4
	v_mad_u64_u32 v[4:5], null, s0, s12, v[1:2]
	s_lshr_b32 s0, s13, 27
	s_mov_b32 s13, 0
	s_add_i32 s3, s3, s0
	global_store_b16 v[2:3], v0, off
	s_ashr_i32 s0, s3, 5
	s_mov_b32 s3, 0
	s_waitcnt vmcnt(0)
	v_add_nc_u32_e32 v14, s0, v11
	v_ashrrev_i32_e32 v5, 31, v4
	s_delay_alu instid0(VALU_DEP_2) | instskip(NEXT) | instid1(VALU_DEP_2)
	v_ashrrev_i32_e32 v15, 31, v14
	v_lshlrev_b64 v[4:5], 1, v[4:5]
	s_delay_alu instid0(VALU_DEP_2) | instskip(NEXT) | instid1(VALU_DEP_2)
	v_lshlrev_b64 v[14:15], 2, v[14:15]
	v_add_co_u32 v16, s0, s6, v4
	s_delay_alu instid0(VALU_DEP_1) | instskip(NEXT) | instid1(VALU_DEP_3)
	v_add_co_ci_u32_e64 v17, s0, s7, v5, s0
	v_add_co_u32 v4, s0, s8, v14
	s_delay_alu instid0(VALU_DEP_1)
	v_add_co_ci_u32_e64 v5, s0, s9, v15, s0
	global_load_u16 v0, v[16:17], off
	global_load_b32 v14, v[4:5], off
                                        ; implicit-def: $vgpr15
	v_cmpx_lt_i32_e32 20, v9
	s_xor_b32 s15, exec_lo, s15
	s_cbranch_execnz .LBB6_241
; %bb.45:
	s_and_not1_saveexec_b32 s15, s15
	s_cbranch_execnz .LBB6_244
.LBB6_46:
	s_or_b32 exec_lo, exec_lo, s15
	s_and_saveexec_b32 s0, s13
	s_delay_alu instid0(SALU_CYCLE_1)
	s_xor_b32 s0, exec_lo, s0
	s_cbranch_execnz .LBB6_245
.LBB6_47:
	s_or_b32 exec_lo, exec_lo, s0
	s_and_saveexec_b32 s0, s3
	s_cbranch_execz .LBB6_49
.LBB6_48:
	global_load_b32 v4, v[4:5], off offset:4
	s_waitcnt vmcnt(0)
	v_alignbit_b32 v4, v4, v14, 30
	s_delay_alu instid0(VALU_DEP_1)
	v_and_b32_e32 v15, 7, v4
.LBB6_49:
	s_or_b32 exec_lo, exec_lo, s0
	v_add_co_u32 v2, s0, v2, s4
	s_delay_alu instid0(VALU_DEP_1) | instskip(SKIP_4) | instid1(VALU_DEP_1)
	v_add_co_ci_u32_e64 v3, s0, s5, v3, s0
	s_load_b32 s0, s[10:11], 0x1c
	v_bfe_u32 v4, v13, 18, 3
	v_sub_nc_u32_e32 v5, s1, v15
	s_mov_b32 s15, exec_lo
	v_add_nc_u32_e32 v4, v5, v4
	s_delay_alu instid0(VALU_DEP_1) | instskip(NEXT) | instid1(VALU_DEP_1)
	v_cvt_f32_i32_e32 v4, v4
	v_cvt_f16_f32_e32 v4, v4
	s_waitcnt lgkmcnt(0)
	s_mul_i32 s3, s14, s0
	s_delay_alu instid0(SALU_CYCLE_1)
	s_ashr_i32 s13, s3, 31
	s_waitcnt vmcnt(1)
	v_mul_f16_e32 v0, v0, v4
	v_mad_u64_u32 v[4:5], null, s0, s12, v[1:2]
	s_lshr_b32 s0, s13, 27
	s_mov_b32 s13, 0
	s_add_i32 s3, s3, s0
	global_store_b16 v[2:3], v0, off
	s_ashr_i32 s0, s3, 5
	s_mov_b32 s3, 0
	s_waitcnt vmcnt(0)
	v_add_nc_u32_e32 v14, s0, v11
	v_ashrrev_i32_e32 v5, 31, v4
	s_delay_alu instid0(VALU_DEP_2) | instskip(NEXT) | instid1(VALU_DEP_2)
	v_ashrrev_i32_e32 v15, 31, v14
	v_lshlrev_b64 v[4:5], 1, v[4:5]
	s_delay_alu instid0(VALU_DEP_2) | instskip(NEXT) | instid1(VALU_DEP_2)
	v_lshlrev_b64 v[14:15], 2, v[14:15]
	v_add_co_u32 v16, s0, s6, v4
	s_delay_alu instid0(VALU_DEP_1) | instskip(NEXT) | instid1(VALU_DEP_3)
	v_add_co_ci_u32_e64 v17, s0, s7, v5, s0
	v_add_co_u32 v4, s0, s8, v14
	s_delay_alu instid0(VALU_DEP_1)
	v_add_co_ci_u32_e64 v5, s0, s9, v15, s0
	global_load_u16 v0, v[16:17], off
	global_load_b32 v14, v[4:5], off
                                        ; implicit-def: $vgpr15
	v_cmpx_lt_i32_e32 20, v9
	s_xor_b32 s15, exec_lo, s15
	s_cbranch_execnz .LBB6_254
; %bb.50:
	s_and_not1_saveexec_b32 s15, s15
	s_cbranch_execnz .LBB6_257
.LBB6_51:
	s_or_b32 exec_lo, exec_lo, s15
	s_and_saveexec_b32 s0, s13
	s_delay_alu instid0(SALU_CYCLE_1)
	s_xor_b32 s0, exec_lo, s0
	s_cbranch_execnz .LBB6_258
.LBB6_52:
	s_or_b32 exec_lo, exec_lo, s0
	s_and_saveexec_b32 s0, s3
	s_cbranch_execz .LBB6_54
.LBB6_53:
	global_load_b32 v4, v[4:5], off offset:4
	s_waitcnt vmcnt(0)
	v_alignbit_b32 v4, v4, v14, 30
	s_delay_alu instid0(VALU_DEP_1)
	v_and_b32_e32 v15, 7, v4
.LBB6_54:
	s_or_b32 exec_lo, exec_lo, s0
	v_add_co_u32 v2, s0, v2, s4
	s_delay_alu instid0(VALU_DEP_1) | instskip(SKIP_4) | instid1(VALU_DEP_1)
	v_add_co_ci_u32_e64 v3, s0, s5, v3, s0
	s_load_b32 s0, s[10:11], 0x20
	v_bfe_u32 v4, v13, 21, 3
	v_sub_nc_u32_e32 v5, s1, v15
	s_mov_b32 s15, exec_lo
	v_add_nc_u32_e32 v4, v5, v4
	s_delay_alu instid0(VALU_DEP_1) | instskip(NEXT) | instid1(VALU_DEP_1)
	v_cvt_f32_i32_e32 v4, v4
	v_cvt_f16_f32_e32 v4, v4
	s_waitcnt lgkmcnt(0)
	s_mul_i32 s3, s14, s0
	s_delay_alu instid0(SALU_CYCLE_1)
	s_ashr_i32 s13, s3, 31
	s_waitcnt vmcnt(1)
	v_mul_f16_e32 v0, v0, v4
	v_mad_u64_u32 v[4:5], null, s0, s12, v[1:2]
	s_lshr_b32 s0, s13, 27
	s_mov_b32 s13, 0
	s_add_i32 s3, s3, s0
	global_store_b16 v[2:3], v0, off
	s_ashr_i32 s0, s3, 5
	s_mov_b32 s3, 0
	s_waitcnt vmcnt(0)
	v_add_nc_u32_e32 v14, s0, v11
	v_ashrrev_i32_e32 v5, 31, v4
	s_delay_alu instid0(VALU_DEP_2) | instskip(NEXT) | instid1(VALU_DEP_2)
	v_ashrrev_i32_e32 v15, 31, v14
	v_lshlrev_b64 v[4:5], 1, v[4:5]
	s_delay_alu instid0(VALU_DEP_2) | instskip(NEXT) | instid1(VALU_DEP_2)
	v_lshlrev_b64 v[14:15], 2, v[14:15]
	v_add_co_u32 v16, s0, s6, v4
	s_delay_alu instid0(VALU_DEP_1) | instskip(NEXT) | instid1(VALU_DEP_3)
	v_add_co_ci_u32_e64 v17, s0, s7, v5, s0
	v_add_co_u32 v4, s0, s8, v14
	s_delay_alu instid0(VALU_DEP_1)
	v_add_co_ci_u32_e64 v5, s0, s9, v15, s0
	global_load_u16 v0, v[16:17], off
	global_load_b32 v14, v[4:5], off
                                        ; implicit-def: $vgpr15
	v_cmpx_lt_i32_e32 20, v9
	s_xor_b32 s15, exec_lo, s15
	s_cbranch_execnz .LBB6_267
; %bb.55:
	s_and_not1_saveexec_b32 s15, s15
	s_cbranch_execnz .LBB6_270
.LBB6_56:
	s_or_b32 exec_lo, exec_lo, s15
	s_and_saveexec_b32 s0, s13
	s_delay_alu instid0(SALU_CYCLE_1)
	s_xor_b32 s0, exec_lo, s0
	s_cbranch_execnz .LBB6_271
.LBB6_57:
	s_or_b32 exec_lo, exec_lo, s0
	s_and_saveexec_b32 s0, s3
	s_cbranch_execz .LBB6_59
.LBB6_58:
	global_load_b32 v4, v[4:5], off offset:4
	s_waitcnt vmcnt(0)
	v_alignbit_b32 v4, v4, v14, 30
	s_delay_alu instid0(VALU_DEP_1)
	v_and_b32_e32 v15, 7, v4
.LBB6_59:
	s_or_b32 exec_lo, exec_lo, s0
	v_add_co_u32 v2, s0, v2, s4
	s_delay_alu instid0(VALU_DEP_1) | instskip(SKIP_4) | instid1(VALU_DEP_1)
	v_add_co_ci_u32_e64 v3, s0, s5, v3, s0
	s_load_b32 s0, s[10:11], 0x24
	v_bfe_u32 v4, v13, 24, 3
	v_sub_nc_u32_e32 v5, s1, v15
	s_mov_b32 s15, exec_lo
	v_add_nc_u32_e32 v4, v5, v4
	s_delay_alu instid0(VALU_DEP_1) | instskip(NEXT) | instid1(VALU_DEP_1)
	v_cvt_f32_i32_e32 v4, v4
	v_cvt_f16_f32_e32 v4, v4
	s_waitcnt lgkmcnt(0)
	s_mul_i32 s3, s14, s0
	s_delay_alu instid0(SALU_CYCLE_1)
	s_ashr_i32 s13, s3, 31
	s_waitcnt vmcnt(1)
	v_mul_f16_e32 v0, v0, v4
	v_mad_u64_u32 v[4:5], null, s0, s12, v[1:2]
	s_lshr_b32 s0, s13, 27
	s_mov_b32 s13, 0
	s_add_i32 s3, s3, s0
	global_store_b16 v[2:3], v0, off
	s_ashr_i32 s0, s3, 5
	s_mov_b32 s3, 0
	s_waitcnt vmcnt(0)
	v_add_nc_u32_e32 v14, s0, v11
	v_ashrrev_i32_e32 v5, 31, v4
	s_delay_alu instid0(VALU_DEP_2) | instskip(NEXT) | instid1(VALU_DEP_2)
	v_ashrrev_i32_e32 v15, 31, v14
	v_lshlrev_b64 v[4:5], 1, v[4:5]
	s_delay_alu instid0(VALU_DEP_2) | instskip(NEXT) | instid1(VALU_DEP_2)
	v_lshlrev_b64 v[14:15], 2, v[14:15]
	v_add_co_u32 v16, s0, s6, v4
	s_delay_alu instid0(VALU_DEP_1) | instskip(NEXT) | instid1(VALU_DEP_3)
	v_add_co_ci_u32_e64 v17, s0, s7, v5, s0
	v_add_co_u32 v4, s0, s8, v14
	s_delay_alu instid0(VALU_DEP_1)
	v_add_co_ci_u32_e64 v5, s0, s9, v15, s0
	global_load_u16 v0, v[16:17], off
	global_load_b32 v14, v[4:5], off
                                        ; implicit-def: $vgpr15
	v_cmpx_lt_i32_e32 20, v9
	s_xor_b32 s15, exec_lo, s15
	s_cbranch_execnz .LBB6_280
; %bb.60:
	s_and_not1_saveexec_b32 s15, s15
	s_cbranch_execnz .LBB6_283
.LBB6_61:
	s_or_b32 exec_lo, exec_lo, s15
	s_and_saveexec_b32 s0, s13
	s_delay_alu instid0(SALU_CYCLE_1)
	s_xor_b32 s0, exec_lo, s0
	s_cbranch_execnz .LBB6_284
.LBB6_62:
	s_or_b32 exec_lo, exec_lo, s0
	s_and_saveexec_b32 s0, s3
	s_cbranch_execz .LBB6_64
.LBB6_63:
	global_load_b32 v4, v[4:5], off offset:4
	s_waitcnt vmcnt(0)
	v_alignbit_b32 v4, v4, v14, 30
	s_delay_alu instid0(VALU_DEP_1)
	v_and_b32_e32 v15, 7, v4
.LBB6_64:
	s_or_b32 exec_lo, exec_lo, s0
	v_add_co_u32 v2, s0, v2, s4
	s_delay_alu instid0(VALU_DEP_1) | instskip(SKIP_4) | instid1(VALU_DEP_1)
	v_add_co_ci_u32_e64 v3, s0, s5, v3, s0
	s_load_b32 s0, s[10:11], 0x28
	v_bfe_u32 v4, v13, 27, 3
	v_sub_nc_u32_e32 v5, s1, v15
	s_mov_b32 s15, exec_lo
	v_add_nc_u32_e32 v4, v5, v4
	s_delay_alu instid0(VALU_DEP_1) | instskip(NEXT) | instid1(VALU_DEP_1)
	v_cvt_f32_i32_e32 v4, v4
	v_cvt_f16_f32_e32 v4, v4
	s_waitcnt lgkmcnt(0)
	s_mul_i32 s3, s14, s0
	s_delay_alu instid0(SALU_CYCLE_1)
	s_ashr_i32 s13, s3, 31
	s_waitcnt vmcnt(1)
	v_mul_f16_e32 v0, v0, v4
	v_mad_u64_u32 v[4:5], null, s0, s12, v[1:2]
	s_lshr_b32 s0, s13, 27
	s_mov_b32 s13, 0
	s_add_i32 s3, s3, s0
	global_store_b16 v[2:3], v0, off
	s_ashr_i32 s0, s3, 5
	s_mov_b32 s3, 0
	s_waitcnt vmcnt(0)
	v_add_nc_u32_e32 v14, s0, v11
	v_ashrrev_i32_e32 v5, 31, v4
	s_delay_alu instid0(VALU_DEP_2) | instskip(NEXT) | instid1(VALU_DEP_2)
	v_ashrrev_i32_e32 v15, 31, v14
	v_lshlrev_b64 v[4:5], 1, v[4:5]
	s_delay_alu instid0(VALU_DEP_2) | instskip(NEXT) | instid1(VALU_DEP_2)
	v_lshlrev_b64 v[14:15], 2, v[14:15]
	v_add_co_u32 v16, s0, s6, v4
	s_delay_alu instid0(VALU_DEP_1) | instskip(NEXT) | instid1(VALU_DEP_3)
	v_add_co_ci_u32_e64 v17, s0, s7, v5, s0
	v_add_co_u32 v4, s0, s8, v14
	s_delay_alu instid0(VALU_DEP_1)
	v_add_co_ci_u32_e64 v5, s0, s9, v15, s0
	global_load_u16 v0, v[16:17], off
	global_load_b32 v14, v[4:5], off
                                        ; implicit-def: $vgpr15
	v_cmpx_lt_i32_e32 20, v9
	s_xor_b32 s15, exec_lo, s15
	s_cbranch_execnz .LBB6_293
; %bb.65:
	s_and_not1_saveexec_b32 s15, s15
	s_cbranch_execnz .LBB6_296
.LBB6_66:
	s_or_b32 exec_lo, exec_lo, s15
	s_and_saveexec_b32 s0, s13
	s_delay_alu instid0(SALU_CYCLE_1)
	s_xor_b32 s0, exec_lo, s0
	s_cbranch_execnz .LBB6_297
.LBB6_67:
	s_or_b32 exec_lo, exec_lo, s0
	s_and_saveexec_b32 s0, s3
	s_cbranch_execz .LBB6_69
.LBB6_68:
	global_load_b32 v4, v[4:5], off offset:4
	s_waitcnt vmcnt(0)
	v_alignbit_b32 v4, v4, v14, 30
	s_delay_alu instid0(VALU_DEP_1)
	v_and_b32_e32 v15, 7, v4
.LBB6_69:
	s_or_b32 exec_lo, exec_lo, s0
	v_add_co_u32 v2, s0, v2, s4
	v_alignbit_b32 v4, v12, v13, 30
	v_add_co_ci_u32_e64 v3, s0, s5, v3, s0
	s_load_b32 s0, s[10:11], 0x2c
	v_sub_nc_u32_e32 v5, s1, v15
	s_delay_alu instid0(VALU_DEP_3) | instskip(SKIP_1) | instid1(VALU_DEP_1)
	v_and_b32_e32 v4, 7, v4
	s_mov_b32 s15, exec_lo
	v_add_nc_u32_e32 v4, v5, v4
	s_delay_alu instid0(VALU_DEP_1) | instskip(NEXT) | instid1(VALU_DEP_1)
	v_cvt_f32_i32_e32 v4, v4
	v_cvt_f16_f32_e32 v4, v4
	s_waitcnt lgkmcnt(0)
	s_mul_i32 s3, s14, s0
	s_delay_alu instid0(SALU_CYCLE_1)
	s_ashr_i32 s13, s3, 31
	s_waitcnt vmcnt(1)
	v_mul_f16_e32 v0, v0, v4
	v_mad_u64_u32 v[4:5], null, s0, s12, v[1:2]
	s_lshr_b32 s0, s13, 27
	s_mov_b32 s13, 0
	s_add_i32 s3, s3, s0
	global_store_b16 v[2:3], v0, off
	s_ashr_i32 s0, s3, 5
	s_mov_b32 s3, 0
	v_add_nc_u32_e32 v13, s0, v11
	v_ashrrev_i32_e32 v5, 31, v4
	s_waitcnt vmcnt(0)
	s_delay_alu instid0(VALU_DEP_2) | instskip(NEXT) | instid1(VALU_DEP_2)
	v_ashrrev_i32_e32 v14, 31, v13
	v_lshlrev_b64 v[4:5], 1, v[4:5]
	s_delay_alu instid0(VALU_DEP_2) | instskip(NEXT) | instid1(VALU_DEP_2)
	v_lshlrev_b64 v[13:14], 2, v[13:14]
	v_add_co_u32 v15, s0, s6, v4
	s_delay_alu instid0(VALU_DEP_1) | instskip(NEXT) | instid1(VALU_DEP_3)
	v_add_co_ci_u32_e64 v16, s0, s7, v5, s0
	v_add_co_u32 v4, s0, s8, v13
	s_delay_alu instid0(VALU_DEP_1)
	v_add_co_ci_u32_e64 v5, s0, s9, v14, s0
	global_load_u16 v0, v[15:16], off
	global_load_b32 v13, v[4:5], off
                                        ; implicit-def: $vgpr14
	v_cmpx_lt_i32_e32 20, v9
	s_xor_b32 s15, exec_lo, s15
	s_cbranch_execnz .LBB6_306
; %bb.70:
	s_and_not1_saveexec_b32 s15, s15
	s_cbranch_execnz .LBB6_309
.LBB6_71:
	s_or_b32 exec_lo, exec_lo, s15
	s_and_saveexec_b32 s0, s13
	s_delay_alu instid0(SALU_CYCLE_1)
	s_xor_b32 s0, exec_lo, s0
	s_cbranch_execnz .LBB6_310
.LBB6_72:
	s_or_b32 exec_lo, exec_lo, s0
	s_and_saveexec_b32 s0, s3
	s_cbranch_execz .LBB6_74
.LBB6_73:
	global_load_b32 v4, v[4:5], off offset:4
	s_waitcnt vmcnt(0)
	v_alignbit_b32 v4, v4, v13, 30
	s_delay_alu instid0(VALU_DEP_1)
	v_and_b32_e32 v14, 7, v4
.LBB6_74:
	s_or_b32 exec_lo, exec_lo, s0
	v_add_co_u32 v2, s0, v2, s4
	s_delay_alu instid0(VALU_DEP_1) | instskip(SKIP_4) | instid1(VALU_DEP_1)
	v_add_co_ci_u32_e64 v3, s0, s5, v3, s0
	s_load_b32 s0, s[10:11], 0x30
	v_bfe_u32 v4, v12, 1, 3
	v_sub_nc_u32_e32 v5, s1, v14
	s_mov_b32 s15, exec_lo
	v_add_nc_u32_e32 v4, v5, v4
	s_delay_alu instid0(VALU_DEP_1) | instskip(NEXT) | instid1(VALU_DEP_1)
	v_cvt_f32_i32_e32 v4, v4
	v_cvt_f16_f32_e32 v4, v4
	s_waitcnt lgkmcnt(0)
	s_mul_i32 s3, s14, s0
	s_delay_alu instid0(SALU_CYCLE_1)
	s_ashr_i32 s13, s3, 31
	s_waitcnt vmcnt(1)
	v_mul_f16_e32 v0, v0, v4
	v_mad_u64_u32 v[4:5], null, s0, s12, v[1:2]
	s_lshr_b32 s0, s13, 27
	s_mov_b32 s13, 0
	s_add_i32 s3, s3, s0
	global_store_b16 v[2:3], v0, off
	s_ashr_i32 s0, s3, 5
	s_mov_b32 s3, 0
	s_waitcnt vmcnt(0)
	v_add_nc_u32_e32 v13, s0, v11
	v_ashrrev_i32_e32 v5, 31, v4
	s_delay_alu instid0(VALU_DEP_2) | instskip(NEXT) | instid1(VALU_DEP_2)
	v_ashrrev_i32_e32 v14, 31, v13
	v_lshlrev_b64 v[4:5], 1, v[4:5]
	s_delay_alu instid0(VALU_DEP_2) | instskip(NEXT) | instid1(VALU_DEP_2)
	v_lshlrev_b64 v[13:14], 2, v[13:14]
	v_add_co_u32 v15, s0, s6, v4
	s_delay_alu instid0(VALU_DEP_1) | instskip(NEXT) | instid1(VALU_DEP_3)
	v_add_co_ci_u32_e64 v16, s0, s7, v5, s0
	v_add_co_u32 v4, s0, s8, v13
	s_delay_alu instid0(VALU_DEP_1)
	v_add_co_ci_u32_e64 v5, s0, s9, v14, s0
	global_load_u16 v0, v[15:16], off
	global_load_b32 v13, v[4:5], off
                                        ; implicit-def: $vgpr14
	v_cmpx_lt_i32_e32 20, v9
	s_xor_b32 s15, exec_lo, s15
	s_cbranch_execnz .LBB6_319
; %bb.75:
	s_and_not1_saveexec_b32 s15, s15
	s_cbranch_execnz .LBB6_322
.LBB6_76:
	s_or_b32 exec_lo, exec_lo, s15
	s_and_saveexec_b32 s0, s13
	s_delay_alu instid0(SALU_CYCLE_1)
	s_xor_b32 s0, exec_lo, s0
	s_cbranch_execnz .LBB6_323
.LBB6_77:
	s_or_b32 exec_lo, exec_lo, s0
	s_and_saveexec_b32 s0, s3
	s_cbranch_execz .LBB6_79
.LBB6_78:
	global_load_b32 v4, v[4:5], off offset:4
	s_waitcnt vmcnt(0)
	v_alignbit_b32 v4, v4, v13, 30
	s_delay_alu instid0(VALU_DEP_1)
	v_and_b32_e32 v14, 7, v4
.LBB6_79:
	s_or_b32 exec_lo, exec_lo, s0
	v_bfe_u32 v4, v12, 4, 3
	s_delay_alu instid0(VALU_DEP_2) | instskip(SKIP_1) | instid1(VALU_DEP_1)
	v_sub_nc_u32_e32 v5, s1, v14
	v_add_co_u32 v2, s0, v2, s4
	v_add_co_ci_u32_e64 v3, s0, s5, v3, s0
	s_delay_alu instid0(VALU_DEP_3) | instskip(SKIP_1) | instid1(VALU_DEP_1)
	v_add_nc_u32_e32 v4, v5, v4
	s_mov_b32 s15, exec_lo
	v_cvt_f32_i32_e32 v4, v4
	s_delay_alu instid0(VALU_DEP_1) | instskip(SKIP_1) | instid1(VALU_DEP_1)
	v_cvt_f16_f32_e32 v4, v4
	s_waitcnt vmcnt(1)
	v_mul_f16_e32 v0, v0, v4
	global_store_b16 v[2:3], v0, off
	s_load_b32 s0, s[10:11], 0x34
	s_waitcnt lgkmcnt(0)
	s_mul_i32 s3, s14, s0
	v_mad_u64_u32 v[4:5], null, s0, s12, v[1:2]
	s_ashr_i32 s13, s3, 31
	s_delay_alu instid0(SALU_CYCLE_1) | instskip(SKIP_2) | instid1(SALU_CYCLE_1)
	s_lshr_b32 s0, s13, 27
	s_mov_b32 s13, 0
	s_add_i32 s3, s3, s0
	s_ashr_i32 s0, s3, 5
	s_delay_alu instid0(VALU_DEP_1) | instskip(SKIP_3) | instid1(VALU_DEP_2)
	v_ashrrev_i32_e32 v5, 31, v4
	s_waitcnt vmcnt(0)
	v_add_nc_u32_e32 v13, s0, v11
	s_mov_b32 s3, 0
	v_lshlrev_b64 v[4:5], 1, v[4:5]
	s_delay_alu instid0(VALU_DEP_2) | instskip(NEXT) | instid1(VALU_DEP_2)
	v_ashrrev_i32_e32 v14, 31, v13
	v_add_co_u32 v15, s0, s6, v4
	s_delay_alu instid0(VALU_DEP_2) | instskip(NEXT) | instid1(VALU_DEP_4)
	v_lshlrev_b64 v[13:14], 2, v[13:14]
	v_add_co_ci_u32_e64 v16, s0, s7, v5, s0
	s_delay_alu instid0(VALU_DEP_2) | instskip(NEXT) | instid1(VALU_DEP_1)
	v_add_co_u32 v4, s0, s8, v13
	v_add_co_ci_u32_e64 v5, s0, s9, v14, s0
	global_load_u16 v0, v[15:16], off
	global_load_b32 v13, v[4:5], off
                                        ; implicit-def: $vgpr14
	v_cmpx_lt_i32_e32 20, v9
	s_xor_b32 s15, exec_lo, s15
	s_cbranch_execnz .LBB6_332
; %bb.80:
	s_and_not1_saveexec_b32 s15, s15
	s_cbranch_execnz .LBB6_335
.LBB6_81:
	s_or_b32 exec_lo, exec_lo, s15
	s_and_saveexec_b32 s0, s13
	s_delay_alu instid0(SALU_CYCLE_1)
	s_xor_b32 s0, exec_lo, s0
	s_cbranch_execnz .LBB6_336
.LBB6_82:
	s_or_b32 exec_lo, exec_lo, s0
	s_and_saveexec_b32 s0, s3
	s_cbranch_execz .LBB6_84
.LBB6_83:
	global_load_b32 v4, v[4:5], off offset:4
	s_waitcnt vmcnt(0)
	v_alignbit_b32 v4, v4, v13, 30
	s_delay_alu instid0(VALU_DEP_1)
	v_and_b32_e32 v14, 7, v4
.LBB6_84:
	s_or_b32 exec_lo, exec_lo, s0
	v_bfe_u32 v4, v12, 7, 3
	s_delay_alu instid0(VALU_DEP_2) | instskip(SKIP_1) | instid1(VALU_DEP_1)
	v_sub_nc_u32_e32 v5, s1, v14
	v_add_co_u32 v2, s0, v2, s4
	v_add_co_ci_u32_e64 v3, s0, s5, v3, s0
	s_delay_alu instid0(VALU_DEP_3) | instskip(SKIP_1) | instid1(VALU_DEP_1)
	v_add_nc_u32_e32 v4, v5, v4
	s_mov_b32 s15, exec_lo
	v_cvt_f32_i32_e32 v4, v4
	s_delay_alu instid0(VALU_DEP_1) | instskip(SKIP_1) | instid1(VALU_DEP_1)
	v_cvt_f16_f32_e32 v4, v4
	s_waitcnt vmcnt(1)
	v_mul_f16_e32 v0, v0, v4
	global_store_b16 v[2:3], v0, off
	s_load_b32 s0, s[10:11], 0x38
	s_waitcnt lgkmcnt(0)
	s_mul_i32 s3, s14, s0
	v_mad_u64_u32 v[4:5], null, s0, s12, v[1:2]
	s_ashr_i32 s13, s3, 31
	s_delay_alu instid0(SALU_CYCLE_1) | instskip(SKIP_2) | instid1(SALU_CYCLE_1)
	s_lshr_b32 s0, s13, 27
	s_mov_b32 s13, 0
	s_add_i32 s3, s3, s0
	s_ashr_i32 s0, s3, 5
	s_delay_alu instid0(VALU_DEP_1) | instskip(SKIP_3) | instid1(VALU_DEP_2)
	v_ashrrev_i32_e32 v5, 31, v4
	s_waitcnt vmcnt(0)
	v_add_nc_u32_e32 v13, s0, v11
	s_mov_b32 s3, 0
	v_lshlrev_b64 v[4:5], 1, v[4:5]
	s_delay_alu instid0(VALU_DEP_2) | instskip(NEXT) | instid1(VALU_DEP_2)
	v_ashrrev_i32_e32 v14, 31, v13
	v_add_co_u32 v15, s0, s6, v4
	s_delay_alu instid0(VALU_DEP_2) | instskip(NEXT) | instid1(VALU_DEP_4)
	v_lshlrev_b64 v[13:14], 2, v[13:14]
	v_add_co_ci_u32_e64 v16, s0, s7, v5, s0
	s_delay_alu instid0(VALU_DEP_2) | instskip(NEXT) | instid1(VALU_DEP_1)
	v_add_co_u32 v4, s0, s8, v13
	v_add_co_ci_u32_e64 v5, s0, s9, v14, s0
	global_load_u16 v0, v[15:16], off
	global_load_b32 v13, v[4:5], off
                                        ; implicit-def: $vgpr14
	v_cmpx_lt_i32_e32 20, v9
	s_xor_b32 s15, exec_lo, s15
	s_cbranch_execnz .LBB6_345
; %bb.85:
	s_and_not1_saveexec_b32 s15, s15
	s_cbranch_execnz .LBB6_348
.LBB6_86:
	s_or_b32 exec_lo, exec_lo, s15
	s_and_saveexec_b32 s0, s13
	s_delay_alu instid0(SALU_CYCLE_1)
	s_xor_b32 s0, exec_lo, s0
	s_cbranch_execnz .LBB6_349
.LBB6_87:
	s_or_b32 exec_lo, exec_lo, s0
	s_and_saveexec_b32 s0, s3
	s_cbranch_execz .LBB6_89
.LBB6_88:
	global_load_b32 v4, v[4:5], off offset:4
	s_waitcnt vmcnt(0)
	v_alignbit_b32 v4, v4, v13, 30
	s_delay_alu instid0(VALU_DEP_1)
	v_and_b32_e32 v14, 7, v4
.LBB6_89:
	s_or_b32 exec_lo, exec_lo, s0
	v_bfe_u32 v4, v12, 10, 3
	s_delay_alu instid0(VALU_DEP_2) | instskip(SKIP_1) | instid1(VALU_DEP_1)
	v_sub_nc_u32_e32 v5, s1, v14
	v_add_co_u32 v2, s0, v2, s4
	v_add_co_ci_u32_e64 v3, s0, s5, v3, s0
	s_delay_alu instid0(VALU_DEP_3) | instskip(SKIP_1) | instid1(VALU_DEP_1)
	v_add_nc_u32_e32 v4, v5, v4
	s_mov_b32 s15, exec_lo
	v_cvt_f32_i32_e32 v4, v4
	s_delay_alu instid0(VALU_DEP_1) | instskip(SKIP_1) | instid1(VALU_DEP_1)
	v_cvt_f16_f32_e32 v4, v4
	s_waitcnt vmcnt(1)
	v_mul_f16_e32 v0, v0, v4
	global_store_b16 v[2:3], v0, off
	s_load_b32 s0, s[10:11], 0x3c
	s_waitcnt lgkmcnt(0)
	s_mul_i32 s3, s14, s0
	v_mad_u64_u32 v[4:5], null, s0, s12, v[1:2]
	s_ashr_i32 s13, s3, 31
	s_delay_alu instid0(SALU_CYCLE_1) | instskip(SKIP_2) | instid1(SALU_CYCLE_1)
	s_lshr_b32 s0, s13, 27
	s_mov_b32 s13, 0
	s_add_i32 s3, s3, s0
	s_ashr_i32 s0, s3, 5
	s_delay_alu instid0(VALU_DEP_1) | instskip(SKIP_3) | instid1(VALU_DEP_2)
	v_ashrrev_i32_e32 v5, 31, v4
	s_waitcnt vmcnt(0)
	v_add_nc_u32_e32 v13, s0, v11
	s_mov_b32 s3, 0
	v_lshlrev_b64 v[4:5], 1, v[4:5]
	s_delay_alu instid0(VALU_DEP_2) | instskip(NEXT) | instid1(VALU_DEP_2)
	v_ashrrev_i32_e32 v14, 31, v13
	v_add_co_u32 v15, s0, s6, v4
	s_delay_alu instid0(VALU_DEP_2) | instskip(NEXT) | instid1(VALU_DEP_4)
	v_lshlrev_b64 v[13:14], 2, v[13:14]
	v_add_co_ci_u32_e64 v16, s0, s7, v5, s0
	s_delay_alu instid0(VALU_DEP_2) | instskip(NEXT) | instid1(VALU_DEP_1)
	v_add_co_u32 v4, s0, s8, v13
	v_add_co_ci_u32_e64 v5, s0, s9, v14, s0
	global_load_u16 v0, v[15:16], off
	global_load_b32 v13, v[4:5], off
                                        ; implicit-def: $vgpr14
	v_cmpx_lt_i32_e32 20, v9
	s_xor_b32 s15, exec_lo, s15
	s_cbranch_execnz .LBB6_358
; %bb.90:
	s_and_not1_saveexec_b32 s15, s15
	s_cbranch_execnz .LBB6_361
.LBB6_91:
	s_or_b32 exec_lo, exec_lo, s15
	s_and_saveexec_b32 s0, s13
	s_delay_alu instid0(SALU_CYCLE_1)
	s_xor_b32 s0, exec_lo, s0
	s_cbranch_execnz .LBB6_362
.LBB6_92:
	s_or_b32 exec_lo, exec_lo, s0
	s_and_saveexec_b32 s0, s3
	s_cbranch_execz .LBB6_94
.LBB6_93:
	global_load_b32 v4, v[4:5], off offset:4
	s_waitcnt vmcnt(0)
	v_alignbit_b32 v4, v4, v13, 30
	s_delay_alu instid0(VALU_DEP_1)
	v_and_b32_e32 v14, 7, v4
.LBB6_94:
	s_or_b32 exec_lo, exec_lo, s0
	v_bfe_u32 v4, v12, 13, 3
	s_delay_alu instid0(VALU_DEP_2) | instskip(SKIP_1) | instid1(VALU_DEP_1)
	v_sub_nc_u32_e32 v5, s1, v14
	v_add_co_u32 v2, s0, v2, s4
	v_add_co_ci_u32_e64 v3, s0, s5, v3, s0
	s_delay_alu instid0(VALU_DEP_3) | instskip(SKIP_1) | instid1(VALU_DEP_1)
	v_add_nc_u32_e32 v4, v5, v4
	s_mov_b32 s15, exec_lo
	v_cvt_f32_i32_e32 v4, v4
	s_delay_alu instid0(VALU_DEP_1) | instskip(SKIP_1) | instid1(VALU_DEP_1)
	v_cvt_f16_f32_e32 v4, v4
	s_waitcnt vmcnt(1)
	v_mul_f16_e32 v0, v0, v4
	global_store_b16 v[2:3], v0, off
	s_load_b32 s0, s[10:11], 0x40
	s_waitcnt lgkmcnt(0)
	s_mul_i32 s3, s14, s0
	v_mad_u64_u32 v[4:5], null, s0, s12, v[1:2]
	s_ashr_i32 s13, s3, 31
	s_delay_alu instid0(SALU_CYCLE_1) | instskip(SKIP_2) | instid1(SALU_CYCLE_1)
	s_lshr_b32 s0, s13, 27
	s_mov_b32 s13, 0
	s_add_i32 s3, s3, s0
	s_ashr_i32 s0, s3, 5
	s_delay_alu instid0(VALU_DEP_1) | instskip(SKIP_3) | instid1(VALU_DEP_2)
	v_ashrrev_i32_e32 v5, 31, v4
	s_waitcnt vmcnt(0)
	v_add_nc_u32_e32 v13, s0, v11
	s_mov_b32 s3, 0
	v_lshlrev_b64 v[4:5], 1, v[4:5]
	s_delay_alu instid0(VALU_DEP_2) | instskip(NEXT) | instid1(VALU_DEP_2)
	v_ashrrev_i32_e32 v14, 31, v13
	v_add_co_u32 v15, s0, s6, v4
	s_delay_alu instid0(VALU_DEP_2) | instskip(NEXT) | instid1(VALU_DEP_4)
	v_lshlrev_b64 v[13:14], 2, v[13:14]
	v_add_co_ci_u32_e64 v16, s0, s7, v5, s0
	s_delay_alu instid0(VALU_DEP_2) | instskip(NEXT) | instid1(VALU_DEP_1)
	v_add_co_u32 v4, s0, s8, v13
	v_add_co_ci_u32_e64 v5, s0, s9, v14, s0
	global_load_u16 v0, v[15:16], off
	global_load_b32 v13, v[4:5], off
                                        ; implicit-def: $vgpr14
	v_cmpx_lt_i32_e32 20, v9
	s_xor_b32 s15, exec_lo, s15
	s_cbranch_execnz .LBB6_371
; %bb.95:
	s_and_not1_saveexec_b32 s15, s15
	s_cbranch_execnz .LBB6_374
.LBB6_96:
	s_or_b32 exec_lo, exec_lo, s15
	s_and_saveexec_b32 s0, s13
	s_delay_alu instid0(SALU_CYCLE_1)
	s_xor_b32 s0, exec_lo, s0
	s_cbranch_execnz .LBB6_375
.LBB6_97:
	s_or_b32 exec_lo, exec_lo, s0
	s_and_saveexec_b32 s0, s3
	s_cbranch_execz .LBB6_99
.LBB6_98:
	global_load_b32 v4, v[4:5], off offset:4
	s_waitcnt vmcnt(0)
	v_alignbit_b32 v4, v4, v13, 30
	s_delay_alu instid0(VALU_DEP_1)
	v_and_b32_e32 v14, 7, v4
.LBB6_99:
	s_or_b32 exec_lo, exec_lo, s0
	v_bfe_u32 v4, v12, 16, 3
	s_delay_alu instid0(VALU_DEP_2) | instskip(SKIP_1) | instid1(VALU_DEP_1)
	v_sub_nc_u32_e32 v5, s1, v14
	v_add_co_u32 v2, s0, v2, s4
	v_add_co_ci_u32_e64 v3, s0, s5, v3, s0
	s_delay_alu instid0(VALU_DEP_3) | instskip(SKIP_1) | instid1(VALU_DEP_1)
	v_add_nc_u32_e32 v4, v5, v4
	s_mov_b32 s15, exec_lo
	v_cvt_f32_i32_e32 v4, v4
	s_delay_alu instid0(VALU_DEP_1) | instskip(SKIP_1) | instid1(VALU_DEP_1)
	v_cvt_f16_f32_e32 v4, v4
	s_waitcnt vmcnt(1)
	v_mul_f16_e32 v0, v0, v4
	global_store_b16 v[2:3], v0, off
	s_load_b32 s0, s[10:11], 0x44
	s_waitcnt lgkmcnt(0)
	s_mul_i32 s3, s14, s0
	v_mad_u64_u32 v[4:5], null, s0, s12, v[1:2]
	s_ashr_i32 s13, s3, 31
	s_delay_alu instid0(SALU_CYCLE_1) | instskip(SKIP_2) | instid1(SALU_CYCLE_1)
	s_lshr_b32 s0, s13, 27
	s_mov_b32 s13, 0
	s_add_i32 s3, s3, s0
	s_ashr_i32 s0, s3, 5
	s_delay_alu instid0(VALU_DEP_1) | instskip(SKIP_3) | instid1(VALU_DEP_2)
	v_ashrrev_i32_e32 v5, 31, v4
	s_waitcnt vmcnt(0)
	v_add_nc_u32_e32 v13, s0, v11
	s_mov_b32 s3, 0
	v_lshlrev_b64 v[4:5], 1, v[4:5]
	s_delay_alu instid0(VALU_DEP_2) | instskip(NEXT) | instid1(VALU_DEP_2)
	v_ashrrev_i32_e32 v14, 31, v13
	v_add_co_u32 v15, s0, s6, v4
	s_delay_alu instid0(VALU_DEP_2) | instskip(NEXT) | instid1(VALU_DEP_4)
	v_lshlrev_b64 v[13:14], 2, v[13:14]
	v_add_co_ci_u32_e64 v16, s0, s7, v5, s0
	s_delay_alu instid0(VALU_DEP_2) | instskip(NEXT) | instid1(VALU_DEP_1)
	v_add_co_u32 v4, s0, s8, v13
	v_add_co_ci_u32_e64 v5, s0, s9, v14, s0
	global_load_u16 v0, v[15:16], off
	global_load_b32 v13, v[4:5], off
                                        ; implicit-def: $vgpr14
	v_cmpx_lt_i32_e32 20, v9
	s_xor_b32 s15, exec_lo, s15
	s_cbranch_execnz .LBB6_384
; %bb.100:
	s_and_not1_saveexec_b32 s15, s15
	s_cbranch_execnz .LBB6_387
.LBB6_101:
	s_or_b32 exec_lo, exec_lo, s15
	s_and_saveexec_b32 s0, s13
	s_delay_alu instid0(SALU_CYCLE_1)
	s_xor_b32 s0, exec_lo, s0
	s_cbranch_execnz .LBB6_388
.LBB6_102:
	s_or_b32 exec_lo, exec_lo, s0
	s_and_saveexec_b32 s0, s3
	s_cbranch_execz .LBB6_104
.LBB6_103:
	global_load_b32 v4, v[4:5], off offset:4
	s_waitcnt vmcnt(0)
	v_alignbit_b32 v4, v4, v13, 30
	s_delay_alu instid0(VALU_DEP_1)
	v_and_b32_e32 v14, 7, v4
.LBB6_104:
	s_or_b32 exec_lo, exec_lo, s0
	v_bfe_u32 v4, v12, 19, 3
	s_delay_alu instid0(VALU_DEP_2) | instskip(SKIP_1) | instid1(VALU_DEP_1)
	v_sub_nc_u32_e32 v5, s1, v14
	v_add_co_u32 v2, s0, v2, s4
	v_add_co_ci_u32_e64 v3, s0, s5, v3, s0
	s_delay_alu instid0(VALU_DEP_3) | instskip(SKIP_1) | instid1(VALU_DEP_1)
	v_add_nc_u32_e32 v4, v5, v4
	s_mov_b32 s15, exec_lo
	v_cvt_f32_i32_e32 v4, v4
	s_delay_alu instid0(VALU_DEP_1) | instskip(SKIP_1) | instid1(VALU_DEP_1)
	v_cvt_f16_f32_e32 v4, v4
	s_waitcnt vmcnt(1)
	v_mul_f16_e32 v0, v0, v4
	global_store_b16 v[2:3], v0, off
	s_load_b32 s0, s[10:11], 0x48
	s_waitcnt lgkmcnt(0)
	s_mul_i32 s3, s14, s0
	v_mad_u64_u32 v[4:5], null, s0, s12, v[1:2]
	s_ashr_i32 s13, s3, 31
	s_delay_alu instid0(SALU_CYCLE_1) | instskip(SKIP_2) | instid1(SALU_CYCLE_1)
	s_lshr_b32 s0, s13, 27
	s_mov_b32 s13, 0
	s_add_i32 s3, s3, s0
	s_ashr_i32 s0, s3, 5
	s_delay_alu instid0(VALU_DEP_1) | instskip(SKIP_3) | instid1(VALU_DEP_2)
	v_ashrrev_i32_e32 v5, 31, v4
	s_waitcnt vmcnt(0)
	v_add_nc_u32_e32 v13, s0, v11
	s_mov_b32 s3, 0
	v_lshlrev_b64 v[4:5], 1, v[4:5]
	s_delay_alu instid0(VALU_DEP_2) | instskip(NEXT) | instid1(VALU_DEP_2)
	v_ashrrev_i32_e32 v14, 31, v13
	v_add_co_u32 v15, s0, s6, v4
	s_delay_alu instid0(VALU_DEP_2) | instskip(NEXT) | instid1(VALU_DEP_4)
	v_lshlrev_b64 v[13:14], 2, v[13:14]
	v_add_co_ci_u32_e64 v16, s0, s7, v5, s0
	s_delay_alu instid0(VALU_DEP_2) | instskip(NEXT) | instid1(VALU_DEP_1)
	v_add_co_u32 v4, s0, s8, v13
	v_add_co_ci_u32_e64 v5, s0, s9, v14, s0
	global_load_u16 v0, v[15:16], off
	global_load_b32 v13, v[4:5], off
                                        ; implicit-def: $vgpr14
	v_cmpx_lt_i32_e32 20, v9
	s_xor_b32 s15, exec_lo, s15
	s_cbranch_execnz .LBB6_397
; %bb.105:
	s_and_not1_saveexec_b32 s15, s15
	s_cbranch_execnz .LBB6_400
.LBB6_106:
	s_or_b32 exec_lo, exec_lo, s15
	s_and_saveexec_b32 s0, s13
	s_delay_alu instid0(SALU_CYCLE_1)
	s_xor_b32 s0, exec_lo, s0
	s_cbranch_execnz .LBB6_401
.LBB6_107:
	s_or_b32 exec_lo, exec_lo, s0
	s_and_saveexec_b32 s0, s3
	s_cbranch_execz .LBB6_109
.LBB6_108:
	global_load_b32 v4, v[4:5], off offset:4
	s_waitcnt vmcnt(0)
	v_alignbit_b32 v4, v4, v13, 30
	s_delay_alu instid0(VALU_DEP_1)
	v_and_b32_e32 v14, 7, v4
.LBB6_109:
	s_or_b32 exec_lo, exec_lo, s0
	v_bfe_u32 v4, v12, 22, 3
	s_delay_alu instid0(VALU_DEP_2) | instskip(SKIP_1) | instid1(VALU_DEP_1)
	v_sub_nc_u32_e32 v5, s1, v14
	v_add_co_u32 v2, s0, v2, s4
	v_add_co_ci_u32_e64 v3, s0, s5, v3, s0
	s_delay_alu instid0(VALU_DEP_3) | instskip(SKIP_1) | instid1(VALU_DEP_1)
	v_add_nc_u32_e32 v4, v5, v4
	s_mov_b32 s15, exec_lo
	v_cvt_f32_i32_e32 v4, v4
	s_delay_alu instid0(VALU_DEP_1) | instskip(SKIP_1) | instid1(VALU_DEP_1)
	v_cvt_f16_f32_e32 v4, v4
	s_waitcnt vmcnt(1)
	v_mul_f16_e32 v0, v0, v4
	global_store_b16 v[2:3], v0, off
	s_load_b32 s0, s[10:11], 0x4c
	s_waitcnt lgkmcnt(0)
	s_mul_i32 s3, s14, s0
	v_mad_u64_u32 v[4:5], null, s0, s12, v[1:2]
	s_ashr_i32 s13, s3, 31
	s_delay_alu instid0(SALU_CYCLE_1) | instskip(SKIP_2) | instid1(SALU_CYCLE_1)
	s_lshr_b32 s0, s13, 27
	s_mov_b32 s13, 0
	s_add_i32 s3, s3, s0
	s_ashr_i32 s0, s3, 5
	s_delay_alu instid0(VALU_DEP_1) | instskip(SKIP_3) | instid1(VALU_DEP_2)
	v_ashrrev_i32_e32 v5, 31, v4
	s_waitcnt vmcnt(0)
	v_add_nc_u32_e32 v13, s0, v11
	s_mov_b32 s3, 0
	v_lshlrev_b64 v[4:5], 1, v[4:5]
	s_delay_alu instid0(VALU_DEP_2) | instskip(NEXT) | instid1(VALU_DEP_2)
	v_ashrrev_i32_e32 v14, 31, v13
	v_add_co_u32 v15, s0, s6, v4
	s_delay_alu instid0(VALU_DEP_2) | instskip(NEXT) | instid1(VALU_DEP_4)
	v_lshlrev_b64 v[13:14], 2, v[13:14]
	v_add_co_ci_u32_e64 v16, s0, s7, v5, s0
	s_delay_alu instid0(VALU_DEP_2) | instskip(NEXT) | instid1(VALU_DEP_1)
	v_add_co_u32 v4, s0, s8, v13
	v_add_co_ci_u32_e64 v5, s0, s9, v14, s0
	global_load_u16 v0, v[15:16], off
	global_load_b32 v13, v[4:5], off
                                        ; implicit-def: $vgpr14
	v_cmpx_lt_i32_e32 20, v9
	s_xor_b32 s15, exec_lo, s15
	s_cbranch_execnz .LBB6_410
; %bb.110:
	s_and_not1_saveexec_b32 s15, s15
	s_cbranch_execnz .LBB6_413
.LBB6_111:
	s_or_b32 exec_lo, exec_lo, s15
	s_and_saveexec_b32 s0, s13
	s_delay_alu instid0(SALU_CYCLE_1)
	s_xor_b32 s0, exec_lo, s0
	s_cbranch_execnz .LBB6_414
.LBB6_112:
	s_or_b32 exec_lo, exec_lo, s0
	s_and_saveexec_b32 s0, s3
	s_cbranch_execz .LBB6_114
.LBB6_113:
	global_load_b32 v4, v[4:5], off offset:4
	s_waitcnt vmcnt(0)
	v_alignbit_b32 v4, v4, v13, 30
	s_delay_alu instid0(VALU_DEP_1)
	v_and_b32_e32 v14, 7, v4
.LBB6_114:
	s_or_b32 exec_lo, exec_lo, s0
	v_bfe_u32 v4, v12, 25, 3
	s_delay_alu instid0(VALU_DEP_2) | instskip(SKIP_1) | instid1(VALU_DEP_1)
	v_sub_nc_u32_e32 v5, s1, v14
	v_add_co_u32 v2, s0, v2, s4
	v_add_co_ci_u32_e64 v3, s0, s5, v3, s0
	s_delay_alu instid0(VALU_DEP_3) | instskip(SKIP_1) | instid1(VALU_DEP_1)
	v_add_nc_u32_e32 v4, v5, v4
	s_mov_b32 s15, exec_lo
	v_cvt_f32_i32_e32 v4, v4
	s_delay_alu instid0(VALU_DEP_1) | instskip(SKIP_1) | instid1(VALU_DEP_1)
	v_cvt_f16_f32_e32 v4, v4
	s_waitcnt vmcnt(1)
	v_mul_f16_e32 v0, v0, v4
	global_store_b16 v[2:3], v0, off
	s_load_b32 s0, s[10:11], 0x50
	s_waitcnt lgkmcnt(0)
	s_mul_i32 s3, s14, s0
	v_mad_u64_u32 v[4:5], null, s0, s12, v[1:2]
	s_ashr_i32 s13, s3, 31
	s_delay_alu instid0(SALU_CYCLE_1) | instskip(SKIP_2) | instid1(SALU_CYCLE_1)
	s_lshr_b32 s0, s13, 27
	s_mov_b32 s13, 0
	s_add_i32 s3, s3, s0
	s_ashr_i32 s0, s3, 5
	s_delay_alu instid0(VALU_DEP_1) | instskip(SKIP_3) | instid1(VALU_DEP_2)
	v_ashrrev_i32_e32 v5, 31, v4
	s_waitcnt vmcnt(0)
	v_add_nc_u32_e32 v13, s0, v11
	s_mov_b32 s3, 0
	v_lshlrev_b64 v[4:5], 1, v[4:5]
	s_delay_alu instid0(VALU_DEP_2) | instskip(NEXT) | instid1(VALU_DEP_2)
	v_ashrrev_i32_e32 v14, 31, v13
	v_add_co_u32 v15, s0, s6, v4
	s_delay_alu instid0(VALU_DEP_2) | instskip(NEXT) | instid1(VALU_DEP_4)
	v_lshlrev_b64 v[13:14], 2, v[13:14]
	v_add_co_ci_u32_e64 v16, s0, s7, v5, s0
	s_delay_alu instid0(VALU_DEP_2) | instskip(NEXT) | instid1(VALU_DEP_1)
	v_add_co_u32 v4, s0, s8, v13
	v_add_co_ci_u32_e64 v5, s0, s9, v14, s0
	global_load_u16 v0, v[15:16], off
	global_load_b32 v13, v[4:5], off
                                        ; implicit-def: $vgpr14
	v_cmpx_lt_i32_e32 20, v9
	s_xor_b32 s15, exec_lo, s15
	s_cbranch_execnz .LBB6_423
; %bb.115:
	s_and_not1_saveexec_b32 s15, s15
	s_cbranch_execnz .LBB6_426
.LBB6_116:
	s_or_b32 exec_lo, exec_lo, s15
	s_and_saveexec_b32 s0, s13
	s_delay_alu instid0(SALU_CYCLE_1)
	s_xor_b32 s0, exec_lo, s0
	s_cbranch_execnz .LBB6_427
.LBB6_117:
	s_or_b32 exec_lo, exec_lo, s0
	s_and_saveexec_b32 s0, s3
	s_cbranch_execz .LBB6_119
.LBB6_118:
	global_load_b32 v4, v[4:5], off offset:4
	s_waitcnt vmcnt(0)
	v_alignbit_b32 v4, v4, v13, 30
	s_delay_alu instid0(VALU_DEP_1)
	v_and_b32_e32 v14, 7, v4
.LBB6_119:
	s_or_b32 exec_lo, exec_lo, s0
	v_bfe_u32 v4, v12, 28, 3
	s_delay_alu instid0(VALU_DEP_2) | instskip(SKIP_1) | instid1(VALU_DEP_1)
	v_sub_nc_u32_e32 v5, s1, v14
	v_add_co_u32 v2, s0, v2, s4
	v_add_co_ci_u32_e64 v3, s0, s5, v3, s0
	s_delay_alu instid0(VALU_DEP_3) | instskip(SKIP_1) | instid1(VALU_DEP_1)
	v_add_nc_u32_e32 v4, v5, v4
	s_mov_b32 s15, exec_lo
	v_cvt_f32_i32_e32 v4, v4
	s_delay_alu instid0(VALU_DEP_1) | instskip(SKIP_1) | instid1(VALU_DEP_1)
	v_cvt_f16_f32_e32 v4, v4
	s_waitcnt vmcnt(1)
	v_mul_f16_e32 v0, v0, v4
	global_store_b16 v[2:3], v0, off
	s_load_b32 s0, s[10:11], 0x54
	s_waitcnt lgkmcnt(0)
	s_mul_i32 s3, s14, s0
	v_mad_u64_u32 v[4:5], null, s0, s12, v[1:2]
	s_ashr_i32 s13, s3, 31
	s_delay_alu instid0(SALU_CYCLE_1) | instskip(SKIP_2) | instid1(SALU_CYCLE_1)
	s_lshr_b32 s0, s13, 27
	s_mov_b32 s13, 0
	s_add_i32 s3, s3, s0
	s_ashr_i32 s0, s3, 5
	s_delay_alu instid0(VALU_DEP_1) | instskip(SKIP_3) | instid1(VALU_DEP_2)
	v_ashrrev_i32_e32 v5, 31, v4
	s_waitcnt vmcnt(0)
	v_add_nc_u32_e32 v13, s0, v11
	s_mov_b32 s3, 0
	v_lshlrev_b64 v[4:5], 1, v[4:5]
	s_delay_alu instid0(VALU_DEP_2) | instskip(NEXT) | instid1(VALU_DEP_2)
	v_ashrrev_i32_e32 v14, 31, v13
	v_add_co_u32 v15, s0, s6, v4
	s_delay_alu instid0(VALU_DEP_2) | instskip(NEXT) | instid1(VALU_DEP_4)
	v_lshlrev_b64 v[13:14], 2, v[13:14]
	v_add_co_ci_u32_e64 v16, s0, s7, v5, s0
	s_delay_alu instid0(VALU_DEP_2) | instskip(NEXT) | instid1(VALU_DEP_1)
	v_add_co_u32 v4, s0, s8, v13
	v_add_co_ci_u32_e64 v5, s0, s9, v14, s0
	global_load_u16 v0, v[15:16], off
	global_load_b32 v13, v[4:5], off
                                        ; implicit-def: $vgpr14
	v_cmpx_lt_i32_e32 20, v9
	s_xor_b32 s15, exec_lo, s15
	s_cbranch_execnz .LBB6_436
; %bb.120:
	s_and_not1_saveexec_b32 s15, s15
	s_cbranch_execnz .LBB6_439
.LBB6_121:
	s_or_b32 exec_lo, exec_lo, s15
	s_and_saveexec_b32 s0, s13
	s_delay_alu instid0(SALU_CYCLE_1)
	s_xor_b32 s0, exec_lo, s0
	s_cbranch_execnz .LBB6_440
.LBB6_122:
	s_or_b32 exec_lo, exec_lo, s0
	s_and_saveexec_b32 s0, s3
	s_cbranch_execz .LBB6_124
.LBB6_123:
	global_load_b32 v4, v[4:5], off offset:4
	s_waitcnt vmcnt(0)
	v_alignbit_b32 v4, v4, v13, 30
	s_delay_alu instid0(VALU_DEP_1)
	v_and_b32_e32 v14, 7, v4
.LBB6_124:
	s_or_b32 exec_lo, exec_lo, s0
	v_alignbit_b32 v4, v6, v12, 31
	s_delay_alu instid0(VALU_DEP_2) | instskip(SKIP_1) | instid1(VALU_DEP_1)
	v_sub_nc_u32_e32 v5, s1, v14
	v_add_co_u32 v2, s0, v2, s4
	v_add_co_ci_u32_e64 v3, s0, s5, v3, s0
	s_delay_alu instid0(VALU_DEP_4) | instskip(SKIP_1) | instid1(VALU_DEP_1)
	v_and_b32_e32 v4, 7, v4
	s_mov_b32 s15, exec_lo
	v_add_nc_u32_e32 v4, v5, v4
	s_delay_alu instid0(VALU_DEP_1) | instskip(NEXT) | instid1(VALU_DEP_1)
	v_cvt_f32_i32_e32 v4, v4
	v_cvt_f16_f32_e32 v4, v4
	s_waitcnt vmcnt(1)
	s_delay_alu instid0(VALU_DEP_1)
	v_mul_f16_e32 v0, v0, v4
	global_store_b16 v[2:3], v0, off
	s_load_b32 s0, s[10:11], 0x58
	s_waitcnt lgkmcnt(0)
	s_mul_i32 s3, s14, s0
	v_mad_u64_u32 v[4:5], null, s0, s12, v[1:2]
	s_ashr_i32 s13, s3, 31
	s_delay_alu instid0(SALU_CYCLE_1) | instskip(SKIP_2) | instid1(SALU_CYCLE_1)
	s_lshr_b32 s0, s13, 27
	s_mov_b32 s13, 0
	s_add_i32 s3, s3, s0
	s_ashr_i32 s0, s3, 5
	s_delay_alu instid0(VALU_DEP_1) | instskip(SKIP_2) | instid1(VALU_DEP_2)
	v_ashrrev_i32_e32 v5, 31, v4
	v_add_nc_u32_e32 v12, s0, v11
	s_mov_b32 s3, 0
	v_lshlrev_b64 v[4:5], 1, v[4:5]
	s_waitcnt vmcnt(0)
	s_delay_alu instid0(VALU_DEP_2) | instskip(NEXT) | instid1(VALU_DEP_2)
	v_ashrrev_i32_e32 v13, 31, v12
	v_add_co_u32 v14, s0, s6, v4
	s_delay_alu instid0(VALU_DEP_2) | instskip(NEXT) | instid1(VALU_DEP_4)
	v_lshlrev_b64 v[12:13], 2, v[12:13]
	v_add_co_ci_u32_e64 v15, s0, s7, v5, s0
	s_delay_alu instid0(VALU_DEP_2) | instskip(NEXT) | instid1(VALU_DEP_1)
	v_add_co_u32 v4, s0, s8, v12
	v_add_co_ci_u32_e64 v5, s0, s9, v13, s0
	global_load_u16 v0, v[14:15], off
	global_load_b32 v12, v[4:5], off
                                        ; implicit-def: $vgpr13
	v_cmpx_lt_i32_e32 20, v9
	s_xor_b32 s15, exec_lo, s15
	s_cbranch_execnz .LBB6_449
; %bb.125:
	s_and_not1_saveexec_b32 s15, s15
	s_cbranch_execnz .LBB6_452
.LBB6_126:
	s_or_b32 exec_lo, exec_lo, s15
	s_and_saveexec_b32 s0, s13
	s_delay_alu instid0(SALU_CYCLE_1)
	s_xor_b32 s0, exec_lo, s0
	s_cbranch_execnz .LBB6_453
.LBB6_127:
	s_or_b32 exec_lo, exec_lo, s0
	s_and_saveexec_b32 s0, s3
	s_cbranch_execz .LBB6_129
.LBB6_128:
	global_load_b32 v4, v[4:5], off offset:4
	s_waitcnt vmcnt(0)
	v_alignbit_b32 v4, v4, v12, 30
	s_delay_alu instid0(VALU_DEP_1)
	v_and_b32_e32 v13, 7, v4
.LBB6_129:
	s_or_b32 exec_lo, exec_lo, s0
	v_bfe_u32 v4, v6, 2, 3
	s_delay_alu instid0(VALU_DEP_2) | instskip(SKIP_1) | instid1(VALU_DEP_1)
	v_sub_nc_u32_e32 v5, s1, v13
	v_add_co_u32 v2, s0, v2, s4
	v_add_co_ci_u32_e64 v3, s0, s5, v3, s0
	s_delay_alu instid0(VALU_DEP_3) | instskip(SKIP_1) | instid1(VALU_DEP_1)
	v_add_nc_u32_e32 v4, v5, v4
	s_mov_b32 s15, exec_lo
	v_cvt_f32_i32_e32 v4, v4
	s_delay_alu instid0(VALU_DEP_1) | instskip(SKIP_1) | instid1(VALU_DEP_1)
	v_cvt_f16_f32_e32 v4, v4
	s_waitcnt vmcnt(1)
	v_mul_f16_e32 v0, v0, v4
	global_store_b16 v[2:3], v0, off
	s_load_b32 s0, s[10:11], 0x5c
	s_waitcnt lgkmcnt(0)
	s_mul_i32 s3, s14, s0
	v_mad_u64_u32 v[4:5], null, s0, s12, v[1:2]
	s_ashr_i32 s13, s3, 31
	s_delay_alu instid0(SALU_CYCLE_1) | instskip(SKIP_2) | instid1(SALU_CYCLE_1)
	s_lshr_b32 s0, s13, 27
	s_mov_b32 s13, 0
	s_add_i32 s3, s3, s0
	s_ashr_i32 s0, s3, 5
	s_delay_alu instid0(VALU_DEP_1) | instskip(SKIP_3) | instid1(VALU_DEP_2)
	v_ashrrev_i32_e32 v5, 31, v4
	s_waitcnt vmcnt(0)
	v_add_nc_u32_e32 v12, s0, v11
	s_mov_b32 s3, 0
	v_lshlrev_b64 v[4:5], 1, v[4:5]
	s_delay_alu instid0(VALU_DEP_2) | instskip(NEXT) | instid1(VALU_DEP_2)
	v_ashrrev_i32_e32 v13, 31, v12
	v_add_co_u32 v14, s0, s6, v4
	s_delay_alu instid0(VALU_DEP_2) | instskip(NEXT) | instid1(VALU_DEP_4)
	v_lshlrev_b64 v[12:13], 2, v[12:13]
	v_add_co_ci_u32_e64 v15, s0, s7, v5, s0
	s_delay_alu instid0(VALU_DEP_2) | instskip(NEXT) | instid1(VALU_DEP_1)
	v_add_co_u32 v4, s0, s8, v12
	v_add_co_ci_u32_e64 v5, s0, s9, v13, s0
	global_load_u16 v0, v[14:15], off
	global_load_b32 v12, v[4:5], off
                                        ; implicit-def: $vgpr13
	v_cmpx_lt_i32_e32 20, v9
	s_xor_b32 s15, exec_lo, s15
	s_cbranch_execnz .LBB6_462
; %bb.130:
	s_and_not1_saveexec_b32 s15, s15
	s_cbranch_execnz .LBB6_465
.LBB6_131:
	s_or_b32 exec_lo, exec_lo, s15
	s_and_saveexec_b32 s0, s13
	s_delay_alu instid0(SALU_CYCLE_1)
	s_xor_b32 s0, exec_lo, s0
	s_cbranch_execnz .LBB6_466
.LBB6_132:
	s_or_b32 exec_lo, exec_lo, s0
	s_and_saveexec_b32 s0, s3
	s_cbranch_execz .LBB6_134
.LBB6_133:
	global_load_b32 v4, v[4:5], off offset:4
	s_waitcnt vmcnt(0)
	v_alignbit_b32 v4, v4, v12, 30
	s_delay_alu instid0(VALU_DEP_1)
	v_and_b32_e32 v13, 7, v4
.LBB6_134:
	s_or_b32 exec_lo, exec_lo, s0
	v_bfe_u32 v4, v6, 5, 3
	s_delay_alu instid0(VALU_DEP_2) | instskip(SKIP_1) | instid1(VALU_DEP_1)
	v_sub_nc_u32_e32 v5, s1, v13
	v_add_co_u32 v2, s0, v2, s4
	v_add_co_ci_u32_e64 v3, s0, s5, v3, s0
	s_delay_alu instid0(VALU_DEP_3) | instskip(SKIP_1) | instid1(VALU_DEP_1)
	v_add_nc_u32_e32 v4, v5, v4
	s_mov_b32 s15, exec_lo
	v_cvt_f32_i32_e32 v4, v4
	s_delay_alu instid0(VALU_DEP_1) | instskip(SKIP_1) | instid1(VALU_DEP_1)
	v_cvt_f16_f32_e32 v4, v4
	s_waitcnt vmcnt(1)
	v_mul_f16_e32 v0, v0, v4
	global_store_b16 v[2:3], v0, off
	s_load_b32 s0, s[10:11], 0x60
	s_waitcnt lgkmcnt(0)
	s_mul_i32 s3, s14, s0
	v_mad_u64_u32 v[4:5], null, s0, s12, v[1:2]
	s_ashr_i32 s13, s3, 31
	s_delay_alu instid0(SALU_CYCLE_1) | instskip(SKIP_2) | instid1(SALU_CYCLE_1)
	s_lshr_b32 s0, s13, 27
	s_mov_b32 s13, 0
	s_add_i32 s3, s3, s0
	s_ashr_i32 s0, s3, 5
	s_delay_alu instid0(VALU_DEP_1) | instskip(SKIP_3) | instid1(VALU_DEP_2)
	v_ashrrev_i32_e32 v5, 31, v4
	s_waitcnt vmcnt(0)
	v_add_nc_u32_e32 v12, s0, v11
	s_mov_b32 s3, 0
	v_lshlrev_b64 v[4:5], 1, v[4:5]
	s_delay_alu instid0(VALU_DEP_2) | instskip(NEXT) | instid1(VALU_DEP_2)
	v_ashrrev_i32_e32 v13, 31, v12
	v_add_co_u32 v14, s0, s6, v4
	s_delay_alu instid0(VALU_DEP_2) | instskip(NEXT) | instid1(VALU_DEP_4)
	v_lshlrev_b64 v[12:13], 2, v[12:13]
	v_add_co_ci_u32_e64 v15, s0, s7, v5, s0
	s_delay_alu instid0(VALU_DEP_2) | instskip(NEXT) | instid1(VALU_DEP_1)
	v_add_co_u32 v4, s0, s8, v12
	v_add_co_ci_u32_e64 v5, s0, s9, v13, s0
	global_load_u16 v0, v[14:15], off
	global_load_b32 v12, v[4:5], off
                                        ; implicit-def: $vgpr13
	v_cmpx_lt_i32_e32 20, v9
	s_xor_b32 s15, exec_lo, s15
	s_cbranch_execnz .LBB6_475
; %bb.135:
	s_and_not1_saveexec_b32 s15, s15
	s_cbranch_execnz .LBB6_478
.LBB6_136:
	s_or_b32 exec_lo, exec_lo, s15
	s_and_saveexec_b32 s0, s13
	s_delay_alu instid0(SALU_CYCLE_1)
	s_xor_b32 s0, exec_lo, s0
	s_cbranch_execnz .LBB6_479
.LBB6_137:
	s_or_b32 exec_lo, exec_lo, s0
	s_and_saveexec_b32 s0, s3
	s_cbranch_execz .LBB6_139
.LBB6_138:
	global_load_b32 v4, v[4:5], off offset:4
	s_waitcnt vmcnt(0)
	v_alignbit_b32 v4, v4, v12, 30
	s_delay_alu instid0(VALU_DEP_1)
	v_and_b32_e32 v13, 7, v4
.LBB6_139:
	s_or_b32 exec_lo, exec_lo, s0
	v_bfe_u32 v4, v6, 8, 3
	s_delay_alu instid0(VALU_DEP_2) | instskip(SKIP_1) | instid1(VALU_DEP_1)
	v_sub_nc_u32_e32 v5, s1, v13
	v_add_co_u32 v2, s0, v2, s4
	v_add_co_ci_u32_e64 v3, s0, s5, v3, s0
	s_delay_alu instid0(VALU_DEP_3) | instskip(SKIP_1) | instid1(VALU_DEP_1)
	v_add_nc_u32_e32 v4, v5, v4
	s_mov_b32 s15, exec_lo
	v_cvt_f32_i32_e32 v4, v4
	s_delay_alu instid0(VALU_DEP_1) | instskip(SKIP_1) | instid1(VALU_DEP_1)
	v_cvt_f16_f32_e32 v4, v4
	s_waitcnt vmcnt(1)
	v_mul_f16_e32 v0, v0, v4
	global_store_b16 v[2:3], v0, off
	s_load_b32 s0, s[10:11], 0x64
	s_waitcnt lgkmcnt(0)
	s_mul_i32 s3, s14, s0
	v_mad_u64_u32 v[4:5], null, s0, s12, v[1:2]
	s_ashr_i32 s13, s3, 31
	s_delay_alu instid0(SALU_CYCLE_1) | instskip(SKIP_2) | instid1(SALU_CYCLE_1)
	s_lshr_b32 s0, s13, 27
	s_mov_b32 s13, 0
	s_add_i32 s3, s3, s0
	s_ashr_i32 s0, s3, 5
	s_delay_alu instid0(VALU_DEP_1) | instskip(SKIP_3) | instid1(VALU_DEP_2)
	v_ashrrev_i32_e32 v5, 31, v4
	s_waitcnt vmcnt(0)
	v_add_nc_u32_e32 v12, s0, v11
	s_mov_b32 s3, 0
	v_lshlrev_b64 v[4:5], 1, v[4:5]
	s_delay_alu instid0(VALU_DEP_2) | instskip(NEXT) | instid1(VALU_DEP_2)
	v_ashrrev_i32_e32 v13, 31, v12
	v_add_co_u32 v14, s0, s6, v4
	s_delay_alu instid0(VALU_DEP_2) | instskip(NEXT) | instid1(VALU_DEP_4)
	v_lshlrev_b64 v[12:13], 2, v[12:13]
	v_add_co_ci_u32_e64 v15, s0, s7, v5, s0
	s_delay_alu instid0(VALU_DEP_2) | instskip(NEXT) | instid1(VALU_DEP_1)
	v_add_co_u32 v4, s0, s8, v12
	v_add_co_ci_u32_e64 v5, s0, s9, v13, s0
	global_load_u16 v0, v[14:15], off
	global_load_b32 v12, v[4:5], off
                                        ; implicit-def: $vgpr13
	v_cmpx_lt_i32_e32 20, v9
	s_xor_b32 s15, exec_lo, s15
	s_cbranch_execnz .LBB6_488
; %bb.140:
	s_and_not1_saveexec_b32 s15, s15
	s_cbranch_execnz .LBB6_491
.LBB6_141:
	s_or_b32 exec_lo, exec_lo, s15
	s_and_saveexec_b32 s0, s13
	s_delay_alu instid0(SALU_CYCLE_1)
	s_xor_b32 s0, exec_lo, s0
	s_cbranch_execnz .LBB6_492
.LBB6_142:
	s_or_b32 exec_lo, exec_lo, s0
	s_and_saveexec_b32 s0, s3
	s_cbranch_execz .LBB6_144
.LBB6_143:
	global_load_b32 v4, v[4:5], off offset:4
	s_waitcnt vmcnt(0)
	v_alignbit_b32 v4, v4, v12, 30
	s_delay_alu instid0(VALU_DEP_1)
	v_and_b32_e32 v13, 7, v4
.LBB6_144:
	s_or_b32 exec_lo, exec_lo, s0
	v_bfe_u32 v4, v6, 11, 3
	s_delay_alu instid0(VALU_DEP_2) | instskip(SKIP_1) | instid1(VALU_DEP_1)
	v_sub_nc_u32_e32 v5, s1, v13
	v_add_co_u32 v2, s0, v2, s4
	v_add_co_ci_u32_e64 v3, s0, s5, v3, s0
	s_delay_alu instid0(VALU_DEP_3) | instskip(SKIP_1) | instid1(VALU_DEP_1)
	v_add_nc_u32_e32 v4, v5, v4
	s_mov_b32 s15, exec_lo
	v_cvt_f32_i32_e32 v4, v4
	s_delay_alu instid0(VALU_DEP_1) | instskip(SKIP_1) | instid1(VALU_DEP_1)
	v_cvt_f16_f32_e32 v4, v4
	s_waitcnt vmcnt(1)
	v_mul_f16_e32 v0, v0, v4
	global_store_b16 v[2:3], v0, off
	s_load_b32 s0, s[10:11], 0x68
	s_waitcnt lgkmcnt(0)
	s_mul_i32 s3, s14, s0
	v_mad_u64_u32 v[4:5], null, s0, s12, v[1:2]
	s_ashr_i32 s13, s3, 31
	s_delay_alu instid0(SALU_CYCLE_1) | instskip(SKIP_2) | instid1(SALU_CYCLE_1)
	s_lshr_b32 s0, s13, 27
	s_mov_b32 s13, 0
	s_add_i32 s3, s3, s0
	s_ashr_i32 s0, s3, 5
	s_delay_alu instid0(VALU_DEP_1) | instskip(SKIP_3) | instid1(VALU_DEP_2)
	v_ashrrev_i32_e32 v5, 31, v4
	s_waitcnt vmcnt(0)
	v_add_nc_u32_e32 v12, s0, v11
	s_mov_b32 s3, 0
	v_lshlrev_b64 v[4:5], 1, v[4:5]
	s_delay_alu instid0(VALU_DEP_2) | instskip(NEXT) | instid1(VALU_DEP_2)
	v_ashrrev_i32_e32 v13, 31, v12
	v_add_co_u32 v14, s0, s6, v4
	s_delay_alu instid0(VALU_DEP_2) | instskip(NEXT) | instid1(VALU_DEP_4)
	v_lshlrev_b64 v[12:13], 2, v[12:13]
	v_add_co_ci_u32_e64 v15, s0, s7, v5, s0
	s_delay_alu instid0(VALU_DEP_2) | instskip(NEXT) | instid1(VALU_DEP_1)
	v_add_co_u32 v4, s0, s8, v12
	v_add_co_ci_u32_e64 v5, s0, s9, v13, s0
	global_load_u16 v0, v[14:15], off
	global_load_b32 v12, v[4:5], off
                                        ; implicit-def: $vgpr13
	v_cmpx_lt_i32_e32 20, v9
	s_xor_b32 s15, exec_lo, s15
	s_cbranch_execnz .LBB6_501
; %bb.145:
	s_and_not1_saveexec_b32 s15, s15
	s_cbranch_execnz .LBB6_504
.LBB6_146:
	s_or_b32 exec_lo, exec_lo, s15
	s_and_saveexec_b32 s0, s13
	s_delay_alu instid0(SALU_CYCLE_1)
	s_xor_b32 s0, exec_lo, s0
	s_cbranch_execnz .LBB6_505
.LBB6_147:
	s_or_b32 exec_lo, exec_lo, s0
	s_and_saveexec_b32 s0, s3
	s_cbranch_execz .LBB6_149
.LBB6_148:
	global_load_b32 v4, v[4:5], off offset:4
	s_waitcnt vmcnt(0)
	v_alignbit_b32 v4, v4, v12, 30
	s_delay_alu instid0(VALU_DEP_1)
	v_and_b32_e32 v13, 7, v4
.LBB6_149:
	s_or_b32 exec_lo, exec_lo, s0
	v_bfe_u32 v4, v6, 14, 3
	s_delay_alu instid0(VALU_DEP_2) | instskip(SKIP_1) | instid1(VALU_DEP_1)
	v_sub_nc_u32_e32 v5, s1, v13
	v_add_co_u32 v2, s0, v2, s4
	v_add_co_ci_u32_e64 v3, s0, s5, v3, s0
	s_delay_alu instid0(VALU_DEP_3) | instskip(SKIP_1) | instid1(VALU_DEP_1)
	v_add_nc_u32_e32 v4, v5, v4
	s_mov_b32 s15, exec_lo
	v_cvt_f32_i32_e32 v4, v4
	s_delay_alu instid0(VALU_DEP_1) | instskip(SKIP_1) | instid1(VALU_DEP_1)
	v_cvt_f16_f32_e32 v4, v4
	s_waitcnt vmcnt(1)
	v_mul_f16_e32 v0, v0, v4
	global_store_b16 v[2:3], v0, off
	s_load_b32 s0, s[10:11], 0x6c
	s_waitcnt lgkmcnt(0)
	s_mul_i32 s3, s14, s0
	v_mad_u64_u32 v[4:5], null, s0, s12, v[1:2]
	s_ashr_i32 s13, s3, 31
	s_delay_alu instid0(SALU_CYCLE_1) | instskip(SKIP_2) | instid1(SALU_CYCLE_1)
	s_lshr_b32 s0, s13, 27
	s_mov_b32 s13, 0
	s_add_i32 s3, s3, s0
	s_ashr_i32 s0, s3, 5
	s_delay_alu instid0(VALU_DEP_1) | instskip(SKIP_3) | instid1(VALU_DEP_2)
	v_ashrrev_i32_e32 v5, 31, v4
	s_waitcnt vmcnt(0)
	v_add_nc_u32_e32 v12, s0, v11
	s_mov_b32 s3, 0
	v_lshlrev_b64 v[4:5], 1, v[4:5]
	s_delay_alu instid0(VALU_DEP_2) | instskip(NEXT) | instid1(VALU_DEP_2)
	v_ashrrev_i32_e32 v13, 31, v12
	v_add_co_u32 v14, s0, s6, v4
	s_delay_alu instid0(VALU_DEP_2) | instskip(NEXT) | instid1(VALU_DEP_4)
	v_lshlrev_b64 v[12:13], 2, v[12:13]
	v_add_co_ci_u32_e64 v15, s0, s7, v5, s0
	s_delay_alu instid0(VALU_DEP_2) | instskip(NEXT) | instid1(VALU_DEP_1)
	v_add_co_u32 v4, s0, s8, v12
	v_add_co_ci_u32_e64 v5, s0, s9, v13, s0
	global_load_u16 v0, v[14:15], off
	global_load_b32 v12, v[4:5], off
                                        ; implicit-def: $vgpr13
	v_cmpx_lt_i32_e32 20, v9
	s_xor_b32 s15, exec_lo, s15
	s_cbranch_execnz .LBB6_514
; %bb.150:
	s_and_not1_saveexec_b32 s15, s15
	s_cbranch_execnz .LBB6_517
.LBB6_151:
	s_or_b32 exec_lo, exec_lo, s15
	s_and_saveexec_b32 s0, s13
	s_delay_alu instid0(SALU_CYCLE_1)
	s_xor_b32 s0, exec_lo, s0
	s_cbranch_execnz .LBB6_518
.LBB6_152:
	s_or_b32 exec_lo, exec_lo, s0
	s_and_saveexec_b32 s0, s3
	s_cbranch_execz .LBB6_154
.LBB6_153:
	global_load_b32 v4, v[4:5], off offset:4
	s_waitcnt vmcnt(0)
	v_alignbit_b32 v4, v4, v12, 30
	s_delay_alu instid0(VALU_DEP_1)
	v_and_b32_e32 v13, 7, v4
.LBB6_154:
	s_or_b32 exec_lo, exec_lo, s0
	v_bfe_u32 v4, v6, 17, 3
	s_delay_alu instid0(VALU_DEP_2) | instskip(SKIP_1) | instid1(VALU_DEP_1)
	v_sub_nc_u32_e32 v5, s1, v13
	v_add_co_u32 v2, s0, v2, s4
	v_add_co_ci_u32_e64 v3, s0, s5, v3, s0
	s_delay_alu instid0(VALU_DEP_3) | instskip(SKIP_1) | instid1(VALU_DEP_1)
	v_add_nc_u32_e32 v4, v5, v4
	s_mov_b32 s15, exec_lo
	v_cvt_f32_i32_e32 v4, v4
	s_delay_alu instid0(VALU_DEP_1) | instskip(SKIP_1) | instid1(VALU_DEP_1)
	v_cvt_f16_f32_e32 v4, v4
	s_waitcnt vmcnt(1)
	v_mul_f16_e32 v0, v0, v4
	global_store_b16 v[2:3], v0, off
	s_load_b32 s0, s[10:11], 0x70
	s_waitcnt lgkmcnt(0)
	s_mul_i32 s3, s14, s0
	v_mad_u64_u32 v[4:5], null, s0, s12, v[1:2]
	s_ashr_i32 s13, s3, 31
	s_delay_alu instid0(SALU_CYCLE_1) | instskip(SKIP_2) | instid1(SALU_CYCLE_1)
	s_lshr_b32 s0, s13, 27
	s_mov_b32 s13, 0
	s_add_i32 s3, s3, s0
	s_ashr_i32 s0, s3, 5
	s_delay_alu instid0(VALU_DEP_1) | instskip(SKIP_3) | instid1(VALU_DEP_2)
	v_ashrrev_i32_e32 v5, 31, v4
	s_waitcnt vmcnt(0)
	v_add_nc_u32_e32 v12, s0, v11
	s_mov_b32 s3, 0
	v_lshlrev_b64 v[4:5], 1, v[4:5]
	s_delay_alu instid0(VALU_DEP_2) | instskip(NEXT) | instid1(VALU_DEP_2)
	v_ashrrev_i32_e32 v13, 31, v12
	v_add_co_u32 v14, s0, s6, v4
	s_delay_alu instid0(VALU_DEP_2) | instskip(NEXT) | instid1(VALU_DEP_4)
	v_lshlrev_b64 v[12:13], 2, v[12:13]
	v_add_co_ci_u32_e64 v15, s0, s7, v5, s0
	s_delay_alu instid0(VALU_DEP_2) | instskip(NEXT) | instid1(VALU_DEP_1)
	v_add_co_u32 v4, s0, s8, v12
	v_add_co_ci_u32_e64 v5, s0, s9, v13, s0
	global_load_u16 v0, v[14:15], off
	global_load_b32 v12, v[4:5], off
                                        ; implicit-def: $vgpr13
	v_cmpx_lt_i32_e32 20, v9
	s_xor_b32 s15, exec_lo, s15
	s_cbranch_execnz .LBB6_527
; %bb.155:
	s_and_not1_saveexec_b32 s15, s15
	s_cbranch_execnz .LBB6_530
.LBB6_156:
	s_or_b32 exec_lo, exec_lo, s15
	s_and_saveexec_b32 s0, s13
	s_delay_alu instid0(SALU_CYCLE_1)
	s_xor_b32 s0, exec_lo, s0
	s_cbranch_execnz .LBB6_531
.LBB6_157:
	s_or_b32 exec_lo, exec_lo, s0
	s_and_saveexec_b32 s0, s3
	s_cbranch_execz .LBB6_159
.LBB6_158:
	global_load_b32 v4, v[4:5], off offset:4
	s_waitcnt vmcnt(0)
	v_alignbit_b32 v4, v4, v12, 30
	s_delay_alu instid0(VALU_DEP_1)
	v_and_b32_e32 v13, 7, v4
.LBB6_159:
	s_or_b32 exec_lo, exec_lo, s0
	v_bfe_u32 v4, v6, 20, 3
	s_delay_alu instid0(VALU_DEP_2) | instskip(SKIP_1) | instid1(VALU_DEP_1)
	v_sub_nc_u32_e32 v5, s1, v13
	v_add_co_u32 v2, s0, v2, s4
	v_add_co_ci_u32_e64 v3, s0, s5, v3, s0
	s_delay_alu instid0(VALU_DEP_3) | instskip(SKIP_1) | instid1(VALU_DEP_1)
	v_add_nc_u32_e32 v4, v5, v4
	s_mov_b32 s15, exec_lo
	v_cvt_f32_i32_e32 v4, v4
	s_delay_alu instid0(VALU_DEP_1) | instskip(SKIP_1) | instid1(VALU_DEP_1)
	v_cvt_f16_f32_e32 v4, v4
	s_waitcnt vmcnt(1)
	v_mul_f16_e32 v0, v0, v4
	global_store_b16 v[2:3], v0, off
	s_load_b32 s0, s[10:11], 0x74
	s_waitcnt lgkmcnt(0)
	s_mul_i32 s3, s14, s0
	v_mad_u64_u32 v[4:5], null, s0, s12, v[1:2]
	s_ashr_i32 s13, s3, 31
	s_delay_alu instid0(SALU_CYCLE_1) | instskip(SKIP_2) | instid1(SALU_CYCLE_1)
	s_lshr_b32 s0, s13, 27
	s_mov_b32 s13, 0
	s_add_i32 s3, s3, s0
	s_ashr_i32 s0, s3, 5
	s_delay_alu instid0(VALU_DEP_1) | instskip(SKIP_3) | instid1(VALU_DEP_2)
	v_ashrrev_i32_e32 v5, 31, v4
	s_waitcnt vmcnt(0)
	v_add_nc_u32_e32 v12, s0, v11
	s_mov_b32 s3, 0
	v_lshlrev_b64 v[4:5], 1, v[4:5]
	s_delay_alu instid0(VALU_DEP_2) | instskip(NEXT) | instid1(VALU_DEP_2)
	v_ashrrev_i32_e32 v13, 31, v12
	v_add_co_u32 v14, s0, s6, v4
	s_delay_alu instid0(VALU_DEP_2) | instskip(NEXT) | instid1(VALU_DEP_4)
	v_lshlrev_b64 v[12:13], 2, v[12:13]
	v_add_co_ci_u32_e64 v15, s0, s7, v5, s0
	s_delay_alu instid0(VALU_DEP_2) | instskip(NEXT) | instid1(VALU_DEP_1)
	v_add_co_u32 v4, s0, s8, v12
	v_add_co_ci_u32_e64 v5, s0, s9, v13, s0
	global_load_u16 v0, v[14:15], off
	global_load_b32 v12, v[4:5], off
                                        ; implicit-def: $vgpr13
	v_cmpx_lt_i32_e32 20, v9
	s_xor_b32 s15, exec_lo, s15
	s_cbranch_execnz .LBB6_540
; %bb.160:
	s_and_not1_saveexec_b32 s15, s15
	s_cbranch_execnz .LBB6_543
.LBB6_161:
	s_or_b32 exec_lo, exec_lo, s15
	s_and_saveexec_b32 s0, s13
	s_delay_alu instid0(SALU_CYCLE_1)
	s_xor_b32 s0, exec_lo, s0
	s_cbranch_execnz .LBB6_544
.LBB6_162:
	s_or_b32 exec_lo, exec_lo, s0
	s_and_saveexec_b32 s0, s3
	s_cbranch_execz .LBB6_164
.LBB6_163:
	global_load_b32 v4, v[4:5], off offset:4
	s_waitcnt vmcnt(0)
	v_alignbit_b32 v4, v4, v12, 30
	s_delay_alu instid0(VALU_DEP_1)
	v_and_b32_e32 v13, 7, v4
.LBB6_164:
	s_or_b32 exec_lo, exec_lo, s0
	v_bfe_u32 v4, v6, 23, 3
	s_delay_alu instid0(VALU_DEP_2) | instskip(SKIP_1) | instid1(VALU_DEP_1)
	v_sub_nc_u32_e32 v5, s1, v13
	v_add_co_u32 v2, s0, v2, s4
	v_add_co_ci_u32_e64 v3, s0, s5, v3, s0
	s_delay_alu instid0(VALU_DEP_3) | instskip(SKIP_1) | instid1(VALU_DEP_1)
	v_add_nc_u32_e32 v4, v5, v4
	s_mov_b32 s15, exec_lo
	v_cvt_f32_i32_e32 v4, v4
	s_delay_alu instid0(VALU_DEP_1) | instskip(SKIP_1) | instid1(VALU_DEP_1)
	v_cvt_f16_f32_e32 v4, v4
	s_waitcnt vmcnt(1)
	v_mul_f16_e32 v0, v0, v4
	global_store_b16 v[2:3], v0, off
	s_load_b32 s0, s[10:11], 0x78
	s_waitcnt lgkmcnt(0)
	s_mul_i32 s3, s14, s0
	v_mad_u64_u32 v[4:5], null, s0, s12, v[1:2]
	s_ashr_i32 s13, s3, 31
	s_delay_alu instid0(SALU_CYCLE_1) | instskip(SKIP_2) | instid1(SALU_CYCLE_1)
	s_lshr_b32 s0, s13, 27
	s_mov_b32 s13, 0
	s_add_i32 s3, s3, s0
	s_ashr_i32 s0, s3, 5
	s_delay_alu instid0(VALU_DEP_1) | instskip(SKIP_3) | instid1(VALU_DEP_2)
	v_ashrrev_i32_e32 v5, 31, v4
	s_waitcnt vmcnt(0)
	v_add_nc_u32_e32 v12, s0, v11
	s_mov_b32 s3, 0
	v_lshlrev_b64 v[4:5], 1, v[4:5]
	s_delay_alu instid0(VALU_DEP_2) | instskip(NEXT) | instid1(VALU_DEP_2)
	v_ashrrev_i32_e32 v13, 31, v12
	v_add_co_u32 v14, s0, s6, v4
	s_delay_alu instid0(VALU_DEP_2) | instskip(NEXT) | instid1(VALU_DEP_4)
	v_lshlrev_b64 v[12:13], 2, v[12:13]
	v_add_co_ci_u32_e64 v15, s0, s7, v5, s0
	s_delay_alu instid0(VALU_DEP_2) | instskip(NEXT) | instid1(VALU_DEP_1)
	v_add_co_u32 v4, s0, s8, v12
	v_add_co_ci_u32_e64 v5, s0, s9, v13, s0
	global_load_u16 v0, v[14:15], off
	global_load_b32 v12, v[4:5], off
                                        ; implicit-def: $vgpr13
	v_cmpx_lt_i32_e32 20, v9
	s_xor_b32 s15, exec_lo, s15
	s_cbranch_execnz .LBB6_553
; %bb.165:
	s_and_not1_saveexec_b32 s15, s15
	s_cbranch_execnz .LBB6_556
.LBB6_166:
	s_or_b32 exec_lo, exec_lo, s15
	s_and_saveexec_b32 s0, s13
	s_delay_alu instid0(SALU_CYCLE_1)
	s_xor_b32 s0, exec_lo, s0
	s_cbranch_execnz .LBB6_557
.LBB6_167:
	s_or_b32 exec_lo, exec_lo, s0
	s_and_saveexec_b32 s0, s3
	s_cbranch_execz .LBB6_169
.LBB6_168:
	global_load_b32 v4, v[4:5], off offset:4
	s_waitcnt vmcnt(0)
	v_alignbit_b32 v4, v4, v12, 30
	s_delay_alu instid0(VALU_DEP_1)
	v_and_b32_e32 v13, 7, v4
.LBB6_169:
	s_or_b32 exec_lo, exec_lo, s0
	v_bfe_u32 v4, v6, 26, 3
	s_delay_alu instid0(VALU_DEP_2) | instskip(SKIP_1) | instid1(VALU_DEP_1)
	v_sub_nc_u32_e32 v5, s1, v13
	v_add_co_u32 v2, s0, v2, s4
	v_add_co_ci_u32_e64 v3, s0, s5, v3, s0
	s_delay_alu instid0(VALU_DEP_3) | instskip(NEXT) | instid1(VALU_DEP_1)
	v_add_nc_u32_e32 v4, v5, v4
	v_cvt_f32_i32_e32 v4, v4
	s_delay_alu instid0(VALU_DEP_1) | instskip(SKIP_1) | instid1(VALU_DEP_1)
	v_cvt_f16_f32_e32 v4, v4
	s_waitcnt vmcnt(1)
	v_mul_f16_e32 v0, v0, v4
	global_store_b16 v[2:3], v0, off
	s_load_b32 s0, s[10:11], 0x7c
	s_waitcnt lgkmcnt(0)
	s_mul_i32 s3, s14, s0
	v_mad_u64_u32 v[4:5], null, s0, s12, v[1:2]
	s_ashr_i32 s10, s3, 31
	s_delay_alu instid0(SALU_CYCLE_1) | instskip(NEXT) | instid1(SALU_CYCLE_1)
	s_lshr_b32 s0, s10, 27
	s_add_i32 s3, s3, s0
	s_delay_alu instid0(SALU_CYCLE_1) | instskip(NEXT) | instid1(VALU_DEP_1)
	s_ashr_i32 s0, s3, 5
	v_ashrrev_i32_e32 v5, 31, v4
	v_add_nc_u32_e32 v0, s0, v11
	s_mov_b32 s3, 0
                                        ; implicit-def: $vgpr11
	s_delay_alu instid0(VALU_DEP_2) | instskip(NEXT) | instid1(VALU_DEP_2)
	v_lshlrev_b64 v[4:5], 1, v[4:5]
	v_ashrrev_i32_e32 v1, 31, v0
	s_delay_alu instid0(VALU_DEP_2) | instskip(NEXT) | instid1(VALU_DEP_2)
	v_add_co_u32 v4, s0, s6, v4
	v_lshlrev_b64 v[0:1], 2, v[0:1]
	s_delay_alu instid0(VALU_DEP_4) | instskip(SKIP_2) | instid1(VALU_DEP_2)
	v_add_co_ci_u32_e64 v5, s0, s7, v5, s0
	s_mov_b32 s6, 0
	s_mov_b32 s7, exec_lo
	v_add_co_u32 v0, s0, s8, v0
	s_delay_alu instid0(VALU_DEP_1)
	v_add_co_ci_u32_e64 v1, s0, s9, v1, s0
	global_load_u16 v4, v[4:5], off
	global_load_b32 v5, v[0:1], off
	v_cmpx_lt_i32_e32 20, v9
	s_xor_b32 s7, exec_lo, s7
	s_cbranch_execnz .LBB6_566
; %bb.170:
	s_and_not1_saveexec_b32 s7, s7
	s_cbranch_execnz .LBB6_569
.LBB6_171:
	s_or_b32 exec_lo, exec_lo, s7
	s_and_saveexec_b32 s0, s6
	s_delay_alu instid0(SALU_CYCLE_1)
	s_xor_b32 s0, exec_lo, s0
	s_cbranch_execnz .LBB6_570
.LBB6_172:
	s_or_b32 exec_lo, exec_lo, s0
	s_and_saveexec_b32 s0, s3
	s_cbranch_execz .LBB6_174
.LBB6_173:
	global_load_b32 v0, v[0:1], off offset:4
	s_waitcnt vmcnt(0)
	v_alignbit_b32 v0, v0, v5, 30
	s_delay_alu instid0(VALU_DEP_1)
	v_and_b32_e32 v11, 7, v0
.LBB6_174:
	s_or_b32 exec_lo, exec_lo, s0
	v_lshrrev_b32_e32 v0, 29, v6
	s_delay_alu instid0(VALU_DEP_2) | instskip(NEXT) | instid1(VALU_DEP_1)
	v_sub_nc_u32_e32 v1, s1, v11
	v_add_nc_u32_e32 v0, v1, v0
	s_delay_alu instid0(VALU_DEP_1) | instskip(SKIP_1) | instid1(VALU_DEP_1)
	v_cvt_f32_i32_e32 v0, v0
	s_waitcnt vmcnt(0)
	v_cvt_f16_f32_e32 v5, v0
	v_add_co_u32 v0, vcc_lo, v2, s4
	v_add_co_ci_u32_e32 v1, vcc_lo, s5, v3, vcc_lo
	s_delay_alu instid0(VALU_DEP_3)
	v_mul_f16_e32 v2, v4, v5
	global_store_b16 v[0:1], v2, off
.LBB6_175:
	s_nop 0
	s_sendmsg sendmsg(MSG_DEALLOC_VGPRS)
	s_endpgm
.LBB6_176:
	s_mov_b32 s4, -1
	s_mov_b32 s13, exec_lo
                                        ; implicit-def: $vgpr15
	v_cmpx_eq_u32_e32 21, v9
	s_cbranch_execz .LBB6_178
; %bb.177:
	global_load_b32 v15, v[4:5], off offset:4
	s_xor_b32 s4, exec_lo, -1
	s_waitcnt vmcnt(0)
	v_alignbit_b32 v15, v15, v14, 31
	s_delay_alu instid0(VALU_DEP_1)
	v_and_b32_e32 v15, 7, v15
.LBB6_178:
	s_or_b32 exec_lo, exec_lo, s13
	s_delay_alu instid0(SALU_CYCLE_1)
	s_and_b32 s4, s4, exec_lo
	s_and_not1_saveexec_b32 s5, s5
	s_cbranch_execz .LBB6_21
.LBB6_179:
	v_cmp_ne_u32_e64 s0, 10, v9
	s_and_not1_b32 s4, s4, exec_lo
	s_mov_b32 s3, exec_lo
                                        ; implicit-def: $vgpr15
	s_delay_alu instid0(VALU_DEP_1) | instskip(NEXT) | instid1(SALU_CYCLE_1)
	s_and_b32 s0, s0, exec_lo
	s_or_b32 s4, s4, s0
	s_or_b32 exec_lo, exec_lo, s5
	s_and_saveexec_b32 s0, s4
	s_delay_alu instid0(SALU_CYCLE_1)
	s_xor_b32 s0, exec_lo, s0
	s_cbranch_execz .LBB6_22
.LBB6_180:
                                        ; implicit-def: $vgpr15
	s_and_saveexec_b32 s4, s2
	s_delay_alu instid0(SALU_CYCLE_1)
	s_xor_b32 s4, exec_lo, s4
	s_cbranch_execz .LBB6_186
; %bb.181:
                                        ; implicit-def: $vgpr15
	s_and_saveexec_b32 s5, vcc_lo
	s_delay_alu instid0(SALU_CYCLE_1)
	s_xor_b32 s5, exec_lo, s5
	s_cbranch_execz .LBB6_183
; %bb.182:
	s_waitcnt vmcnt(0)
	v_bfe_u32 v15, v14, v10, 3
.LBB6_183:
	s_and_not1_saveexec_b32 s5, s5
	s_cbranch_execz .LBB6_185
; %bb.184:
	s_waitcnt vmcnt(0)
	v_bfe_u32 v15, v14, v7, 3
.LBB6_185:
	s_or_b32 exec_lo, exec_lo, s5
.LBB6_186:
	s_and_not1_saveexec_b32 s4, s4
	s_cbranch_execz .LBB6_188
; %bb.187:
	s_waitcnt vmcnt(0)
	v_bfe_u32 v15, v14, v8, 3
.LBB6_188:
	s_or_b32 exec_lo, exec_lo, s4
	s_delay_alu instid0(SALU_CYCLE_1)
	s_and_not1_b32 s3, s3, exec_lo
	s_or_b32 exec_lo, exec_lo, s0
	s_and_saveexec_b32 s0, s3
	s_cbranch_execnz .LBB6_23
	s_branch .LBB6_24
.LBB6_189:
	s_mov_b32 s13, -1
	s_mov_b32 s16, exec_lo
                                        ; implicit-def: $vgpr15
	v_cmpx_eq_u32_e32 21, v9
	s_cbranch_execz .LBB6_191
; %bb.190:
	global_load_b32 v15, v[4:5], off offset:4
	s_xor_b32 s13, exec_lo, -1
	s_waitcnt vmcnt(0)
	v_alignbit_b32 v15, v15, v14, 31
	s_delay_alu instid0(VALU_DEP_1)
	v_and_b32_e32 v15, 7, v15
.LBB6_191:
	s_or_b32 exec_lo, exec_lo, s16
	s_delay_alu instid0(SALU_CYCLE_1)
	s_and_b32 s13, s13, exec_lo
	s_and_not1_saveexec_b32 s15, s15
	s_cbranch_execz .LBB6_26
.LBB6_192:
	v_cmp_ne_u32_e64 s0, 10, v9
	s_and_not1_b32 s13, s13, exec_lo
	s_mov_b32 s3, exec_lo
                                        ; implicit-def: $vgpr15
	s_delay_alu instid0(VALU_DEP_1) | instskip(NEXT) | instid1(SALU_CYCLE_1)
	s_and_b32 s0, s0, exec_lo
	s_or_b32 s13, s13, s0
	s_or_b32 exec_lo, exec_lo, s15
	s_and_saveexec_b32 s0, s13
	s_delay_alu instid0(SALU_CYCLE_1)
	s_xor_b32 s0, exec_lo, s0
	s_cbranch_execz .LBB6_27
.LBB6_193:
                                        ; implicit-def: $vgpr15
	s_and_saveexec_b32 s13, s2
	s_delay_alu instid0(SALU_CYCLE_1)
	s_xor_b32 s13, exec_lo, s13
	s_cbranch_execz .LBB6_199
; %bb.194:
                                        ; implicit-def: $vgpr15
	s_and_saveexec_b32 s15, vcc_lo
	s_delay_alu instid0(SALU_CYCLE_1)
	s_xor_b32 s15, exec_lo, s15
	s_cbranch_execz .LBB6_196
; %bb.195:
	s_waitcnt vmcnt(0)
	v_bfe_u32 v15, v14, v10, 3
.LBB6_196:
	s_and_not1_saveexec_b32 s15, s15
	s_cbranch_execz .LBB6_198
; %bb.197:
	s_waitcnt vmcnt(0)
	v_bfe_u32 v15, v14, v7, 3
.LBB6_198:
	s_or_b32 exec_lo, exec_lo, s15
.LBB6_199:
	s_and_not1_saveexec_b32 s13, s13
	s_cbranch_execz .LBB6_201
; %bb.200:
	s_waitcnt vmcnt(0)
	v_bfe_u32 v15, v14, v8, 3
.LBB6_201:
	s_or_b32 exec_lo, exec_lo, s13
	s_delay_alu instid0(SALU_CYCLE_1)
	s_and_not1_b32 s3, s3, exec_lo
	s_or_b32 exec_lo, exec_lo, s0
	s_and_saveexec_b32 s0, s3
	s_cbranch_execnz .LBB6_28
	s_branch .LBB6_29
.LBB6_202:
	s_mov_b32 s13, -1
	s_mov_b32 s16, exec_lo
                                        ; implicit-def: $vgpr15
	v_cmpx_eq_u32_e32 21, v9
	s_cbranch_execz .LBB6_204
; %bb.203:
	global_load_b32 v15, v[4:5], off offset:4
	s_xor_b32 s13, exec_lo, -1
	s_waitcnt vmcnt(0)
	v_alignbit_b32 v15, v15, v14, 31
	s_delay_alu instid0(VALU_DEP_1)
	v_and_b32_e32 v15, 7, v15
.LBB6_204:
	s_or_b32 exec_lo, exec_lo, s16
	s_delay_alu instid0(SALU_CYCLE_1)
	s_and_b32 s13, s13, exec_lo
	s_and_not1_saveexec_b32 s15, s15
	s_cbranch_execz .LBB6_31
.LBB6_205:
	v_cmp_ne_u32_e64 s0, 10, v9
	s_and_not1_b32 s13, s13, exec_lo
	s_mov_b32 s3, exec_lo
                                        ; implicit-def: $vgpr15
	s_delay_alu instid0(VALU_DEP_1) | instskip(NEXT) | instid1(SALU_CYCLE_1)
	s_and_b32 s0, s0, exec_lo
	s_or_b32 s13, s13, s0
	s_or_b32 exec_lo, exec_lo, s15
	s_and_saveexec_b32 s0, s13
	s_delay_alu instid0(SALU_CYCLE_1)
	s_xor_b32 s0, exec_lo, s0
	s_cbranch_execz .LBB6_32
.LBB6_206:
                                        ; implicit-def: $vgpr15
	s_and_saveexec_b32 s13, s2
	s_delay_alu instid0(SALU_CYCLE_1)
	s_xor_b32 s13, exec_lo, s13
	s_cbranch_execz .LBB6_212
; %bb.207:
                                        ; implicit-def: $vgpr15
	s_and_saveexec_b32 s15, vcc_lo
	s_delay_alu instid0(SALU_CYCLE_1)
	s_xor_b32 s15, exec_lo, s15
	s_cbranch_execz .LBB6_209
; %bb.208:
	s_waitcnt vmcnt(0)
	v_bfe_u32 v15, v14, v10, 3
.LBB6_209:
	s_and_not1_saveexec_b32 s15, s15
	s_cbranch_execz .LBB6_211
; %bb.210:
	s_waitcnt vmcnt(0)
	v_bfe_u32 v15, v14, v7, 3
.LBB6_211:
	s_or_b32 exec_lo, exec_lo, s15
.LBB6_212:
	s_and_not1_saveexec_b32 s13, s13
	s_cbranch_execz .LBB6_214
; %bb.213:
	s_waitcnt vmcnt(0)
	v_bfe_u32 v15, v14, v8, 3
.LBB6_214:
	s_or_b32 exec_lo, exec_lo, s13
	s_delay_alu instid0(SALU_CYCLE_1)
	s_and_not1_b32 s3, s3, exec_lo
	s_or_b32 exec_lo, exec_lo, s0
	s_and_saveexec_b32 s0, s3
	s_cbranch_execnz .LBB6_33
	s_branch .LBB6_34
.LBB6_215:
	s_mov_b32 s13, -1
	s_mov_b32 s16, exec_lo
                                        ; implicit-def: $vgpr15
	v_cmpx_eq_u32_e32 21, v9
	s_cbranch_execz .LBB6_217
; %bb.216:
	global_load_b32 v15, v[4:5], off offset:4
	s_xor_b32 s13, exec_lo, -1
	s_waitcnt vmcnt(0)
	v_alignbit_b32 v15, v15, v14, 31
	s_delay_alu instid0(VALU_DEP_1)
	v_and_b32_e32 v15, 7, v15
.LBB6_217:
	s_or_b32 exec_lo, exec_lo, s16
	s_delay_alu instid0(SALU_CYCLE_1)
	s_and_b32 s13, s13, exec_lo
	s_and_not1_saveexec_b32 s15, s15
	s_cbranch_execz .LBB6_36
.LBB6_218:
	v_cmp_ne_u32_e64 s0, 10, v9
	s_and_not1_b32 s13, s13, exec_lo
	s_mov_b32 s3, exec_lo
                                        ; implicit-def: $vgpr15
	s_delay_alu instid0(VALU_DEP_1) | instskip(NEXT) | instid1(SALU_CYCLE_1)
	s_and_b32 s0, s0, exec_lo
	s_or_b32 s13, s13, s0
	s_or_b32 exec_lo, exec_lo, s15
	s_and_saveexec_b32 s0, s13
	s_delay_alu instid0(SALU_CYCLE_1)
	s_xor_b32 s0, exec_lo, s0
	s_cbranch_execz .LBB6_37
.LBB6_219:
                                        ; implicit-def: $vgpr15
	s_and_saveexec_b32 s13, s2
	s_delay_alu instid0(SALU_CYCLE_1)
	s_xor_b32 s13, exec_lo, s13
	s_cbranch_execz .LBB6_225
; %bb.220:
                                        ; implicit-def: $vgpr15
	s_and_saveexec_b32 s15, vcc_lo
	s_delay_alu instid0(SALU_CYCLE_1)
	s_xor_b32 s15, exec_lo, s15
	s_cbranch_execz .LBB6_222
; %bb.221:
	s_waitcnt vmcnt(0)
	v_bfe_u32 v15, v14, v10, 3
.LBB6_222:
	s_and_not1_saveexec_b32 s15, s15
	s_cbranch_execz .LBB6_224
; %bb.223:
	s_waitcnt vmcnt(0)
	v_bfe_u32 v15, v14, v7, 3
.LBB6_224:
	s_or_b32 exec_lo, exec_lo, s15
.LBB6_225:
	s_and_not1_saveexec_b32 s13, s13
	s_cbranch_execz .LBB6_227
; %bb.226:
	s_waitcnt vmcnt(0)
	v_bfe_u32 v15, v14, v8, 3
.LBB6_227:
	s_or_b32 exec_lo, exec_lo, s13
	s_delay_alu instid0(SALU_CYCLE_1)
	s_and_not1_b32 s3, s3, exec_lo
	s_or_b32 exec_lo, exec_lo, s0
	s_and_saveexec_b32 s0, s3
	s_cbranch_execnz .LBB6_38
	s_branch .LBB6_39
.LBB6_228:
	s_mov_b32 s13, -1
	s_mov_b32 s16, exec_lo
                                        ; implicit-def: $vgpr15
	v_cmpx_eq_u32_e32 21, v9
	s_cbranch_execz .LBB6_230
; %bb.229:
	global_load_b32 v15, v[4:5], off offset:4
	s_xor_b32 s13, exec_lo, -1
	s_waitcnt vmcnt(0)
	v_alignbit_b32 v15, v15, v14, 31
	s_delay_alu instid0(VALU_DEP_1)
	v_and_b32_e32 v15, 7, v15
.LBB6_230:
	s_or_b32 exec_lo, exec_lo, s16
	s_delay_alu instid0(SALU_CYCLE_1)
	s_and_b32 s13, s13, exec_lo
	s_and_not1_saveexec_b32 s15, s15
	s_cbranch_execz .LBB6_41
.LBB6_231:
	v_cmp_ne_u32_e64 s0, 10, v9
	s_and_not1_b32 s13, s13, exec_lo
	s_mov_b32 s3, exec_lo
                                        ; implicit-def: $vgpr15
	s_delay_alu instid0(VALU_DEP_1) | instskip(NEXT) | instid1(SALU_CYCLE_1)
	s_and_b32 s0, s0, exec_lo
	s_or_b32 s13, s13, s0
	s_or_b32 exec_lo, exec_lo, s15
	s_and_saveexec_b32 s0, s13
	s_delay_alu instid0(SALU_CYCLE_1)
	s_xor_b32 s0, exec_lo, s0
	s_cbranch_execz .LBB6_42
.LBB6_232:
                                        ; implicit-def: $vgpr15
	s_and_saveexec_b32 s13, s2
	s_delay_alu instid0(SALU_CYCLE_1)
	s_xor_b32 s13, exec_lo, s13
	s_cbranch_execz .LBB6_238
; %bb.233:
                                        ; implicit-def: $vgpr15
	s_and_saveexec_b32 s15, vcc_lo
	s_delay_alu instid0(SALU_CYCLE_1)
	s_xor_b32 s15, exec_lo, s15
	s_cbranch_execz .LBB6_235
; %bb.234:
	s_waitcnt vmcnt(0)
	v_bfe_u32 v15, v14, v10, 3
.LBB6_235:
	s_and_not1_saveexec_b32 s15, s15
	s_cbranch_execz .LBB6_237
; %bb.236:
	s_waitcnt vmcnt(0)
	v_bfe_u32 v15, v14, v7, 3
.LBB6_237:
	s_or_b32 exec_lo, exec_lo, s15
.LBB6_238:
	s_and_not1_saveexec_b32 s13, s13
	s_cbranch_execz .LBB6_240
; %bb.239:
	s_waitcnt vmcnt(0)
	v_bfe_u32 v15, v14, v8, 3
.LBB6_240:
	s_or_b32 exec_lo, exec_lo, s13
	s_delay_alu instid0(SALU_CYCLE_1)
	s_and_not1_b32 s3, s3, exec_lo
	s_or_b32 exec_lo, exec_lo, s0
	s_and_saveexec_b32 s0, s3
	s_cbranch_execnz .LBB6_43
	s_branch .LBB6_44
.LBB6_241:
	s_mov_b32 s13, -1
	s_mov_b32 s16, exec_lo
                                        ; implicit-def: $vgpr15
	v_cmpx_eq_u32_e32 21, v9
	s_cbranch_execz .LBB6_243
; %bb.242:
	global_load_b32 v15, v[4:5], off offset:4
	s_xor_b32 s13, exec_lo, -1
	s_waitcnt vmcnt(0)
	v_alignbit_b32 v15, v15, v14, 31
	s_delay_alu instid0(VALU_DEP_1)
	v_and_b32_e32 v15, 7, v15
.LBB6_243:
	s_or_b32 exec_lo, exec_lo, s16
	s_delay_alu instid0(SALU_CYCLE_1)
	s_and_b32 s13, s13, exec_lo
	s_and_not1_saveexec_b32 s15, s15
	s_cbranch_execz .LBB6_46
.LBB6_244:
	v_cmp_ne_u32_e64 s0, 10, v9
	s_and_not1_b32 s13, s13, exec_lo
	s_mov_b32 s3, exec_lo
                                        ; implicit-def: $vgpr15
	s_delay_alu instid0(VALU_DEP_1) | instskip(NEXT) | instid1(SALU_CYCLE_1)
	s_and_b32 s0, s0, exec_lo
	s_or_b32 s13, s13, s0
	s_or_b32 exec_lo, exec_lo, s15
	s_and_saveexec_b32 s0, s13
	s_delay_alu instid0(SALU_CYCLE_1)
	s_xor_b32 s0, exec_lo, s0
	s_cbranch_execz .LBB6_47
.LBB6_245:
                                        ; implicit-def: $vgpr15
	s_and_saveexec_b32 s13, s2
	s_delay_alu instid0(SALU_CYCLE_1)
	s_xor_b32 s13, exec_lo, s13
	s_cbranch_execz .LBB6_251
; %bb.246:
                                        ; implicit-def: $vgpr15
	s_and_saveexec_b32 s15, vcc_lo
	s_delay_alu instid0(SALU_CYCLE_1)
	s_xor_b32 s15, exec_lo, s15
	s_cbranch_execz .LBB6_248
; %bb.247:
	s_waitcnt vmcnt(0)
	v_bfe_u32 v15, v14, v10, 3
.LBB6_248:
	s_and_not1_saveexec_b32 s15, s15
	s_cbranch_execz .LBB6_250
; %bb.249:
	s_waitcnt vmcnt(0)
	v_bfe_u32 v15, v14, v7, 3
.LBB6_250:
	s_or_b32 exec_lo, exec_lo, s15
.LBB6_251:
	s_and_not1_saveexec_b32 s13, s13
	s_cbranch_execz .LBB6_253
; %bb.252:
	s_waitcnt vmcnt(0)
	v_bfe_u32 v15, v14, v8, 3
.LBB6_253:
	s_or_b32 exec_lo, exec_lo, s13
	s_delay_alu instid0(SALU_CYCLE_1)
	s_and_not1_b32 s3, s3, exec_lo
	s_or_b32 exec_lo, exec_lo, s0
	s_and_saveexec_b32 s0, s3
	s_cbranch_execnz .LBB6_48
	s_branch .LBB6_49
.LBB6_254:
	s_mov_b32 s13, -1
	s_mov_b32 s16, exec_lo
                                        ; implicit-def: $vgpr15
	v_cmpx_eq_u32_e32 21, v9
	s_cbranch_execz .LBB6_256
; %bb.255:
	global_load_b32 v15, v[4:5], off offset:4
	s_xor_b32 s13, exec_lo, -1
	s_waitcnt vmcnt(0)
	v_alignbit_b32 v15, v15, v14, 31
	s_delay_alu instid0(VALU_DEP_1)
	v_and_b32_e32 v15, 7, v15
.LBB6_256:
	s_or_b32 exec_lo, exec_lo, s16
	s_delay_alu instid0(SALU_CYCLE_1)
	s_and_b32 s13, s13, exec_lo
	s_and_not1_saveexec_b32 s15, s15
	s_cbranch_execz .LBB6_51
.LBB6_257:
	v_cmp_ne_u32_e64 s0, 10, v9
	s_and_not1_b32 s13, s13, exec_lo
	s_mov_b32 s3, exec_lo
                                        ; implicit-def: $vgpr15
	s_delay_alu instid0(VALU_DEP_1) | instskip(NEXT) | instid1(SALU_CYCLE_1)
	s_and_b32 s0, s0, exec_lo
	s_or_b32 s13, s13, s0
	s_or_b32 exec_lo, exec_lo, s15
	s_and_saveexec_b32 s0, s13
	s_delay_alu instid0(SALU_CYCLE_1)
	s_xor_b32 s0, exec_lo, s0
	s_cbranch_execz .LBB6_52
.LBB6_258:
                                        ; implicit-def: $vgpr15
	s_and_saveexec_b32 s13, s2
	s_delay_alu instid0(SALU_CYCLE_1)
	s_xor_b32 s13, exec_lo, s13
	s_cbranch_execz .LBB6_264
; %bb.259:
                                        ; implicit-def: $vgpr15
	s_and_saveexec_b32 s15, vcc_lo
	s_delay_alu instid0(SALU_CYCLE_1)
	s_xor_b32 s15, exec_lo, s15
	s_cbranch_execz .LBB6_261
; %bb.260:
	s_waitcnt vmcnt(0)
	v_bfe_u32 v15, v14, v10, 3
.LBB6_261:
	s_and_not1_saveexec_b32 s15, s15
	s_cbranch_execz .LBB6_263
; %bb.262:
	s_waitcnt vmcnt(0)
	v_bfe_u32 v15, v14, v7, 3
.LBB6_263:
	s_or_b32 exec_lo, exec_lo, s15
.LBB6_264:
	s_and_not1_saveexec_b32 s13, s13
	s_cbranch_execz .LBB6_266
; %bb.265:
	s_waitcnt vmcnt(0)
	v_bfe_u32 v15, v14, v8, 3
.LBB6_266:
	s_or_b32 exec_lo, exec_lo, s13
	s_delay_alu instid0(SALU_CYCLE_1)
	s_and_not1_b32 s3, s3, exec_lo
	s_or_b32 exec_lo, exec_lo, s0
	s_and_saveexec_b32 s0, s3
	s_cbranch_execnz .LBB6_53
	s_branch .LBB6_54
.LBB6_267:
	s_mov_b32 s13, -1
	s_mov_b32 s16, exec_lo
                                        ; implicit-def: $vgpr15
	v_cmpx_eq_u32_e32 21, v9
	s_cbranch_execz .LBB6_269
; %bb.268:
	global_load_b32 v15, v[4:5], off offset:4
	s_xor_b32 s13, exec_lo, -1
	s_waitcnt vmcnt(0)
	v_alignbit_b32 v15, v15, v14, 31
	s_delay_alu instid0(VALU_DEP_1)
	v_and_b32_e32 v15, 7, v15
.LBB6_269:
	s_or_b32 exec_lo, exec_lo, s16
	s_delay_alu instid0(SALU_CYCLE_1)
	s_and_b32 s13, s13, exec_lo
	s_and_not1_saveexec_b32 s15, s15
	s_cbranch_execz .LBB6_56
.LBB6_270:
	v_cmp_ne_u32_e64 s0, 10, v9
	s_and_not1_b32 s13, s13, exec_lo
	s_mov_b32 s3, exec_lo
                                        ; implicit-def: $vgpr15
	s_delay_alu instid0(VALU_DEP_1) | instskip(NEXT) | instid1(SALU_CYCLE_1)
	s_and_b32 s0, s0, exec_lo
	s_or_b32 s13, s13, s0
	s_or_b32 exec_lo, exec_lo, s15
	s_and_saveexec_b32 s0, s13
	s_delay_alu instid0(SALU_CYCLE_1)
	s_xor_b32 s0, exec_lo, s0
	s_cbranch_execz .LBB6_57
.LBB6_271:
                                        ; implicit-def: $vgpr15
	s_and_saveexec_b32 s13, s2
	s_delay_alu instid0(SALU_CYCLE_1)
	s_xor_b32 s13, exec_lo, s13
	s_cbranch_execz .LBB6_277
; %bb.272:
                                        ; implicit-def: $vgpr15
	s_and_saveexec_b32 s15, vcc_lo
	s_delay_alu instid0(SALU_CYCLE_1)
	s_xor_b32 s15, exec_lo, s15
	s_cbranch_execz .LBB6_274
; %bb.273:
	s_waitcnt vmcnt(0)
	v_bfe_u32 v15, v14, v10, 3
.LBB6_274:
	s_and_not1_saveexec_b32 s15, s15
	s_cbranch_execz .LBB6_276
; %bb.275:
	s_waitcnt vmcnt(0)
	v_bfe_u32 v15, v14, v7, 3
.LBB6_276:
	s_or_b32 exec_lo, exec_lo, s15
.LBB6_277:
	s_and_not1_saveexec_b32 s13, s13
	s_cbranch_execz .LBB6_279
; %bb.278:
	s_waitcnt vmcnt(0)
	v_bfe_u32 v15, v14, v8, 3
.LBB6_279:
	s_or_b32 exec_lo, exec_lo, s13
	s_delay_alu instid0(SALU_CYCLE_1)
	s_and_not1_b32 s3, s3, exec_lo
	s_or_b32 exec_lo, exec_lo, s0
	s_and_saveexec_b32 s0, s3
	s_cbranch_execnz .LBB6_58
	s_branch .LBB6_59
.LBB6_280:
	s_mov_b32 s13, -1
	s_mov_b32 s16, exec_lo
                                        ; implicit-def: $vgpr15
	v_cmpx_eq_u32_e32 21, v9
	s_cbranch_execz .LBB6_282
; %bb.281:
	global_load_b32 v15, v[4:5], off offset:4
	s_xor_b32 s13, exec_lo, -1
	s_waitcnt vmcnt(0)
	v_alignbit_b32 v15, v15, v14, 31
	s_delay_alu instid0(VALU_DEP_1)
	v_and_b32_e32 v15, 7, v15
.LBB6_282:
	s_or_b32 exec_lo, exec_lo, s16
	s_delay_alu instid0(SALU_CYCLE_1)
	s_and_b32 s13, s13, exec_lo
	s_and_not1_saveexec_b32 s15, s15
	s_cbranch_execz .LBB6_61
.LBB6_283:
	v_cmp_ne_u32_e64 s0, 10, v9
	s_and_not1_b32 s13, s13, exec_lo
	s_mov_b32 s3, exec_lo
                                        ; implicit-def: $vgpr15
	s_delay_alu instid0(VALU_DEP_1) | instskip(NEXT) | instid1(SALU_CYCLE_1)
	s_and_b32 s0, s0, exec_lo
	s_or_b32 s13, s13, s0
	s_or_b32 exec_lo, exec_lo, s15
	s_and_saveexec_b32 s0, s13
	s_delay_alu instid0(SALU_CYCLE_1)
	s_xor_b32 s0, exec_lo, s0
	s_cbranch_execz .LBB6_62
.LBB6_284:
                                        ; implicit-def: $vgpr15
	s_and_saveexec_b32 s13, s2
	s_delay_alu instid0(SALU_CYCLE_1)
	s_xor_b32 s13, exec_lo, s13
	s_cbranch_execz .LBB6_290
; %bb.285:
                                        ; implicit-def: $vgpr15
	s_and_saveexec_b32 s15, vcc_lo
	s_delay_alu instid0(SALU_CYCLE_1)
	s_xor_b32 s15, exec_lo, s15
	s_cbranch_execz .LBB6_287
; %bb.286:
	s_waitcnt vmcnt(0)
	v_bfe_u32 v15, v14, v10, 3
.LBB6_287:
	s_and_not1_saveexec_b32 s15, s15
	s_cbranch_execz .LBB6_289
; %bb.288:
	s_waitcnt vmcnt(0)
	v_bfe_u32 v15, v14, v7, 3
.LBB6_289:
	s_or_b32 exec_lo, exec_lo, s15
.LBB6_290:
	s_and_not1_saveexec_b32 s13, s13
	s_cbranch_execz .LBB6_292
; %bb.291:
	s_waitcnt vmcnt(0)
	v_bfe_u32 v15, v14, v8, 3
.LBB6_292:
	s_or_b32 exec_lo, exec_lo, s13
	s_delay_alu instid0(SALU_CYCLE_1)
	s_and_not1_b32 s3, s3, exec_lo
	s_or_b32 exec_lo, exec_lo, s0
	s_and_saveexec_b32 s0, s3
	s_cbranch_execnz .LBB6_63
	s_branch .LBB6_64
.LBB6_293:
	s_mov_b32 s13, -1
	s_mov_b32 s16, exec_lo
                                        ; implicit-def: $vgpr15
	v_cmpx_eq_u32_e32 21, v9
	s_cbranch_execz .LBB6_295
; %bb.294:
	global_load_b32 v15, v[4:5], off offset:4
	s_xor_b32 s13, exec_lo, -1
	s_waitcnt vmcnt(0)
	v_alignbit_b32 v15, v15, v14, 31
	s_delay_alu instid0(VALU_DEP_1)
	v_and_b32_e32 v15, 7, v15
.LBB6_295:
	s_or_b32 exec_lo, exec_lo, s16
	s_delay_alu instid0(SALU_CYCLE_1)
	s_and_b32 s13, s13, exec_lo
	s_and_not1_saveexec_b32 s15, s15
	s_cbranch_execz .LBB6_66
.LBB6_296:
	v_cmp_ne_u32_e64 s0, 10, v9
	s_and_not1_b32 s13, s13, exec_lo
	s_mov_b32 s3, exec_lo
                                        ; implicit-def: $vgpr15
	s_delay_alu instid0(VALU_DEP_1) | instskip(NEXT) | instid1(SALU_CYCLE_1)
	s_and_b32 s0, s0, exec_lo
	s_or_b32 s13, s13, s0
	s_or_b32 exec_lo, exec_lo, s15
	s_and_saveexec_b32 s0, s13
	s_delay_alu instid0(SALU_CYCLE_1)
	s_xor_b32 s0, exec_lo, s0
	s_cbranch_execz .LBB6_67
.LBB6_297:
                                        ; implicit-def: $vgpr15
	s_and_saveexec_b32 s13, s2
	s_delay_alu instid0(SALU_CYCLE_1)
	s_xor_b32 s13, exec_lo, s13
	s_cbranch_execz .LBB6_303
; %bb.298:
                                        ; implicit-def: $vgpr15
	s_and_saveexec_b32 s15, vcc_lo
	s_delay_alu instid0(SALU_CYCLE_1)
	s_xor_b32 s15, exec_lo, s15
	s_cbranch_execz .LBB6_300
; %bb.299:
	s_waitcnt vmcnt(0)
	v_bfe_u32 v15, v14, v10, 3
.LBB6_300:
	s_and_not1_saveexec_b32 s15, s15
	s_cbranch_execz .LBB6_302
; %bb.301:
	s_waitcnt vmcnt(0)
	v_bfe_u32 v15, v14, v7, 3
.LBB6_302:
	s_or_b32 exec_lo, exec_lo, s15
.LBB6_303:
	s_and_not1_saveexec_b32 s13, s13
	s_cbranch_execz .LBB6_305
; %bb.304:
	s_waitcnt vmcnt(0)
	v_bfe_u32 v15, v14, v8, 3
.LBB6_305:
	s_or_b32 exec_lo, exec_lo, s13
	s_delay_alu instid0(SALU_CYCLE_1)
	s_and_not1_b32 s3, s3, exec_lo
	s_or_b32 exec_lo, exec_lo, s0
	s_and_saveexec_b32 s0, s3
	s_cbranch_execnz .LBB6_68
	s_branch .LBB6_69
.LBB6_306:
	s_mov_b32 s13, -1
	s_mov_b32 s16, exec_lo
                                        ; implicit-def: $vgpr14
	v_cmpx_eq_u32_e32 21, v9
	s_cbranch_execz .LBB6_308
; %bb.307:
	global_load_b32 v14, v[4:5], off offset:4
	s_xor_b32 s13, exec_lo, -1
	s_waitcnt vmcnt(0)
	v_alignbit_b32 v14, v14, v13, 31
	s_delay_alu instid0(VALU_DEP_1)
	v_and_b32_e32 v14, 7, v14
.LBB6_308:
	s_or_b32 exec_lo, exec_lo, s16
	s_delay_alu instid0(SALU_CYCLE_1)
	s_and_b32 s13, s13, exec_lo
	s_and_not1_saveexec_b32 s15, s15
	s_cbranch_execz .LBB6_71
.LBB6_309:
	v_cmp_ne_u32_e64 s0, 10, v9
	s_and_not1_b32 s13, s13, exec_lo
	s_mov_b32 s3, exec_lo
                                        ; implicit-def: $vgpr14
	s_delay_alu instid0(VALU_DEP_1) | instskip(NEXT) | instid1(SALU_CYCLE_1)
	s_and_b32 s0, s0, exec_lo
	s_or_b32 s13, s13, s0
	s_or_b32 exec_lo, exec_lo, s15
	s_and_saveexec_b32 s0, s13
	s_delay_alu instid0(SALU_CYCLE_1)
	s_xor_b32 s0, exec_lo, s0
	s_cbranch_execz .LBB6_72
.LBB6_310:
                                        ; implicit-def: $vgpr14
	s_and_saveexec_b32 s13, s2
	s_delay_alu instid0(SALU_CYCLE_1)
	s_xor_b32 s13, exec_lo, s13
	s_cbranch_execz .LBB6_316
; %bb.311:
                                        ; implicit-def: $vgpr14
	s_and_saveexec_b32 s15, vcc_lo
	s_delay_alu instid0(SALU_CYCLE_1)
	s_xor_b32 s15, exec_lo, s15
	s_cbranch_execz .LBB6_313
; %bb.312:
	s_waitcnt vmcnt(0)
	v_bfe_u32 v14, v13, v10, 3
.LBB6_313:
	s_and_not1_saveexec_b32 s15, s15
	s_cbranch_execz .LBB6_315
; %bb.314:
	s_waitcnt vmcnt(0)
	v_bfe_u32 v14, v13, v7, 3
.LBB6_315:
	s_or_b32 exec_lo, exec_lo, s15
.LBB6_316:
	s_and_not1_saveexec_b32 s13, s13
	s_cbranch_execz .LBB6_318
; %bb.317:
	s_waitcnt vmcnt(0)
	v_bfe_u32 v14, v13, v8, 3
.LBB6_318:
	s_or_b32 exec_lo, exec_lo, s13
	s_delay_alu instid0(SALU_CYCLE_1)
	s_and_not1_b32 s3, s3, exec_lo
	s_or_b32 exec_lo, exec_lo, s0
	s_and_saveexec_b32 s0, s3
	s_cbranch_execnz .LBB6_73
	s_branch .LBB6_74
.LBB6_319:
	s_mov_b32 s13, -1
	s_mov_b32 s16, exec_lo
                                        ; implicit-def: $vgpr14
	v_cmpx_eq_u32_e32 21, v9
	s_cbranch_execz .LBB6_321
; %bb.320:
	global_load_b32 v14, v[4:5], off offset:4
	s_xor_b32 s13, exec_lo, -1
	s_waitcnt vmcnt(0)
	v_alignbit_b32 v14, v14, v13, 31
	s_delay_alu instid0(VALU_DEP_1)
	v_and_b32_e32 v14, 7, v14
.LBB6_321:
	s_or_b32 exec_lo, exec_lo, s16
	s_delay_alu instid0(SALU_CYCLE_1)
	s_and_b32 s13, s13, exec_lo
	s_and_not1_saveexec_b32 s15, s15
	s_cbranch_execz .LBB6_76
.LBB6_322:
	v_cmp_ne_u32_e64 s0, 10, v9
	s_and_not1_b32 s13, s13, exec_lo
	s_mov_b32 s3, exec_lo
                                        ; implicit-def: $vgpr14
	s_delay_alu instid0(VALU_DEP_1) | instskip(NEXT) | instid1(SALU_CYCLE_1)
	s_and_b32 s0, s0, exec_lo
	s_or_b32 s13, s13, s0
	s_or_b32 exec_lo, exec_lo, s15
	s_and_saveexec_b32 s0, s13
	s_delay_alu instid0(SALU_CYCLE_1)
	s_xor_b32 s0, exec_lo, s0
	s_cbranch_execz .LBB6_77
.LBB6_323:
                                        ; implicit-def: $vgpr14
	s_and_saveexec_b32 s13, s2
	s_delay_alu instid0(SALU_CYCLE_1)
	s_xor_b32 s13, exec_lo, s13
	s_cbranch_execz .LBB6_329
; %bb.324:
                                        ; implicit-def: $vgpr14
	s_and_saveexec_b32 s15, vcc_lo
	s_delay_alu instid0(SALU_CYCLE_1)
	s_xor_b32 s15, exec_lo, s15
	s_cbranch_execz .LBB6_326
; %bb.325:
	s_waitcnt vmcnt(0)
	v_bfe_u32 v14, v13, v10, 3
.LBB6_326:
	s_and_not1_saveexec_b32 s15, s15
	s_cbranch_execz .LBB6_328
; %bb.327:
	s_waitcnt vmcnt(0)
	v_bfe_u32 v14, v13, v7, 3
.LBB6_328:
	s_or_b32 exec_lo, exec_lo, s15
.LBB6_329:
	s_and_not1_saveexec_b32 s13, s13
	s_cbranch_execz .LBB6_331
; %bb.330:
	s_waitcnt vmcnt(0)
	v_bfe_u32 v14, v13, v8, 3
.LBB6_331:
	s_or_b32 exec_lo, exec_lo, s13
	s_delay_alu instid0(SALU_CYCLE_1)
	s_and_not1_b32 s3, s3, exec_lo
	s_or_b32 exec_lo, exec_lo, s0
	s_and_saveexec_b32 s0, s3
	s_cbranch_execnz .LBB6_78
	s_branch .LBB6_79
.LBB6_332:
	s_mov_b32 s13, -1
	s_mov_b32 s16, exec_lo
                                        ; implicit-def: $vgpr14
	v_cmpx_eq_u32_e32 21, v9
	s_cbranch_execz .LBB6_334
; %bb.333:
	global_load_b32 v14, v[4:5], off offset:4
	s_xor_b32 s13, exec_lo, -1
	s_waitcnt vmcnt(0)
	v_alignbit_b32 v14, v14, v13, 31
	s_delay_alu instid0(VALU_DEP_1)
	v_and_b32_e32 v14, 7, v14
.LBB6_334:
	s_or_b32 exec_lo, exec_lo, s16
	s_delay_alu instid0(SALU_CYCLE_1)
	s_and_b32 s13, s13, exec_lo
	s_and_not1_saveexec_b32 s15, s15
	s_cbranch_execz .LBB6_81
.LBB6_335:
	v_cmp_ne_u32_e64 s0, 10, v9
	s_and_not1_b32 s13, s13, exec_lo
	s_mov_b32 s3, exec_lo
                                        ; implicit-def: $vgpr14
	s_delay_alu instid0(VALU_DEP_1) | instskip(NEXT) | instid1(SALU_CYCLE_1)
	s_and_b32 s0, s0, exec_lo
	s_or_b32 s13, s13, s0
	s_or_b32 exec_lo, exec_lo, s15
	s_and_saveexec_b32 s0, s13
	s_delay_alu instid0(SALU_CYCLE_1)
	s_xor_b32 s0, exec_lo, s0
	s_cbranch_execz .LBB6_82
.LBB6_336:
                                        ; implicit-def: $vgpr14
	s_and_saveexec_b32 s13, s2
	s_delay_alu instid0(SALU_CYCLE_1)
	s_xor_b32 s13, exec_lo, s13
	s_cbranch_execz .LBB6_342
; %bb.337:
                                        ; implicit-def: $vgpr14
	s_and_saveexec_b32 s15, vcc_lo
	s_delay_alu instid0(SALU_CYCLE_1)
	s_xor_b32 s15, exec_lo, s15
	s_cbranch_execz .LBB6_339
; %bb.338:
	s_waitcnt vmcnt(0)
	v_bfe_u32 v14, v13, v10, 3
.LBB6_339:
	s_and_not1_saveexec_b32 s15, s15
	s_cbranch_execz .LBB6_341
; %bb.340:
	s_waitcnt vmcnt(0)
	v_bfe_u32 v14, v13, v7, 3
.LBB6_341:
	s_or_b32 exec_lo, exec_lo, s15
.LBB6_342:
	s_and_not1_saveexec_b32 s13, s13
	s_cbranch_execz .LBB6_344
; %bb.343:
	s_waitcnt vmcnt(0)
	v_bfe_u32 v14, v13, v8, 3
.LBB6_344:
	s_or_b32 exec_lo, exec_lo, s13
	s_delay_alu instid0(SALU_CYCLE_1)
	s_and_not1_b32 s3, s3, exec_lo
	s_or_b32 exec_lo, exec_lo, s0
	s_and_saveexec_b32 s0, s3
	s_cbranch_execnz .LBB6_83
	s_branch .LBB6_84
.LBB6_345:
	s_mov_b32 s13, -1
	s_mov_b32 s16, exec_lo
                                        ; implicit-def: $vgpr14
	v_cmpx_eq_u32_e32 21, v9
	s_cbranch_execz .LBB6_347
; %bb.346:
	global_load_b32 v14, v[4:5], off offset:4
	s_xor_b32 s13, exec_lo, -1
	s_waitcnt vmcnt(0)
	v_alignbit_b32 v14, v14, v13, 31
	s_delay_alu instid0(VALU_DEP_1)
	v_and_b32_e32 v14, 7, v14
.LBB6_347:
	s_or_b32 exec_lo, exec_lo, s16
	s_delay_alu instid0(SALU_CYCLE_1)
	s_and_b32 s13, s13, exec_lo
	s_and_not1_saveexec_b32 s15, s15
	s_cbranch_execz .LBB6_86
.LBB6_348:
	v_cmp_ne_u32_e64 s0, 10, v9
	s_and_not1_b32 s13, s13, exec_lo
	s_mov_b32 s3, exec_lo
                                        ; implicit-def: $vgpr14
	s_delay_alu instid0(VALU_DEP_1) | instskip(NEXT) | instid1(SALU_CYCLE_1)
	s_and_b32 s0, s0, exec_lo
	s_or_b32 s13, s13, s0
	s_or_b32 exec_lo, exec_lo, s15
	s_and_saveexec_b32 s0, s13
	s_delay_alu instid0(SALU_CYCLE_1)
	s_xor_b32 s0, exec_lo, s0
	s_cbranch_execz .LBB6_87
.LBB6_349:
                                        ; implicit-def: $vgpr14
	s_and_saveexec_b32 s13, s2
	s_delay_alu instid0(SALU_CYCLE_1)
	s_xor_b32 s13, exec_lo, s13
	s_cbranch_execz .LBB6_355
; %bb.350:
                                        ; implicit-def: $vgpr14
	s_and_saveexec_b32 s15, vcc_lo
	s_delay_alu instid0(SALU_CYCLE_1)
	s_xor_b32 s15, exec_lo, s15
	s_cbranch_execz .LBB6_352
; %bb.351:
	s_waitcnt vmcnt(0)
	v_bfe_u32 v14, v13, v10, 3
.LBB6_352:
	s_and_not1_saveexec_b32 s15, s15
	s_cbranch_execz .LBB6_354
; %bb.353:
	s_waitcnt vmcnt(0)
	v_bfe_u32 v14, v13, v7, 3
.LBB6_354:
	s_or_b32 exec_lo, exec_lo, s15
.LBB6_355:
	s_and_not1_saveexec_b32 s13, s13
	s_cbranch_execz .LBB6_357
; %bb.356:
	s_waitcnt vmcnt(0)
	v_bfe_u32 v14, v13, v8, 3
.LBB6_357:
	s_or_b32 exec_lo, exec_lo, s13
	s_delay_alu instid0(SALU_CYCLE_1)
	s_and_not1_b32 s3, s3, exec_lo
	s_or_b32 exec_lo, exec_lo, s0
	s_and_saveexec_b32 s0, s3
	s_cbranch_execnz .LBB6_88
	s_branch .LBB6_89
.LBB6_358:
	s_mov_b32 s13, -1
	s_mov_b32 s16, exec_lo
                                        ; implicit-def: $vgpr14
	v_cmpx_eq_u32_e32 21, v9
	s_cbranch_execz .LBB6_360
; %bb.359:
	global_load_b32 v14, v[4:5], off offset:4
	s_xor_b32 s13, exec_lo, -1
	s_waitcnt vmcnt(0)
	v_alignbit_b32 v14, v14, v13, 31
	s_delay_alu instid0(VALU_DEP_1)
	v_and_b32_e32 v14, 7, v14
.LBB6_360:
	s_or_b32 exec_lo, exec_lo, s16
	s_delay_alu instid0(SALU_CYCLE_1)
	s_and_b32 s13, s13, exec_lo
	s_and_not1_saveexec_b32 s15, s15
	s_cbranch_execz .LBB6_91
.LBB6_361:
	v_cmp_ne_u32_e64 s0, 10, v9
	s_and_not1_b32 s13, s13, exec_lo
	s_mov_b32 s3, exec_lo
                                        ; implicit-def: $vgpr14
	s_delay_alu instid0(VALU_DEP_1) | instskip(NEXT) | instid1(SALU_CYCLE_1)
	s_and_b32 s0, s0, exec_lo
	s_or_b32 s13, s13, s0
	s_or_b32 exec_lo, exec_lo, s15
	s_and_saveexec_b32 s0, s13
	s_delay_alu instid0(SALU_CYCLE_1)
	s_xor_b32 s0, exec_lo, s0
	s_cbranch_execz .LBB6_92
.LBB6_362:
                                        ; implicit-def: $vgpr14
	s_and_saveexec_b32 s13, s2
	s_delay_alu instid0(SALU_CYCLE_1)
	s_xor_b32 s13, exec_lo, s13
	s_cbranch_execz .LBB6_368
; %bb.363:
                                        ; implicit-def: $vgpr14
	s_and_saveexec_b32 s15, vcc_lo
	s_delay_alu instid0(SALU_CYCLE_1)
	s_xor_b32 s15, exec_lo, s15
	s_cbranch_execz .LBB6_365
; %bb.364:
	s_waitcnt vmcnt(0)
	v_bfe_u32 v14, v13, v10, 3
.LBB6_365:
	s_and_not1_saveexec_b32 s15, s15
	s_cbranch_execz .LBB6_367
; %bb.366:
	s_waitcnt vmcnt(0)
	v_bfe_u32 v14, v13, v7, 3
.LBB6_367:
	s_or_b32 exec_lo, exec_lo, s15
.LBB6_368:
	s_and_not1_saveexec_b32 s13, s13
	s_cbranch_execz .LBB6_370
; %bb.369:
	s_waitcnt vmcnt(0)
	v_bfe_u32 v14, v13, v8, 3
.LBB6_370:
	s_or_b32 exec_lo, exec_lo, s13
	s_delay_alu instid0(SALU_CYCLE_1)
	s_and_not1_b32 s3, s3, exec_lo
	s_or_b32 exec_lo, exec_lo, s0
	s_and_saveexec_b32 s0, s3
	s_cbranch_execnz .LBB6_93
	s_branch .LBB6_94
.LBB6_371:
	s_mov_b32 s13, -1
	s_mov_b32 s16, exec_lo
                                        ; implicit-def: $vgpr14
	v_cmpx_eq_u32_e32 21, v9
	s_cbranch_execz .LBB6_373
; %bb.372:
	global_load_b32 v14, v[4:5], off offset:4
	s_xor_b32 s13, exec_lo, -1
	s_waitcnt vmcnt(0)
	v_alignbit_b32 v14, v14, v13, 31
	s_delay_alu instid0(VALU_DEP_1)
	v_and_b32_e32 v14, 7, v14
.LBB6_373:
	s_or_b32 exec_lo, exec_lo, s16
	s_delay_alu instid0(SALU_CYCLE_1)
	s_and_b32 s13, s13, exec_lo
	s_and_not1_saveexec_b32 s15, s15
	s_cbranch_execz .LBB6_96
.LBB6_374:
	v_cmp_ne_u32_e64 s0, 10, v9
	s_and_not1_b32 s13, s13, exec_lo
	s_mov_b32 s3, exec_lo
                                        ; implicit-def: $vgpr14
	s_delay_alu instid0(VALU_DEP_1) | instskip(NEXT) | instid1(SALU_CYCLE_1)
	s_and_b32 s0, s0, exec_lo
	s_or_b32 s13, s13, s0
	s_or_b32 exec_lo, exec_lo, s15
	s_and_saveexec_b32 s0, s13
	s_delay_alu instid0(SALU_CYCLE_1)
	s_xor_b32 s0, exec_lo, s0
	s_cbranch_execz .LBB6_97
.LBB6_375:
                                        ; implicit-def: $vgpr14
	s_and_saveexec_b32 s13, s2
	s_delay_alu instid0(SALU_CYCLE_1)
	s_xor_b32 s13, exec_lo, s13
	s_cbranch_execz .LBB6_381
; %bb.376:
                                        ; implicit-def: $vgpr14
	s_and_saveexec_b32 s15, vcc_lo
	s_delay_alu instid0(SALU_CYCLE_1)
	s_xor_b32 s15, exec_lo, s15
	s_cbranch_execz .LBB6_378
; %bb.377:
	s_waitcnt vmcnt(0)
	v_bfe_u32 v14, v13, v10, 3
.LBB6_378:
	s_and_not1_saveexec_b32 s15, s15
	s_cbranch_execz .LBB6_380
; %bb.379:
	s_waitcnt vmcnt(0)
	v_bfe_u32 v14, v13, v7, 3
.LBB6_380:
	s_or_b32 exec_lo, exec_lo, s15
.LBB6_381:
	s_and_not1_saveexec_b32 s13, s13
	s_cbranch_execz .LBB6_383
; %bb.382:
	s_waitcnt vmcnt(0)
	v_bfe_u32 v14, v13, v8, 3
.LBB6_383:
	s_or_b32 exec_lo, exec_lo, s13
	s_delay_alu instid0(SALU_CYCLE_1)
	s_and_not1_b32 s3, s3, exec_lo
	s_or_b32 exec_lo, exec_lo, s0
	s_and_saveexec_b32 s0, s3
	s_cbranch_execnz .LBB6_98
	s_branch .LBB6_99
.LBB6_384:
	s_mov_b32 s13, -1
	s_mov_b32 s16, exec_lo
                                        ; implicit-def: $vgpr14
	v_cmpx_eq_u32_e32 21, v9
	s_cbranch_execz .LBB6_386
; %bb.385:
	global_load_b32 v14, v[4:5], off offset:4
	s_xor_b32 s13, exec_lo, -1
	s_waitcnt vmcnt(0)
	v_alignbit_b32 v14, v14, v13, 31
	s_delay_alu instid0(VALU_DEP_1)
	v_and_b32_e32 v14, 7, v14
.LBB6_386:
	s_or_b32 exec_lo, exec_lo, s16
	s_delay_alu instid0(SALU_CYCLE_1)
	s_and_b32 s13, s13, exec_lo
	s_and_not1_saveexec_b32 s15, s15
	s_cbranch_execz .LBB6_101
.LBB6_387:
	v_cmp_ne_u32_e64 s0, 10, v9
	s_and_not1_b32 s13, s13, exec_lo
	s_mov_b32 s3, exec_lo
                                        ; implicit-def: $vgpr14
	s_delay_alu instid0(VALU_DEP_1) | instskip(NEXT) | instid1(SALU_CYCLE_1)
	s_and_b32 s0, s0, exec_lo
	s_or_b32 s13, s13, s0
	s_or_b32 exec_lo, exec_lo, s15
	s_and_saveexec_b32 s0, s13
	s_delay_alu instid0(SALU_CYCLE_1)
	s_xor_b32 s0, exec_lo, s0
	s_cbranch_execz .LBB6_102
.LBB6_388:
                                        ; implicit-def: $vgpr14
	s_and_saveexec_b32 s13, s2
	s_delay_alu instid0(SALU_CYCLE_1)
	s_xor_b32 s13, exec_lo, s13
	s_cbranch_execz .LBB6_394
; %bb.389:
                                        ; implicit-def: $vgpr14
	s_and_saveexec_b32 s15, vcc_lo
	s_delay_alu instid0(SALU_CYCLE_1)
	s_xor_b32 s15, exec_lo, s15
	s_cbranch_execz .LBB6_391
; %bb.390:
	s_waitcnt vmcnt(0)
	v_bfe_u32 v14, v13, v10, 3
.LBB6_391:
	s_and_not1_saveexec_b32 s15, s15
	s_cbranch_execz .LBB6_393
; %bb.392:
	s_waitcnt vmcnt(0)
	v_bfe_u32 v14, v13, v7, 3
.LBB6_393:
	s_or_b32 exec_lo, exec_lo, s15
.LBB6_394:
	s_and_not1_saveexec_b32 s13, s13
	s_cbranch_execz .LBB6_396
; %bb.395:
	s_waitcnt vmcnt(0)
	v_bfe_u32 v14, v13, v8, 3
.LBB6_396:
	s_or_b32 exec_lo, exec_lo, s13
	s_delay_alu instid0(SALU_CYCLE_1)
	s_and_not1_b32 s3, s3, exec_lo
	s_or_b32 exec_lo, exec_lo, s0
	s_and_saveexec_b32 s0, s3
	s_cbranch_execnz .LBB6_103
	s_branch .LBB6_104
.LBB6_397:
	s_mov_b32 s13, -1
	s_mov_b32 s16, exec_lo
                                        ; implicit-def: $vgpr14
	v_cmpx_eq_u32_e32 21, v9
	s_cbranch_execz .LBB6_399
; %bb.398:
	global_load_b32 v14, v[4:5], off offset:4
	s_xor_b32 s13, exec_lo, -1
	s_waitcnt vmcnt(0)
	v_alignbit_b32 v14, v14, v13, 31
	s_delay_alu instid0(VALU_DEP_1)
	v_and_b32_e32 v14, 7, v14
.LBB6_399:
	s_or_b32 exec_lo, exec_lo, s16
	s_delay_alu instid0(SALU_CYCLE_1)
	s_and_b32 s13, s13, exec_lo
	s_and_not1_saveexec_b32 s15, s15
	s_cbranch_execz .LBB6_106
.LBB6_400:
	v_cmp_ne_u32_e64 s0, 10, v9
	s_and_not1_b32 s13, s13, exec_lo
	s_mov_b32 s3, exec_lo
                                        ; implicit-def: $vgpr14
	s_delay_alu instid0(VALU_DEP_1) | instskip(NEXT) | instid1(SALU_CYCLE_1)
	s_and_b32 s0, s0, exec_lo
	s_or_b32 s13, s13, s0
	s_or_b32 exec_lo, exec_lo, s15
	s_and_saveexec_b32 s0, s13
	s_delay_alu instid0(SALU_CYCLE_1)
	s_xor_b32 s0, exec_lo, s0
	s_cbranch_execz .LBB6_107
.LBB6_401:
                                        ; implicit-def: $vgpr14
	s_and_saveexec_b32 s13, s2
	s_delay_alu instid0(SALU_CYCLE_1)
	s_xor_b32 s13, exec_lo, s13
	s_cbranch_execz .LBB6_407
; %bb.402:
                                        ; implicit-def: $vgpr14
	s_and_saveexec_b32 s15, vcc_lo
	s_delay_alu instid0(SALU_CYCLE_1)
	s_xor_b32 s15, exec_lo, s15
	s_cbranch_execz .LBB6_404
; %bb.403:
	s_waitcnt vmcnt(0)
	v_bfe_u32 v14, v13, v10, 3
.LBB6_404:
	s_and_not1_saveexec_b32 s15, s15
	s_cbranch_execz .LBB6_406
; %bb.405:
	s_waitcnt vmcnt(0)
	v_bfe_u32 v14, v13, v7, 3
.LBB6_406:
	s_or_b32 exec_lo, exec_lo, s15
.LBB6_407:
	s_and_not1_saveexec_b32 s13, s13
	s_cbranch_execz .LBB6_409
; %bb.408:
	s_waitcnt vmcnt(0)
	v_bfe_u32 v14, v13, v8, 3
.LBB6_409:
	s_or_b32 exec_lo, exec_lo, s13
	s_delay_alu instid0(SALU_CYCLE_1)
	s_and_not1_b32 s3, s3, exec_lo
	s_or_b32 exec_lo, exec_lo, s0
	s_and_saveexec_b32 s0, s3
	s_cbranch_execnz .LBB6_108
	s_branch .LBB6_109
.LBB6_410:
	s_mov_b32 s13, -1
	s_mov_b32 s16, exec_lo
                                        ; implicit-def: $vgpr14
	v_cmpx_eq_u32_e32 21, v9
	s_cbranch_execz .LBB6_412
; %bb.411:
	global_load_b32 v14, v[4:5], off offset:4
	s_xor_b32 s13, exec_lo, -1
	s_waitcnt vmcnt(0)
	v_alignbit_b32 v14, v14, v13, 31
	s_delay_alu instid0(VALU_DEP_1)
	v_and_b32_e32 v14, 7, v14
.LBB6_412:
	s_or_b32 exec_lo, exec_lo, s16
	s_delay_alu instid0(SALU_CYCLE_1)
	s_and_b32 s13, s13, exec_lo
	s_and_not1_saveexec_b32 s15, s15
	s_cbranch_execz .LBB6_111
.LBB6_413:
	v_cmp_ne_u32_e64 s0, 10, v9
	s_and_not1_b32 s13, s13, exec_lo
	s_mov_b32 s3, exec_lo
                                        ; implicit-def: $vgpr14
	s_delay_alu instid0(VALU_DEP_1) | instskip(NEXT) | instid1(SALU_CYCLE_1)
	s_and_b32 s0, s0, exec_lo
	s_or_b32 s13, s13, s0
	s_or_b32 exec_lo, exec_lo, s15
	s_and_saveexec_b32 s0, s13
	s_delay_alu instid0(SALU_CYCLE_1)
	s_xor_b32 s0, exec_lo, s0
	s_cbranch_execz .LBB6_112
.LBB6_414:
                                        ; implicit-def: $vgpr14
	s_and_saveexec_b32 s13, s2
	s_delay_alu instid0(SALU_CYCLE_1)
	s_xor_b32 s13, exec_lo, s13
	s_cbranch_execz .LBB6_420
; %bb.415:
                                        ; implicit-def: $vgpr14
	s_and_saveexec_b32 s15, vcc_lo
	s_delay_alu instid0(SALU_CYCLE_1)
	s_xor_b32 s15, exec_lo, s15
	s_cbranch_execz .LBB6_417
; %bb.416:
	s_waitcnt vmcnt(0)
	v_bfe_u32 v14, v13, v10, 3
.LBB6_417:
	s_and_not1_saveexec_b32 s15, s15
	s_cbranch_execz .LBB6_419
; %bb.418:
	s_waitcnt vmcnt(0)
	v_bfe_u32 v14, v13, v7, 3
.LBB6_419:
	s_or_b32 exec_lo, exec_lo, s15
.LBB6_420:
	s_and_not1_saveexec_b32 s13, s13
	s_cbranch_execz .LBB6_422
; %bb.421:
	s_waitcnt vmcnt(0)
	v_bfe_u32 v14, v13, v8, 3
.LBB6_422:
	s_or_b32 exec_lo, exec_lo, s13
	s_delay_alu instid0(SALU_CYCLE_1)
	s_and_not1_b32 s3, s3, exec_lo
	s_or_b32 exec_lo, exec_lo, s0
	s_and_saveexec_b32 s0, s3
	s_cbranch_execnz .LBB6_113
	s_branch .LBB6_114
.LBB6_423:
	s_mov_b32 s13, -1
	s_mov_b32 s16, exec_lo
                                        ; implicit-def: $vgpr14
	v_cmpx_eq_u32_e32 21, v9
	s_cbranch_execz .LBB6_425
; %bb.424:
	global_load_b32 v14, v[4:5], off offset:4
	s_xor_b32 s13, exec_lo, -1
	s_waitcnt vmcnt(0)
	v_alignbit_b32 v14, v14, v13, 31
	s_delay_alu instid0(VALU_DEP_1)
	v_and_b32_e32 v14, 7, v14
.LBB6_425:
	s_or_b32 exec_lo, exec_lo, s16
	s_delay_alu instid0(SALU_CYCLE_1)
	s_and_b32 s13, s13, exec_lo
	s_and_not1_saveexec_b32 s15, s15
	s_cbranch_execz .LBB6_116
.LBB6_426:
	v_cmp_ne_u32_e64 s0, 10, v9
	s_and_not1_b32 s13, s13, exec_lo
	s_mov_b32 s3, exec_lo
                                        ; implicit-def: $vgpr14
	s_delay_alu instid0(VALU_DEP_1) | instskip(NEXT) | instid1(SALU_CYCLE_1)
	s_and_b32 s0, s0, exec_lo
	s_or_b32 s13, s13, s0
	s_or_b32 exec_lo, exec_lo, s15
	s_and_saveexec_b32 s0, s13
	s_delay_alu instid0(SALU_CYCLE_1)
	s_xor_b32 s0, exec_lo, s0
	s_cbranch_execz .LBB6_117
.LBB6_427:
                                        ; implicit-def: $vgpr14
	s_and_saveexec_b32 s13, s2
	s_delay_alu instid0(SALU_CYCLE_1)
	s_xor_b32 s13, exec_lo, s13
	s_cbranch_execz .LBB6_433
; %bb.428:
                                        ; implicit-def: $vgpr14
	s_and_saveexec_b32 s15, vcc_lo
	s_delay_alu instid0(SALU_CYCLE_1)
	s_xor_b32 s15, exec_lo, s15
	s_cbranch_execz .LBB6_430
; %bb.429:
	s_waitcnt vmcnt(0)
	v_bfe_u32 v14, v13, v10, 3
.LBB6_430:
	s_and_not1_saveexec_b32 s15, s15
	s_cbranch_execz .LBB6_432
; %bb.431:
	s_waitcnt vmcnt(0)
	v_bfe_u32 v14, v13, v7, 3
.LBB6_432:
	s_or_b32 exec_lo, exec_lo, s15
.LBB6_433:
	s_and_not1_saveexec_b32 s13, s13
	s_cbranch_execz .LBB6_435
; %bb.434:
	s_waitcnt vmcnt(0)
	v_bfe_u32 v14, v13, v8, 3
.LBB6_435:
	s_or_b32 exec_lo, exec_lo, s13
	s_delay_alu instid0(SALU_CYCLE_1)
	s_and_not1_b32 s3, s3, exec_lo
	s_or_b32 exec_lo, exec_lo, s0
	s_and_saveexec_b32 s0, s3
	s_cbranch_execnz .LBB6_118
	s_branch .LBB6_119
.LBB6_436:
	s_mov_b32 s13, -1
	s_mov_b32 s16, exec_lo
                                        ; implicit-def: $vgpr14
	v_cmpx_eq_u32_e32 21, v9
	s_cbranch_execz .LBB6_438
; %bb.437:
	global_load_b32 v14, v[4:5], off offset:4
	s_xor_b32 s13, exec_lo, -1
	s_waitcnt vmcnt(0)
	v_alignbit_b32 v14, v14, v13, 31
	s_delay_alu instid0(VALU_DEP_1)
	v_and_b32_e32 v14, 7, v14
.LBB6_438:
	s_or_b32 exec_lo, exec_lo, s16
	s_delay_alu instid0(SALU_CYCLE_1)
	s_and_b32 s13, s13, exec_lo
	s_and_not1_saveexec_b32 s15, s15
	s_cbranch_execz .LBB6_121
.LBB6_439:
	v_cmp_ne_u32_e64 s0, 10, v9
	s_and_not1_b32 s13, s13, exec_lo
	s_mov_b32 s3, exec_lo
                                        ; implicit-def: $vgpr14
	s_delay_alu instid0(VALU_DEP_1) | instskip(NEXT) | instid1(SALU_CYCLE_1)
	s_and_b32 s0, s0, exec_lo
	s_or_b32 s13, s13, s0
	s_or_b32 exec_lo, exec_lo, s15
	s_and_saveexec_b32 s0, s13
	s_delay_alu instid0(SALU_CYCLE_1)
	s_xor_b32 s0, exec_lo, s0
	s_cbranch_execz .LBB6_122
.LBB6_440:
                                        ; implicit-def: $vgpr14
	s_and_saveexec_b32 s13, s2
	s_delay_alu instid0(SALU_CYCLE_1)
	s_xor_b32 s13, exec_lo, s13
	s_cbranch_execz .LBB6_446
; %bb.441:
                                        ; implicit-def: $vgpr14
	s_and_saveexec_b32 s15, vcc_lo
	s_delay_alu instid0(SALU_CYCLE_1)
	s_xor_b32 s15, exec_lo, s15
	s_cbranch_execz .LBB6_443
; %bb.442:
	s_waitcnt vmcnt(0)
	v_bfe_u32 v14, v13, v10, 3
.LBB6_443:
	s_and_not1_saveexec_b32 s15, s15
	s_cbranch_execz .LBB6_445
; %bb.444:
	s_waitcnt vmcnt(0)
	v_bfe_u32 v14, v13, v7, 3
.LBB6_445:
	s_or_b32 exec_lo, exec_lo, s15
.LBB6_446:
	s_and_not1_saveexec_b32 s13, s13
	s_cbranch_execz .LBB6_448
; %bb.447:
	s_waitcnt vmcnt(0)
	v_bfe_u32 v14, v13, v8, 3
.LBB6_448:
	s_or_b32 exec_lo, exec_lo, s13
	s_delay_alu instid0(SALU_CYCLE_1)
	s_and_not1_b32 s3, s3, exec_lo
	s_or_b32 exec_lo, exec_lo, s0
	s_and_saveexec_b32 s0, s3
	s_cbranch_execnz .LBB6_123
	s_branch .LBB6_124
.LBB6_449:
	s_mov_b32 s13, -1
	s_mov_b32 s16, exec_lo
                                        ; implicit-def: $vgpr13
	v_cmpx_eq_u32_e32 21, v9
	s_cbranch_execz .LBB6_451
; %bb.450:
	global_load_b32 v13, v[4:5], off offset:4
	s_xor_b32 s13, exec_lo, -1
	s_waitcnt vmcnt(0)
	v_alignbit_b32 v13, v13, v12, 31
	s_delay_alu instid0(VALU_DEP_1)
	v_and_b32_e32 v13, 7, v13
.LBB6_451:
	s_or_b32 exec_lo, exec_lo, s16
	s_delay_alu instid0(SALU_CYCLE_1)
	s_and_b32 s13, s13, exec_lo
	s_and_not1_saveexec_b32 s15, s15
	s_cbranch_execz .LBB6_126
.LBB6_452:
	v_cmp_ne_u32_e64 s0, 10, v9
	s_and_not1_b32 s13, s13, exec_lo
	s_mov_b32 s3, exec_lo
                                        ; implicit-def: $vgpr13
	s_delay_alu instid0(VALU_DEP_1) | instskip(NEXT) | instid1(SALU_CYCLE_1)
	s_and_b32 s0, s0, exec_lo
	s_or_b32 s13, s13, s0
	s_or_b32 exec_lo, exec_lo, s15
	s_and_saveexec_b32 s0, s13
	s_delay_alu instid0(SALU_CYCLE_1)
	s_xor_b32 s0, exec_lo, s0
	s_cbranch_execz .LBB6_127
.LBB6_453:
                                        ; implicit-def: $vgpr13
	s_and_saveexec_b32 s13, s2
	s_delay_alu instid0(SALU_CYCLE_1)
	s_xor_b32 s13, exec_lo, s13
	s_cbranch_execz .LBB6_459
; %bb.454:
                                        ; implicit-def: $vgpr13
	s_and_saveexec_b32 s15, vcc_lo
	s_delay_alu instid0(SALU_CYCLE_1)
	s_xor_b32 s15, exec_lo, s15
	s_cbranch_execz .LBB6_456
; %bb.455:
	s_waitcnt vmcnt(0)
	v_bfe_u32 v13, v12, v10, 3
.LBB6_456:
	s_and_not1_saveexec_b32 s15, s15
	s_cbranch_execz .LBB6_458
; %bb.457:
	s_waitcnt vmcnt(0)
	v_bfe_u32 v13, v12, v7, 3
.LBB6_458:
	s_or_b32 exec_lo, exec_lo, s15
.LBB6_459:
	s_and_not1_saveexec_b32 s13, s13
	s_cbranch_execz .LBB6_461
; %bb.460:
	s_waitcnt vmcnt(0)
	v_bfe_u32 v13, v12, v8, 3
.LBB6_461:
	s_or_b32 exec_lo, exec_lo, s13
	s_delay_alu instid0(SALU_CYCLE_1)
	s_and_not1_b32 s3, s3, exec_lo
	s_or_b32 exec_lo, exec_lo, s0
	s_and_saveexec_b32 s0, s3
	s_cbranch_execnz .LBB6_128
	s_branch .LBB6_129
.LBB6_462:
	s_mov_b32 s13, -1
	s_mov_b32 s16, exec_lo
                                        ; implicit-def: $vgpr13
	v_cmpx_eq_u32_e32 21, v9
	s_cbranch_execz .LBB6_464
; %bb.463:
	global_load_b32 v13, v[4:5], off offset:4
	s_xor_b32 s13, exec_lo, -1
	s_waitcnt vmcnt(0)
	v_alignbit_b32 v13, v13, v12, 31
	s_delay_alu instid0(VALU_DEP_1)
	v_and_b32_e32 v13, 7, v13
.LBB6_464:
	s_or_b32 exec_lo, exec_lo, s16
	s_delay_alu instid0(SALU_CYCLE_1)
	s_and_b32 s13, s13, exec_lo
	s_and_not1_saveexec_b32 s15, s15
	s_cbranch_execz .LBB6_131
.LBB6_465:
	v_cmp_ne_u32_e64 s0, 10, v9
	s_and_not1_b32 s13, s13, exec_lo
	s_mov_b32 s3, exec_lo
                                        ; implicit-def: $vgpr13
	s_delay_alu instid0(VALU_DEP_1) | instskip(NEXT) | instid1(SALU_CYCLE_1)
	s_and_b32 s0, s0, exec_lo
	s_or_b32 s13, s13, s0
	s_or_b32 exec_lo, exec_lo, s15
	s_and_saveexec_b32 s0, s13
	s_delay_alu instid0(SALU_CYCLE_1)
	s_xor_b32 s0, exec_lo, s0
	s_cbranch_execz .LBB6_132
.LBB6_466:
                                        ; implicit-def: $vgpr13
	s_and_saveexec_b32 s13, s2
	s_delay_alu instid0(SALU_CYCLE_1)
	s_xor_b32 s13, exec_lo, s13
	s_cbranch_execz .LBB6_472
; %bb.467:
                                        ; implicit-def: $vgpr13
	s_and_saveexec_b32 s15, vcc_lo
	s_delay_alu instid0(SALU_CYCLE_1)
	s_xor_b32 s15, exec_lo, s15
	s_cbranch_execz .LBB6_469
; %bb.468:
	s_waitcnt vmcnt(0)
	v_bfe_u32 v13, v12, v10, 3
.LBB6_469:
	s_and_not1_saveexec_b32 s15, s15
	s_cbranch_execz .LBB6_471
; %bb.470:
	s_waitcnt vmcnt(0)
	v_bfe_u32 v13, v12, v7, 3
.LBB6_471:
	s_or_b32 exec_lo, exec_lo, s15
.LBB6_472:
	s_and_not1_saveexec_b32 s13, s13
	s_cbranch_execz .LBB6_474
; %bb.473:
	s_waitcnt vmcnt(0)
	v_bfe_u32 v13, v12, v8, 3
.LBB6_474:
	s_or_b32 exec_lo, exec_lo, s13
	s_delay_alu instid0(SALU_CYCLE_1)
	s_and_not1_b32 s3, s3, exec_lo
	s_or_b32 exec_lo, exec_lo, s0
	s_and_saveexec_b32 s0, s3
	s_cbranch_execnz .LBB6_133
	s_branch .LBB6_134
.LBB6_475:
	s_mov_b32 s13, -1
	s_mov_b32 s16, exec_lo
                                        ; implicit-def: $vgpr13
	v_cmpx_eq_u32_e32 21, v9
	s_cbranch_execz .LBB6_477
; %bb.476:
	global_load_b32 v13, v[4:5], off offset:4
	s_xor_b32 s13, exec_lo, -1
	s_waitcnt vmcnt(0)
	v_alignbit_b32 v13, v13, v12, 31
	s_delay_alu instid0(VALU_DEP_1)
	v_and_b32_e32 v13, 7, v13
.LBB6_477:
	s_or_b32 exec_lo, exec_lo, s16
	s_delay_alu instid0(SALU_CYCLE_1)
	s_and_b32 s13, s13, exec_lo
	s_and_not1_saveexec_b32 s15, s15
	s_cbranch_execz .LBB6_136
.LBB6_478:
	v_cmp_ne_u32_e64 s0, 10, v9
	s_and_not1_b32 s13, s13, exec_lo
	s_mov_b32 s3, exec_lo
                                        ; implicit-def: $vgpr13
	s_delay_alu instid0(VALU_DEP_1) | instskip(NEXT) | instid1(SALU_CYCLE_1)
	s_and_b32 s0, s0, exec_lo
	s_or_b32 s13, s13, s0
	s_or_b32 exec_lo, exec_lo, s15
	s_and_saveexec_b32 s0, s13
	s_delay_alu instid0(SALU_CYCLE_1)
	s_xor_b32 s0, exec_lo, s0
	s_cbranch_execz .LBB6_137
.LBB6_479:
                                        ; implicit-def: $vgpr13
	s_and_saveexec_b32 s13, s2
	s_delay_alu instid0(SALU_CYCLE_1)
	s_xor_b32 s13, exec_lo, s13
	s_cbranch_execz .LBB6_485
; %bb.480:
                                        ; implicit-def: $vgpr13
	s_and_saveexec_b32 s15, vcc_lo
	s_delay_alu instid0(SALU_CYCLE_1)
	s_xor_b32 s15, exec_lo, s15
	s_cbranch_execz .LBB6_482
; %bb.481:
	s_waitcnt vmcnt(0)
	v_bfe_u32 v13, v12, v10, 3
.LBB6_482:
	s_and_not1_saveexec_b32 s15, s15
	s_cbranch_execz .LBB6_484
; %bb.483:
	s_waitcnt vmcnt(0)
	v_bfe_u32 v13, v12, v7, 3
.LBB6_484:
	s_or_b32 exec_lo, exec_lo, s15
.LBB6_485:
	s_and_not1_saveexec_b32 s13, s13
	s_cbranch_execz .LBB6_487
; %bb.486:
	s_waitcnt vmcnt(0)
	v_bfe_u32 v13, v12, v8, 3
.LBB6_487:
	s_or_b32 exec_lo, exec_lo, s13
	s_delay_alu instid0(SALU_CYCLE_1)
	s_and_not1_b32 s3, s3, exec_lo
	s_or_b32 exec_lo, exec_lo, s0
	s_and_saveexec_b32 s0, s3
	s_cbranch_execnz .LBB6_138
	s_branch .LBB6_139
.LBB6_488:
	s_mov_b32 s13, -1
	s_mov_b32 s16, exec_lo
                                        ; implicit-def: $vgpr13
	v_cmpx_eq_u32_e32 21, v9
	s_cbranch_execz .LBB6_490
; %bb.489:
	global_load_b32 v13, v[4:5], off offset:4
	s_xor_b32 s13, exec_lo, -1
	s_waitcnt vmcnt(0)
	v_alignbit_b32 v13, v13, v12, 31
	s_delay_alu instid0(VALU_DEP_1)
	v_and_b32_e32 v13, 7, v13
.LBB6_490:
	s_or_b32 exec_lo, exec_lo, s16
	s_delay_alu instid0(SALU_CYCLE_1)
	s_and_b32 s13, s13, exec_lo
	s_and_not1_saveexec_b32 s15, s15
	s_cbranch_execz .LBB6_141
.LBB6_491:
	v_cmp_ne_u32_e64 s0, 10, v9
	s_and_not1_b32 s13, s13, exec_lo
	s_mov_b32 s3, exec_lo
                                        ; implicit-def: $vgpr13
	s_delay_alu instid0(VALU_DEP_1) | instskip(NEXT) | instid1(SALU_CYCLE_1)
	s_and_b32 s0, s0, exec_lo
	s_or_b32 s13, s13, s0
	s_or_b32 exec_lo, exec_lo, s15
	s_and_saveexec_b32 s0, s13
	s_delay_alu instid0(SALU_CYCLE_1)
	s_xor_b32 s0, exec_lo, s0
	s_cbranch_execz .LBB6_142
.LBB6_492:
                                        ; implicit-def: $vgpr13
	s_and_saveexec_b32 s13, s2
	s_delay_alu instid0(SALU_CYCLE_1)
	s_xor_b32 s13, exec_lo, s13
	s_cbranch_execz .LBB6_498
; %bb.493:
                                        ; implicit-def: $vgpr13
	s_and_saveexec_b32 s15, vcc_lo
	s_delay_alu instid0(SALU_CYCLE_1)
	s_xor_b32 s15, exec_lo, s15
	s_cbranch_execz .LBB6_495
; %bb.494:
	s_waitcnt vmcnt(0)
	v_bfe_u32 v13, v12, v10, 3
.LBB6_495:
	s_and_not1_saveexec_b32 s15, s15
	s_cbranch_execz .LBB6_497
; %bb.496:
	s_waitcnt vmcnt(0)
	v_bfe_u32 v13, v12, v7, 3
.LBB6_497:
	s_or_b32 exec_lo, exec_lo, s15
.LBB6_498:
	s_and_not1_saveexec_b32 s13, s13
	s_cbranch_execz .LBB6_500
; %bb.499:
	s_waitcnt vmcnt(0)
	v_bfe_u32 v13, v12, v8, 3
.LBB6_500:
	s_or_b32 exec_lo, exec_lo, s13
	s_delay_alu instid0(SALU_CYCLE_1)
	s_and_not1_b32 s3, s3, exec_lo
	s_or_b32 exec_lo, exec_lo, s0
	s_and_saveexec_b32 s0, s3
	s_cbranch_execnz .LBB6_143
	s_branch .LBB6_144
.LBB6_501:
	s_mov_b32 s13, -1
	s_mov_b32 s16, exec_lo
                                        ; implicit-def: $vgpr13
	v_cmpx_eq_u32_e32 21, v9
	s_cbranch_execz .LBB6_503
; %bb.502:
	global_load_b32 v13, v[4:5], off offset:4
	s_xor_b32 s13, exec_lo, -1
	s_waitcnt vmcnt(0)
	v_alignbit_b32 v13, v13, v12, 31
	s_delay_alu instid0(VALU_DEP_1)
	v_and_b32_e32 v13, 7, v13
.LBB6_503:
	s_or_b32 exec_lo, exec_lo, s16
	s_delay_alu instid0(SALU_CYCLE_1)
	s_and_b32 s13, s13, exec_lo
	s_and_not1_saveexec_b32 s15, s15
	s_cbranch_execz .LBB6_146
.LBB6_504:
	v_cmp_ne_u32_e64 s0, 10, v9
	s_and_not1_b32 s13, s13, exec_lo
	s_mov_b32 s3, exec_lo
                                        ; implicit-def: $vgpr13
	s_delay_alu instid0(VALU_DEP_1) | instskip(NEXT) | instid1(SALU_CYCLE_1)
	s_and_b32 s0, s0, exec_lo
	s_or_b32 s13, s13, s0
	s_or_b32 exec_lo, exec_lo, s15
	s_and_saveexec_b32 s0, s13
	s_delay_alu instid0(SALU_CYCLE_1)
	s_xor_b32 s0, exec_lo, s0
	s_cbranch_execz .LBB6_147
.LBB6_505:
                                        ; implicit-def: $vgpr13
	s_and_saveexec_b32 s13, s2
	s_delay_alu instid0(SALU_CYCLE_1)
	s_xor_b32 s13, exec_lo, s13
	s_cbranch_execz .LBB6_511
; %bb.506:
                                        ; implicit-def: $vgpr13
	s_and_saveexec_b32 s15, vcc_lo
	s_delay_alu instid0(SALU_CYCLE_1)
	s_xor_b32 s15, exec_lo, s15
	s_cbranch_execz .LBB6_508
; %bb.507:
	s_waitcnt vmcnt(0)
	v_bfe_u32 v13, v12, v10, 3
.LBB6_508:
	s_and_not1_saveexec_b32 s15, s15
	s_cbranch_execz .LBB6_510
; %bb.509:
	s_waitcnt vmcnt(0)
	v_bfe_u32 v13, v12, v7, 3
.LBB6_510:
	s_or_b32 exec_lo, exec_lo, s15
.LBB6_511:
	s_and_not1_saveexec_b32 s13, s13
	s_cbranch_execz .LBB6_513
; %bb.512:
	s_waitcnt vmcnt(0)
	v_bfe_u32 v13, v12, v8, 3
.LBB6_513:
	s_or_b32 exec_lo, exec_lo, s13
	s_delay_alu instid0(SALU_CYCLE_1)
	s_and_not1_b32 s3, s3, exec_lo
	s_or_b32 exec_lo, exec_lo, s0
	s_and_saveexec_b32 s0, s3
	s_cbranch_execnz .LBB6_148
	s_branch .LBB6_149
.LBB6_514:
	s_mov_b32 s13, -1
	s_mov_b32 s16, exec_lo
                                        ; implicit-def: $vgpr13
	v_cmpx_eq_u32_e32 21, v9
	s_cbranch_execz .LBB6_516
; %bb.515:
	global_load_b32 v13, v[4:5], off offset:4
	s_xor_b32 s13, exec_lo, -1
	s_waitcnt vmcnt(0)
	v_alignbit_b32 v13, v13, v12, 31
	s_delay_alu instid0(VALU_DEP_1)
	v_and_b32_e32 v13, 7, v13
.LBB6_516:
	s_or_b32 exec_lo, exec_lo, s16
	s_delay_alu instid0(SALU_CYCLE_1)
	s_and_b32 s13, s13, exec_lo
	s_and_not1_saveexec_b32 s15, s15
	s_cbranch_execz .LBB6_151
.LBB6_517:
	v_cmp_ne_u32_e64 s0, 10, v9
	s_and_not1_b32 s13, s13, exec_lo
	s_mov_b32 s3, exec_lo
                                        ; implicit-def: $vgpr13
	s_delay_alu instid0(VALU_DEP_1) | instskip(NEXT) | instid1(SALU_CYCLE_1)
	s_and_b32 s0, s0, exec_lo
	s_or_b32 s13, s13, s0
	s_or_b32 exec_lo, exec_lo, s15
	s_and_saveexec_b32 s0, s13
	s_delay_alu instid0(SALU_CYCLE_1)
	s_xor_b32 s0, exec_lo, s0
	s_cbranch_execz .LBB6_152
.LBB6_518:
                                        ; implicit-def: $vgpr13
	s_and_saveexec_b32 s13, s2
	s_delay_alu instid0(SALU_CYCLE_1)
	s_xor_b32 s13, exec_lo, s13
	s_cbranch_execz .LBB6_524
; %bb.519:
                                        ; implicit-def: $vgpr13
	s_and_saveexec_b32 s15, vcc_lo
	s_delay_alu instid0(SALU_CYCLE_1)
	s_xor_b32 s15, exec_lo, s15
	s_cbranch_execz .LBB6_521
; %bb.520:
	s_waitcnt vmcnt(0)
	v_bfe_u32 v13, v12, v10, 3
.LBB6_521:
	s_and_not1_saveexec_b32 s15, s15
	s_cbranch_execz .LBB6_523
; %bb.522:
	s_waitcnt vmcnt(0)
	v_bfe_u32 v13, v12, v7, 3
.LBB6_523:
	s_or_b32 exec_lo, exec_lo, s15
.LBB6_524:
	s_and_not1_saveexec_b32 s13, s13
	s_cbranch_execz .LBB6_526
; %bb.525:
	s_waitcnt vmcnt(0)
	v_bfe_u32 v13, v12, v8, 3
.LBB6_526:
	s_or_b32 exec_lo, exec_lo, s13
	s_delay_alu instid0(SALU_CYCLE_1)
	s_and_not1_b32 s3, s3, exec_lo
	s_or_b32 exec_lo, exec_lo, s0
	s_and_saveexec_b32 s0, s3
	s_cbranch_execnz .LBB6_153
	s_branch .LBB6_154
.LBB6_527:
	s_mov_b32 s13, -1
	s_mov_b32 s16, exec_lo
                                        ; implicit-def: $vgpr13
	v_cmpx_eq_u32_e32 21, v9
	s_cbranch_execz .LBB6_529
; %bb.528:
	global_load_b32 v13, v[4:5], off offset:4
	s_xor_b32 s13, exec_lo, -1
	s_waitcnt vmcnt(0)
	v_alignbit_b32 v13, v13, v12, 31
	s_delay_alu instid0(VALU_DEP_1)
	v_and_b32_e32 v13, 7, v13
.LBB6_529:
	s_or_b32 exec_lo, exec_lo, s16
	s_delay_alu instid0(SALU_CYCLE_1)
	s_and_b32 s13, s13, exec_lo
	s_and_not1_saveexec_b32 s15, s15
	s_cbranch_execz .LBB6_156
.LBB6_530:
	v_cmp_ne_u32_e64 s0, 10, v9
	s_and_not1_b32 s13, s13, exec_lo
	s_mov_b32 s3, exec_lo
                                        ; implicit-def: $vgpr13
	s_delay_alu instid0(VALU_DEP_1) | instskip(NEXT) | instid1(SALU_CYCLE_1)
	s_and_b32 s0, s0, exec_lo
	s_or_b32 s13, s13, s0
	s_or_b32 exec_lo, exec_lo, s15
	s_and_saveexec_b32 s0, s13
	s_delay_alu instid0(SALU_CYCLE_1)
	s_xor_b32 s0, exec_lo, s0
	s_cbranch_execz .LBB6_157
.LBB6_531:
                                        ; implicit-def: $vgpr13
	s_and_saveexec_b32 s13, s2
	s_delay_alu instid0(SALU_CYCLE_1)
	s_xor_b32 s13, exec_lo, s13
	s_cbranch_execz .LBB6_537
; %bb.532:
                                        ; implicit-def: $vgpr13
	s_and_saveexec_b32 s15, vcc_lo
	s_delay_alu instid0(SALU_CYCLE_1)
	s_xor_b32 s15, exec_lo, s15
	s_cbranch_execz .LBB6_534
; %bb.533:
	s_waitcnt vmcnt(0)
	v_bfe_u32 v13, v12, v10, 3
.LBB6_534:
	s_and_not1_saveexec_b32 s15, s15
	s_cbranch_execz .LBB6_536
; %bb.535:
	s_waitcnt vmcnt(0)
	v_bfe_u32 v13, v12, v7, 3
.LBB6_536:
	s_or_b32 exec_lo, exec_lo, s15
.LBB6_537:
	s_and_not1_saveexec_b32 s13, s13
	s_cbranch_execz .LBB6_539
; %bb.538:
	s_waitcnt vmcnt(0)
	v_bfe_u32 v13, v12, v8, 3
.LBB6_539:
	s_or_b32 exec_lo, exec_lo, s13
	s_delay_alu instid0(SALU_CYCLE_1)
	s_and_not1_b32 s3, s3, exec_lo
	s_or_b32 exec_lo, exec_lo, s0
	s_and_saveexec_b32 s0, s3
	s_cbranch_execnz .LBB6_158
	s_branch .LBB6_159
.LBB6_540:
	s_mov_b32 s13, -1
	s_mov_b32 s16, exec_lo
                                        ; implicit-def: $vgpr13
	v_cmpx_eq_u32_e32 21, v9
	s_cbranch_execz .LBB6_542
; %bb.541:
	global_load_b32 v13, v[4:5], off offset:4
	s_xor_b32 s13, exec_lo, -1
	s_waitcnt vmcnt(0)
	v_alignbit_b32 v13, v13, v12, 31
	s_delay_alu instid0(VALU_DEP_1)
	v_and_b32_e32 v13, 7, v13
.LBB6_542:
	s_or_b32 exec_lo, exec_lo, s16
	s_delay_alu instid0(SALU_CYCLE_1)
	s_and_b32 s13, s13, exec_lo
	s_and_not1_saveexec_b32 s15, s15
	s_cbranch_execz .LBB6_161
.LBB6_543:
	v_cmp_ne_u32_e64 s0, 10, v9
	s_and_not1_b32 s13, s13, exec_lo
	s_mov_b32 s3, exec_lo
                                        ; implicit-def: $vgpr13
	s_delay_alu instid0(VALU_DEP_1) | instskip(NEXT) | instid1(SALU_CYCLE_1)
	s_and_b32 s0, s0, exec_lo
	s_or_b32 s13, s13, s0
	s_or_b32 exec_lo, exec_lo, s15
	s_and_saveexec_b32 s0, s13
	s_delay_alu instid0(SALU_CYCLE_1)
	s_xor_b32 s0, exec_lo, s0
	s_cbranch_execz .LBB6_162
.LBB6_544:
                                        ; implicit-def: $vgpr13
	s_and_saveexec_b32 s13, s2
	s_delay_alu instid0(SALU_CYCLE_1)
	s_xor_b32 s13, exec_lo, s13
	s_cbranch_execz .LBB6_550
; %bb.545:
                                        ; implicit-def: $vgpr13
	s_and_saveexec_b32 s15, vcc_lo
	s_delay_alu instid0(SALU_CYCLE_1)
	s_xor_b32 s15, exec_lo, s15
	s_cbranch_execz .LBB6_547
; %bb.546:
	s_waitcnt vmcnt(0)
	v_bfe_u32 v13, v12, v10, 3
.LBB6_547:
	s_and_not1_saveexec_b32 s15, s15
	s_cbranch_execz .LBB6_549
; %bb.548:
	s_waitcnt vmcnt(0)
	v_bfe_u32 v13, v12, v7, 3
.LBB6_549:
	s_or_b32 exec_lo, exec_lo, s15
.LBB6_550:
	s_and_not1_saveexec_b32 s13, s13
	s_cbranch_execz .LBB6_552
; %bb.551:
	s_waitcnt vmcnt(0)
	v_bfe_u32 v13, v12, v8, 3
.LBB6_552:
	s_or_b32 exec_lo, exec_lo, s13
	s_delay_alu instid0(SALU_CYCLE_1)
	s_and_not1_b32 s3, s3, exec_lo
	s_or_b32 exec_lo, exec_lo, s0
	s_and_saveexec_b32 s0, s3
	s_cbranch_execnz .LBB6_163
	s_branch .LBB6_164
.LBB6_553:
	s_mov_b32 s13, -1
	s_mov_b32 s16, exec_lo
                                        ; implicit-def: $vgpr13
	v_cmpx_eq_u32_e32 21, v9
	s_cbranch_execz .LBB6_555
; %bb.554:
	global_load_b32 v13, v[4:5], off offset:4
	s_xor_b32 s13, exec_lo, -1
	s_waitcnt vmcnt(0)
	v_alignbit_b32 v13, v13, v12, 31
	s_delay_alu instid0(VALU_DEP_1)
	v_and_b32_e32 v13, 7, v13
.LBB6_555:
	s_or_b32 exec_lo, exec_lo, s16
	s_delay_alu instid0(SALU_CYCLE_1)
	s_and_b32 s13, s13, exec_lo
	s_and_not1_saveexec_b32 s15, s15
	s_cbranch_execz .LBB6_166
.LBB6_556:
	v_cmp_ne_u32_e64 s0, 10, v9
	s_and_not1_b32 s13, s13, exec_lo
	s_mov_b32 s3, exec_lo
                                        ; implicit-def: $vgpr13
	s_delay_alu instid0(VALU_DEP_1) | instskip(NEXT) | instid1(SALU_CYCLE_1)
	s_and_b32 s0, s0, exec_lo
	s_or_b32 s13, s13, s0
	s_or_b32 exec_lo, exec_lo, s15
	s_and_saveexec_b32 s0, s13
	s_delay_alu instid0(SALU_CYCLE_1)
	s_xor_b32 s0, exec_lo, s0
	s_cbranch_execz .LBB6_167
.LBB6_557:
                                        ; implicit-def: $vgpr13
	s_and_saveexec_b32 s13, s2
	s_delay_alu instid0(SALU_CYCLE_1)
	s_xor_b32 s13, exec_lo, s13
	s_cbranch_execz .LBB6_563
; %bb.558:
                                        ; implicit-def: $vgpr13
	s_and_saveexec_b32 s15, vcc_lo
	s_delay_alu instid0(SALU_CYCLE_1)
	s_xor_b32 s15, exec_lo, s15
	s_cbranch_execz .LBB6_560
; %bb.559:
	s_waitcnt vmcnt(0)
	v_bfe_u32 v13, v12, v10, 3
.LBB6_560:
	s_and_not1_saveexec_b32 s15, s15
	s_cbranch_execz .LBB6_562
; %bb.561:
	s_waitcnt vmcnt(0)
	v_bfe_u32 v13, v12, v7, 3
.LBB6_562:
	s_or_b32 exec_lo, exec_lo, s15
.LBB6_563:
	s_and_not1_saveexec_b32 s13, s13
	s_cbranch_execz .LBB6_565
; %bb.564:
	s_waitcnt vmcnt(0)
	v_bfe_u32 v13, v12, v8, 3
.LBB6_565:
	s_or_b32 exec_lo, exec_lo, s13
	s_delay_alu instid0(SALU_CYCLE_1)
	s_and_not1_b32 s3, s3, exec_lo
	s_or_b32 exec_lo, exec_lo, s0
	s_and_saveexec_b32 s0, s3
	s_cbranch_execnz .LBB6_168
	s_branch .LBB6_169
.LBB6_566:
	s_mov_b32 s6, -1
	s_mov_b32 s8, exec_lo
                                        ; implicit-def: $vgpr11
	v_cmpx_eq_u32_e32 21, v9
	s_cbranch_execz .LBB6_568
; %bb.567:
	global_load_b32 v9, v[0:1], off offset:4
	s_xor_b32 s6, exec_lo, -1
	s_waitcnt vmcnt(0)
	v_alignbit_b32 v9, v9, v5, 31
	s_delay_alu instid0(VALU_DEP_1)
	v_and_b32_e32 v11, 7, v9
.LBB6_568:
	s_or_b32 exec_lo, exec_lo, s8
	s_delay_alu instid0(SALU_CYCLE_1)
	s_and_b32 s6, s6, exec_lo
                                        ; implicit-def: $vgpr9
	s_and_not1_saveexec_b32 s7, s7
	s_cbranch_execz .LBB6_171
.LBB6_569:
	v_cmp_ne_u32_e64 s0, 10, v9
	s_and_not1_b32 s6, s6, exec_lo
	s_mov_b32 s3, exec_lo
                                        ; implicit-def: $vgpr11
	s_delay_alu instid0(VALU_DEP_1) | instskip(NEXT) | instid1(SALU_CYCLE_1)
	s_and_b32 s0, s0, exec_lo
	s_or_b32 s6, s6, s0
	s_or_b32 exec_lo, exec_lo, s7
	s_and_saveexec_b32 s0, s6
	s_delay_alu instid0(SALU_CYCLE_1)
	s_xor_b32 s0, exec_lo, s0
	s_cbranch_execz .LBB6_172
.LBB6_570:
                                        ; implicit-def: $vgpr11
	s_and_saveexec_b32 s6, s2
	s_delay_alu instid0(SALU_CYCLE_1)
	s_xor_b32 s2, exec_lo, s6
	s_cbranch_execz .LBB6_576
; %bb.571:
                                        ; implicit-def: $vgpr11
	s_and_saveexec_b32 s6, vcc_lo
	s_delay_alu instid0(SALU_CYCLE_1)
	s_xor_b32 s6, exec_lo, s6
	s_cbranch_execz .LBB6_573
; %bb.572:
	s_waitcnt vmcnt(0)
	v_bfe_u32 v11, v5, v10, 3
                                        ; implicit-def: $vgpr7
.LBB6_573:
	s_and_not1_saveexec_b32 s6, s6
	s_cbranch_execz .LBB6_575
; %bb.574:
	s_waitcnt vmcnt(0)
	v_bfe_u32 v11, v5, v7, 3
.LBB6_575:
	s_or_b32 exec_lo, exec_lo, s6
                                        ; implicit-def: $vgpr8
.LBB6_576:
	s_and_not1_saveexec_b32 s2, s2
	s_cbranch_execz .LBB6_578
; %bb.577:
	s_waitcnt vmcnt(0)
	v_bfe_u32 v11, v5, v8, 3
.LBB6_578:
	s_or_b32 exec_lo, exec_lo, s2
	s_delay_alu instid0(SALU_CYCLE_1)
	s_and_not1_b32 s3, s3, exec_lo
	s_or_b32 exec_lo, exec_lo, s0
	s_and_saveexec_b32 s0, s3
	s_cbranch_execnz .LBB6_173
	s_branch .LBB6_174
	.section	.rodata,"a",@progbits
	.p2align	6, 0x0
	.amdhsa_kernel _ZN4vllm4gptq28reconstruct_gptq_3bit_kernelEPKjPK6__halfS2_PKiiiibPS3_
		.amdhsa_group_segment_fixed_size 0
		.amdhsa_private_segment_fixed_size 0
		.amdhsa_kernarg_size 56
		.amdhsa_user_sgpr_count 14
		.amdhsa_user_sgpr_dispatch_ptr 0
		.amdhsa_user_sgpr_queue_ptr 0
		.amdhsa_user_sgpr_kernarg_segment_ptr 1
		.amdhsa_user_sgpr_dispatch_id 0
		.amdhsa_user_sgpr_private_segment_size 0
		.amdhsa_wavefront_size32 1
		.amdhsa_uses_dynamic_stack 0
		.amdhsa_enable_private_segment 0
		.amdhsa_system_sgpr_workgroup_id_x 1
		.amdhsa_system_sgpr_workgroup_id_y 1
		.amdhsa_system_sgpr_workgroup_id_z 0
		.amdhsa_system_sgpr_workgroup_info 0
		.amdhsa_system_vgpr_workitem_id 0
		.amdhsa_next_free_vgpr 18
		.amdhsa_next_free_sgpr 20
		.amdhsa_reserve_vcc 1
		.amdhsa_float_round_mode_32 0
		.amdhsa_float_round_mode_16_64 0
		.amdhsa_float_denorm_mode_32 3
		.amdhsa_float_denorm_mode_16_64 3
		.amdhsa_dx10_clamp 1
		.amdhsa_ieee_mode 1
		.amdhsa_fp16_overflow 0
		.amdhsa_workgroup_processor_mode 1
		.amdhsa_memory_ordered 1
		.amdhsa_forward_progress 0
		.amdhsa_shared_vgpr_count 0
		.amdhsa_exception_fp_ieee_invalid_op 0
		.amdhsa_exception_fp_denorm_src 0
		.amdhsa_exception_fp_ieee_div_zero 0
		.amdhsa_exception_fp_ieee_overflow 0
		.amdhsa_exception_fp_ieee_underflow 0
		.amdhsa_exception_fp_ieee_inexact 0
		.amdhsa_exception_int_div_zero 0
	.end_amdhsa_kernel
	.text
.Lfunc_end6:
	.size	_ZN4vllm4gptq28reconstruct_gptq_3bit_kernelEPKjPK6__halfS2_PKiiiibPS3_, .Lfunc_end6-_ZN4vllm4gptq28reconstruct_gptq_3bit_kernelEPKjPK6__halfS2_PKiiiibPS3_
                                        ; -- End function
	.section	.AMDGPU.csdata,"",@progbits
; Kernel info:
; codeLenInByte = 17392
; NumSgprs: 22
; NumVgprs: 18
; ScratchSize: 0
; MemoryBound: 0
; FloatMode: 240
; IeeeMode: 1
; LDSByteSize: 0 bytes/workgroup (compile time only)
; SGPRBlocks: 2
; VGPRBlocks: 2
; NumSGPRsForWavesPerEU: 22
; NumVGPRsForWavesPerEU: 18
; Occupancy: 16
; WaveLimiterHint : 1
; COMPUTE_PGM_RSRC2:SCRATCH_EN: 0
; COMPUTE_PGM_RSRC2:USER_SGPR: 14
; COMPUTE_PGM_RSRC2:TRAP_HANDLER: 0
; COMPUTE_PGM_RSRC2:TGID_X_EN: 1
; COMPUTE_PGM_RSRC2:TGID_Y_EN: 1
; COMPUTE_PGM_RSRC2:TGID_Z_EN: 0
; COMPUTE_PGM_RSRC2:TIDIG_COMP_CNT: 0
	.text
	.protected	_ZN4vllm4gptq19shuffle_4bit_kernelEPjii ; -- Begin function _ZN4vllm4gptq19shuffle_4bit_kernelEPjii
	.globl	_ZN4vllm4gptq19shuffle_4bit_kernelEPjii
	.p2align	8
	.type	_ZN4vllm4gptq19shuffle_4bit_kernelEPjii,@function
_ZN4vllm4gptq19shuffle_4bit_kernelEPjii: ; @_ZN4vllm4gptq19shuffle_4bit_kernelEPjii
; %bb.0:
	s_load_b64 s[2:3], s[0:1], 0x8
	v_lshl_add_u32 v0, s15, 5, v0
	s_mov_b32 s4, 0
	s_waitcnt lgkmcnt(0)
	s_delay_alu instid0(VALU_DEP_1) | instskip(SKIP_2) | instid1(SALU_CYCLE_1)
	v_cmp_gt_u32_e32 vcc_lo, s3, v0
	s_cmp_gt_i32 s2, 0
	s_cselect_b32 s5, -1, 0
	s_and_b32 s5, vcc_lo, s5
	s_delay_alu instid0(SALU_CYCLE_1)
	s_and_saveexec_b32 s6, s5
	s_cbranch_execz .LBB7_3
; %bb.1:
	s_load_b64 s[0:1], s[0:1], 0x0
	v_mov_b32_e32 v1, 0
	s_delay_alu instid0(VALU_DEP_1) | instskip(SKIP_1) | instid1(VALU_DEP_1)
	v_lshlrev_b64 v[0:1], 2, v[0:1]
	s_waitcnt lgkmcnt(0)
	v_add_co_u32 v0, vcc_lo, s0, v0
	s_delay_alu instid0(VALU_DEP_2) | instskip(SKIP_2) | instid1(SALU_CYCLE_1)
	v_add_co_ci_u32_e32 v1, vcc_lo, s1, v1, vcc_lo
	s_ashr_i32 s1, s3, 31
	s_mov_b32 s0, s3
	s_lshl_b64 s[0:1], s[0:1], 2
	s_set_inst_prefetch_distance 0x1
	.p2align	6
.LBB7_2:                                ; =>This Inner Loop Header: Depth=1
	global_load_b32 v2, v[0:1], off
	s_add_i32 s4, s4, 8
	s_delay_alu instid0(SALU_CYCLE_1)
	s_cmp_lt_i32 s4, s2
	s_waitcnt vmcnt(0)
	v_lshrrev_b32_e32 v3, 8, v2
	v_lshrrev_b32_e32 v4, 12, v2
	;; [unrolled: 1-line block ×3, first 2 shown]
	v_lshlrev_b32_e32 v6, 4, v2
	v_and_b32_e32 v7, 0xf000000f, v2
	v_and_b32_e32 v3, 0xf00, v3
	;; [unrolled: 1-line block ×3, first 2 shown]
	v_lshlrev_b32_e32 v8, 12, v2
	v_lshlrev_b32_e32 v2, 8, v2
	v_and_b32_e32 v5, 0xf0, v5
	v_and_b32_e32 v6, 0xf000000, v6
	v_or3_b32 v3, v7, v4, v3
	v_and_b32_e32 v4, 0xf0000, v8
	v_and_b32_e32 v2, 0xf00000, v2
	s_delay_alu instid0(VALU_DEP_3) | instskip(NEXT) | instid1(VALU_DEP_1)
	v_or3_b32 v3, v3, v6, v5
	v_or3_b32 v2, v3, v2, v4
	global_store_b32 v[0:1], v2, off
	v_add_co_u32 v0, vcc_lo, v0, s0
	v_add_co_ci_u32_e32 v1, vcc_lo, s1, v1, vcc_lo
	s_cbranch_scc1 .LBB7_2
.LBB7_3:
	s_set_inst_prefetch_distance 0x2
	s_nop 0
	s_sendmsg sendmsg(MSG_DEALLOC_VGPRS)
	s_endpgm
	.section	.rodata,"a",@progbits
	.p2align	6, 0x0
	.amdhsa_kernel _ZN4vllm4gptq19shuffle_4bit_kernelEPjii
		.amdhsa_group_segment_fixed_size 0
		.amdhsa_private_segment_fixed_size 0
		.amdhsa_kernarg_size 16
		.amdhsa_user_sgpr_count 15
		.amdhsa_user_sgpr_dispatch_ptr 0
		.amdhsa_user_sgpr_queue_ptr 0
		.amdhsa_user_sgpr_kernarg_segment_ptr 1
		.amdhsa_user_sgpr_dispatch_id 0
		.amdhsa_user_sgpr_private_segment_size 0
		.amdhsa_wavefront_size32 1
		.amdhsa_uses_dynamic_stack 0
		.amdhsa_enable_private_segment 0
		.amdhsa_system_sgpr_workgroup_id_x 1
		.amdhsa_system_sgpr_workgroup_id_y 0
		.amdhsa_system_sgpr_workgroup_id_z 0
		.amdhsa_system_sgpr_workgroup_info 0
		.amdhsa_system_vgpr_workitem_id 0
		.amdhsa_next_free_vgpr 9
		.amdhsa_next_free_sgpr 16
		.amdhsa_reserve_vcc 1
		.amdhsa_float_round_mode_32 0
		.amdhsa_float_round_mode_16_64 0
		.amdhsa_float_denorm_mode_32 3
		.amdhsa_float_denorm_mode_16_64 3
		.amdhsa_dx10_clamp 1
		.amdhsa_ieee_mode 1
		.amdhsa_fp16_overflow 0
		.amdhsa_workgroup_processor_mode 1
		.amdhsa_memory_ordered 1
		.amdhsa_forward_progress 0
		.amdhsa_shared_vgpr_count 0
		.amdhsa_exception_fp_ieee_invalid_op 0
		.amdhsa_exception_fp_denorm_src 0
		.amdhsa_exception_fp_ieee_div_zero 0
		.amdhsa_exception_fp_ieee_overflow 0
		.amdhsa_exception_fp_ieee_underflow 0
		.amdhsa_exception_fp_ieee_inexact 0
		.amdhsa_exception_int_div_zero 0
	.end_amdhsa_kernel
	.text
.Lfunc_end7:
	.size	_ZN4vllm4gptq19shuffle_4bit_kernelEPjii, .Lfunc_end7-_ZN4vllm4gptq19shuffle_4bit_kernelEPjii
                                        ; -- End function
	.section	.AMDGPU.csdata,"",@progbits
; Kernel info:
; codeLenInByte = 288
; NumSgprs: 18
; NumVgprs: 9
; ScratchSize: 0
; MemoryBound: 0
; FloatMode: 240
; IeeeMode: 1
; LDSByteSize: 0 bytes/workgroup (compile time only)
; SGPRBlocks: 2
; VGPRBlocks: 1
; NumSGPRsForWavesPerEU: 18
; NumVGPRsForWavesPerEU: 9
; Occupancy: 16
; WaveLimiterHint : 0
; COMPUTE_PGM_RSRC2:SCRATCH_EN: 0
; COMPUTE_PGM_RSRC2:USER_SGPR: 15
; COMPUTE_PGM_RSRC2:TRAP_HANDLER: 0
; COMPUTE_PGM_RSRC2:TGID_X_EN: 1
; COMPUTE_PGM_RSRC2:TGID_Y_EN: 0
; COMPUTE_PGM_RSRC2:TGID_Z_EN: 0
; COMPUTE_PGM_RSRC2:TIDIG_COMP_CNT: 0
	.text
	.protected	_ZN4vllm4gptq19shuffle_8bit_kernelEPjii ; -- Begin function _ZN4vllm4gptq19shuffle_8bit_kernelEPjii
	.globl	_ZN4vllm4gptq19shuffle_8bit_kernelEPjii
	.p2align	8
	.type	_ZN4vllm4gptq19shuffle_8bit_kernelEPjii,@function
_ZN4vllm4gptq19shuffle_8bit_kernelEPjii: ; @_ZN4vllm4gptq19shuffle_8bit_kernelEPjii
; %bb.0:
	s_endpgm
	.section	.rodata,"a",@progbits
	.p2align	6, 0x0
	.amdhsa_kernel _ZN4vllm4gptq19shuffle_8bit_kernelEPjii
		.amdhsa_group_segment_fixed_size 0
		.amdhsa_private_segment_fixed_size 0
		.amdhsa_kernarg_size 16
		.amdhsa_user_sgpr_count 15
		.amdhsa_user_sgpr_dispatch_ptr 0
		.amdhsa_user_sgpr_queue_ptr 0
		.amdhsa_user_sgpr_kernarg_segment_ptr 1
		.amdhsa_user_sgpr_dispatch_id 0
		.amdhsa_user_sgpr_private_segment_size 0
		.amdhsa_wavefront_size32 1
		.amdhsa_uses_dynamic_stack 0
		.amdhsa_enable_private_segment 0
		.amdhsa_system_sgpr_workgroup_id_x 1
		.amdhsa_system_sgpr_workgroup_id_y 0
		.amdhsa_system_sgpr_workgroup_id_z 0
		.amdhsa_system_sgpr_workgroup_info 0
		.amdhsa_system_vgpr_workitem_id 0
		.amdhsa_next_free_vgpr 1
		.amdhsa_next_free_sgpr 1
		.amdhsa_reserve_vcc 0
		.amdhsa_float_round_mode_32 0
		.amdhsa_float_round_mode_16_64 0
		.amdhsa_float_denorm_mode_32 3
		.amdhsa_float_denorm_mode_16_64 3
		.amdhsa_dx10_clamp 1
		.amdhsa_ieee_mode 1
		.amdhsa_fp16_overflow 0
		.amdhsa_workgroup_processor_mode 1
		.amdhsa_memory_ordered 1
		.amdhsa_forward_progress 0
		.amdhsa_shared_vgpr_count 0
		.amdhsa_exception_fp_ieee_invalid_op 0
		.amdhsa_exception_fp_denorm_src 0
		.amdhsa_exception_fp_ieee_div_zero 0
		.amdhsa_exception_fp_ieee_overflow 0
		.amdhsa_exception_fp_ieee_underflow 0
		.amdhsa_exception_fp_ieee_inexact 0
		.amdhsa_exception_int_div_zero 0
	.end_amdhsa_kernel
	.text
.Lfunc_end8:
	.size	_ZN4vllm4gptq19shuffle_8bit_kernelEPjii, .Lfunc_end8-_ZN4vllm4gptq19shuffle_8bit_kernelEPjii
                                        ; -- End function
	.section	.AMDGPU.csdata,"",@progbits
; Kernel info:
; codeLenInByte = 4
; NumSgprs: 0
; NumVgprs: 0
; ScratchSize: 0
; MemoryBound: 0
; FloatMode: 240
; IeeeMode: 1
; LDSByteSize: 0 bytes/workgroup (compile time only)
; SGPRBlocks: 0
; VGPRBlocks: 0
; NumSGPRsForWavesPerEU: 1
; NumVGPRsForWavesPerEU: 1
; Occupancy: 16
; WaveLimiterHint : 0
; COMPUTE_PGM_RSRC2:SCRATCH_EN: 0
; COMPUTE_PGM_RSRC2:USER_SGPR: 15
; COMPUTE_PGM_RSRC2:TRAP_HANDLER: 0
; COMPUTE_PGM_RSRC2:TGID_X_EN: 1
; COMPUTE_PGM_RSRC2:TGID_Y_EN: 0
; COMPUTE_PGM_RSRC2:TGID_Z_EN: 0
; COMPUTE_PGM_RSRC2:TIDIG_COMP_CNT: 0
	.text
	.protected	_ZN4vllm4gptq19shuffle_2bit_kernelEPjii ; -- Begin function _ZN4vllm4gptq19shuffle_2bit_kernelEPjii
	.globl	_ZN4vllm4gptq19shuffle_2bit_kernelEPjii
	.p2align	8
	.type	_ZN4vllm4gptq19shuffle_2bit_kernelEPjii,@function
_ZN4vllm4gptq19shuffle_2bit_kernelEPjii: ; @_ZN4vllm4gptq19shuffle_2bit_kernelEPjii
; %bb.0:
	s_load_b64 s[2:3], s[0:1], 0x8
	v_lshl_add_u32 v0, s15, 5, v0
	s_mov_b32 s4, 0
	s_waitcnt lgkmcnt(0)
	s_delay_alu instid0(VALU_DEP_1) | instskip(SKIP_2) | instid1(SALU_CYCLE_1)
	v_cmp_gt_u32_e32 vcc_lo, s3, v0
	s_cmp_gt_i32 s2, 0
	s_cselect_b32 s5, -1, 0
	s_and_b32 s5, vcc_lo, s5
	s_delay_alu instid0(SALU_CYCLE_1)
	s_and_saveexec_b32 s6, s5
	s_cbranch_execz .LBB9_3
; %bb.1:
	s_load_b64 s[0:1], s[0:1], 0x0
	v_mov_b32_e32 v1, 0
	s_delay_alu instid0(VALU_DEP_1) | instskip(SKIP_1) | instid1(VALU_DEP_1)
	v_lshlrev_b64 v[0:1], 2, v[0:1]
	s_waitcnt lgkmcnt(0)
	v_add_co_u32 v0, vcc_lo, s0, v0
	s_delay_alu instid0(VALU_DEP_2) | instskip(SKIP_2) | instid1(SALU_CYCLE_1)
	v_add_co_ci_u32_e32 v1, vcc_lo, s1, v1, vcc_lo
	s_ashr_i32 s1, s3, 31
	s_mov_b32 s0, s3
	s_lshl_b64 s[0:1], s[0:1], 2
.LBB9_2:                                ; =>This Inner Loop Header: Depth=1
	global_load_b32 v2, v[0:1], off
	s_add_i32 s4, s4, 16
	s_delay_alu instid0(SALU_CYCLE_1)
	s_cmp_lt_i32 s4, s2
	s_waitcnt vmcnt(0)
	v_lshrrev_b32_e32 v3, 12, v2
	v_lshrrev_b32_e32 v4, 14, v2
	;; [unrolled: 1-line block ×3, first 2 shown]
	v_lshlrev_b32_e32 v6, 2, v2
	v_and_b32_e32 v7, 0xc0000003, v2
	v_and_b32_e32 v3, 0x3000, v3
	;; [unrolled: 1-line block ×3, first 2 shown]
	v_lshrrev_b32_e32 v8, 8, v2
	v_lshlrev_b32_e32 v9, 4, v2
	v_and_b32_e32 v5, 0xc00, v5
	v_and_b32_e32 v6, 0x30000000, v6
	v_or3_b32 v3, v7, v4, v3
	v_lshrrev_b32_e32 v4, 6, v2
	v_lshlrev_b32_e32 v7, 6, v2
	v_and_b32_e32 v8, 0x300, v8
	v_and_b32_e32 v9, 0xc000000, v9
	v_or3_b32 v3, v3, v6, v5
	;; [unrolled: 5-line block ×4, first 2 shown]
	v_lshlrev_b32_e32 v4, 14, v2
	v_lshlrev_b32_e32 v2, 12, v2
	v_and_b32_e32 v7, 12, v8
	v_and_b32_e32 v8, 0x300000, v9
	v_or3_b32 v3, v3, v6, v5
	v_and_b32_e32 v4, 0x30000, v4
	v_and_b32_e32 v2, 0xc0000, v2
	s_delay_alu instid0(VALU_DEP_3) | instskip(NEXT) | instid1(VALU_DEP_1)
	v_or3_b32 v3, v3, v8, v7
	v_or3_b32 v2, v3, v2, v4
	global_store_b32 v[0:1], v2, off
	v_add_co_u32 v0, vcc_lo, v0, s0
	v_add_co_ci_u32_e32 v1, vcc_lo, s1, v1, vcc_lo
	s_cbranch_scc1 .LBB9_2
.LBB9_3:
	s_nop 0
	s_sendmsg sendmsg(MSG_DEALLOC_VGPRS)
	s_endpgm
	.section	.rodata,"a",@progbits
	.p2align	6, 0x0
	.amdhsa_kernel _ZN4vllm4gptq19shuffle_2bit_kernelEPjii
		.amdhsa_group_segment_fixed_size 0
		.amdhsa_private_segment_fixed_size 0
		.amdhsa_kernarg_size 16
		.amdhsa_user_sgpr_count 15
		.amdhsa_user_sgpr_dispatch_ptr 0
		.amdhsa_user_sgpr_queue_ptr 0
		.amdhsa_user_sgpr_kernarg_segment_ptr 1
		.amdhsa_user_sgpr_dispatch_id 0
		.amdhsa_user_sgpr_private_segment_size 0
		.amdhsa_wavefront_size32 1
		.amdhsa_uses_dynamic_stack 0
		.amdhsa_enable_private_segment 0
		.amdhsa_system_sgpr_workgroup_id_x 1
		.amdhsa_system_sgpr_workgroup_id_y 0
		.amdhsa_system_sgpr_workgroup_id_z 0
		.amdhsa_system_sgpr_workgroup_info 0
		.amdhsa_system_vgpr_workitem_id 0
		.amdhsa_next_free_vgpr 10
		.amdhsa_next_free_sgpr 16
		.amdhsa_reserve_vcc 1
		.amdhsa_float_round_mode_32 0
		.amdhsa_float_round_mode_16_64 0
		.amdhsa_float_denorm_mode_32 3
		.amdhsa_float_denorm_mode_16_64 3
		.amdhsa_dx10_clamp 1
		.amdhsa_ieee_mode 1
		.amdhsa_fp16_overflow 0
		.amdhsa_workgroup_processor_mode 1
		.amdhsa_memory_ordered 1
		.amdhsa_forward_progress 0
		.amdhsa_shared_vgpr_count 0
		.amdhsa_exception_fp_ieee_invalid_op 0
		.amdhsa_exception_fp_denorm_src 0
		.amdhsa_exception_fp_ieee_div_zero 0
		.amdhsa_exception_fp_ieee_overflow 0
		.amdhsa_exception_fp_ieee_underflow 0
		.amdhsa_exception_fp_ieee_inexact 0
		.amdhsa_exception_int_div_zero 0
	.end_amdhsa_kernel
	.text
.Lfunc_end9:
	.size	_ZN4vllm4gptq19shuffle_2bit_kernelEPjii, .Lfunc_end9-_ZN4vllm4gptq19shuffle_2bit_kernelEPjii
                                        ; -- End function
	.section	.AMDGPU.csdata,"",@progbits
; Kernel info:
; codeLenInByte = 400
; NumSgprs: 18
; NumVgprs: 10
; ScratchSize: 0
; MemoryBound: 0
; FloatMode: 240
; IeeeMode: 1
; LDSByteSize: 0 bytes/workgroup (compile time only)
; SGPRBlocks: 2
; VGPRBlocks: 1
; NumSGPRsForWavesPerEU: 18
; NumVGPRsForWavesPerEU: 10
; Occupancy: 16
; WaveLimiterHint : 0
; COMPUTE_PGM_RSRC2:SCRATCH_EN: 0
; COMPUTE_PGM_RSRC2:USER_SGPR: 15
; COMPUTE_PGM_RSRC2:TRAP_HANDLER: 0
; COMPUTE_PGM_RSRC2:TGID_X_EN: 1
; COMPUTE_PGM_RSRC2:TGID_Y_EN: 0
; COMPUTE_PGM_RSRC2:TGID_Z_EN: 0
; COMPUTE_PGM_RSRC2:TIDIG_COMP_CNT: 0
	.text
	.protected	_ZN4vllm4gptq19shuffle_3bit_kernelEPjii ; -- Begin function _ZN4vllm4gptq19shuffle_3bit_kernelEPjii
	.globl	_ZN4vllm4gptq19shuffle_3bit_kernelEPjii
	.p2align	8
	.type	_ZN4vllm4gptq19shuffle_3bit_kernelEPjii,@function
_ZN4vllm4gptq19shuffle_3bit_kernelEPjii: ; @_ZN4vllm4gptq19shuffle_3bit_kernelEPjii
; %bb.0:
	s_load_b64 s[2:3], s[0:1], 0x8
	v_lshl_add_u32 v0, s15, 5, v0
	s_mov_b32 s6, 0
	s_waitcnt lgkmcnt(0)
	s_delay_alu instid0(VALU_DEP_1) | instskip(SKIP_2) | instid1(SALU_CYCLE_1)
	v_cmp_gt_u32_e32 vcc_lo, s3, v0
	s_cmp_gt_i32 s2, 0
	s_cselect_b32 s4, -1, 0
	s_and_b32 s4, vcc_lo, s4
	s_delay_alu instid0(SALU_CYCLE_1)
	s_and_saveexec_b32 s5, s4
	s_cbranch_execz .LBB10_3
; %bb.1:
	s_load_b64 s[0:1], s[0:1], 0x0
	v_mov_b32_e32 v1, 0
	s_ashr_i32 s5, s3, 31
	s_mov_b32 s4, s3
	s_mul_hi_i32 s7, s3, 12
	s_mul_i32 s3, s3, 12
	v_lshlrev_b64 v[0:1], 2, v[0:1]
	s_waitcnt lgkmcnt(0)
	s_delay_alu instid0(VALU_DEP_1) | instskip(NEXT) | instid1(VALU_DEP_2)
	v_add_co_u32 v0, vcc_lo, s0, v0
	v_add_co_ci_u32_e32 v1, vcc_lo, s1, v1, vcc_lo
	s_lshl_b64 s[0:1], s[4:5], 2
	s_lshl_b64 s[4:5], s[4:5], 3
.LBB10_2:                               ; =>This Inner Loop Header: Depth=1
	s_delay_alu instid0(VALU_DEP_2) | instskip(NEXT) | instid1(VALU_DEP_2)
	v_add_co_u32 v2, vcc_lo, v0, s0
	v_add_co_ci_u32_e32 v3, vcc_lo, s1, v1, vcc_lo
	global_load_b32 v6, v[0:1], off
	v_add_co_u32 v4, vcc_lo, v0, s4
	v_add_co_ci_u32_e32 v5, vcc_lo, s5, v1, vcc_lo
	s_clause 0x1
	global_load_b32 v7, v[2:3], off
	global_load_b32 v8, v[4:5], off
	s_add_i32 s6, s6, 32
	s_delay_alu instid0(SALU_CYCLE_1)
	s_cmp_lt_i32 s6, s2
	s_waitcnt vmcnt(2)
	v_and_b32_e32 v9, 7, v6
	v_lshlrev_b32_e32 v10, 13, v6
	v_lshrrev_b32_e32 v11, 3, v6
	v_lshlrev_b32_e32 v12, 10, v6
	v_lshrrev_b32_e32 v13, 6, v6
	;; [unrolled: 2-line block ×4, first 2 shown]
	v_lshlrev_b32_e32 v18, 1, v6
	v_and_or_b32 v9, 0x70000, v10, v9
	v_and_b32_e32 v10, 56, v11
	v_and_b32_e32 v11, 0x380000, v12
	s_waitcnt vmcnt(1)
	v_alignbit_b32 v6, v7, v6, 30
	s_waitcnt vmcnt(0)
	v_alignbit_b32 v19, v8, v7, 28
	v_and_b32_e32 v7, 0x70000000, v18
	v_lshrrev_b32_e32 v18, 12, v8
	v_lshlrev_b32_e32 v22, 1, v8
	v_or3_b32 v9, v9, v10, v11
	v_and_b32_e32 v10, 7, v6
	v_lshlrev_b32_e32 v11, 13, v6
	v_and_b32_e32 v12, 0x1c0, v13
	v_and_b32_e32 v13, 0x1c00000, v14
	;; [unrolled: 1-line block ×5, first 2 shown]
	v_lshrrev_b32_e32 v17, 11, v8
	v_lshrrev_b32_e32 v20, 13, v8
	v_lshlrev_b32_e32 v21, 2, v8
	v_and_b32_e32 v8, 0x80000000, v8
	v_lshlrev_b32_e32 v24, 10, v6
	v_lshrrev_b32_e32 v27, 9, v6
	v_lshlrev_b32_e32 v31, 13, v19
	v_lshrrev_b32_e32 v23, 3, v6
	v_and_b32_e32 v18, 0x8000, v18
	v_and_b32_e32 v11, 0x70000, v11
	v_and_or_b32 v10, 0x80000000, v22, v10
	v_lshrrev_b32_e32 v25, 6, v6
	v_lshlrev_b32_e32 v26, 7, v6
	v_lshlrev_b32_e32 v28, 4, v6
	v_lshrrev_b32_e32 v29, 12, v6
	v_and_b32_e32 v30, 7, v19
	v_lshrrev_b32_e32 v32, 3, v19
	v_lshlrev_b32_e32 v33, 10, v19
	v_and_or_b32 v8, 0x8000, v20, v8
	v_or3_b32 v9, v9, v12, v13
	v_and_b32_e32 v13, 0x380000, v24
	v_and_b32_e32 v24, 0xe00, v27
	;; [unrolled: 1-line block ×4, first 2 shown]
	v_or3_b32 v10, v10, v18, v11
	v_lshrrev_b32_e32 v34, 6, v19
	v_lshlrev_b32_e32 v35, 7, v19
	v_and_b32_e32 v20, 0x1c0, v25
	v_and_b32_e32 v23, 0x1c00000, v26
	;; [unrolled: 1-line block ×6, first 2 shown]
	v_or3_b32 v8, v8, v30, v27
	v_or3_b32 v9, v9, v14, v15
	;; [unrolled: 1-line block ×3, first 2 shown]
	v_lshrrev_b32_e32 v36, 9, v19
	v_lshlrev_b32_e32 v37, 4, v19
	v_and_b32_e32 v31, 0x1c0, v34
	v_and_b32_e32 v32, 0x1c00000, v35
	v_or3_b32 v8, v8, v28, v29
	v_and_b32_e32 v17, 0x8000, v17
	v_and_b32_e32 v21, 0x80000000, v21
	v_or3_b32 v7, v9, v16, v7
	v_lshlrev_b32_e32 v6, 1, v6
	v_or3_b32 v9, v10, v20, v23
	v_lshrrev_b32_e32 v38, 12, v19
	v_lshlrev_b32_e32 v19, 1, v19
	v_and_b32_e32 v33, 0xe00, v36
	v_and_b32_e32 v22, 0xe000000, v37
	v_or3_b32 v8, v8, v31, v32
	v_or3_b32 v7, v7, v21, v17
	v_and_b32_e32 v6, 0x70000000, v6
	v_or3_b32 v9, v9, v24, v25
	v_and_b32_e32 v34, 0x7000, v38
	v_and_b32_e32 v19, 0x70000000, v19
	v_or3_b32 v8, v8, v33, v22
	global_store_b32 v[0:1], v7, off
	v_add_co_u32 v0, vcc_lo, v0, s3
	v_or3_b32 v6, v9, v26, v6
	v_add_co_ci_u32_e32 v1, vcc_lo, s7, v1, vcc_lo
	v_or3_b32 v7, v8, v34, v19
	s_clause 0x1
	global_store_b32 v[2:3], v6, off
	global_store_b32 v[4:5], v7, off
	s_cbranch_scc1 .LBB10_2
.LBB10_3:
	s_nop 0
	s_sendmsg sendmsg(MSG_DEALLOC_VGPRS)
	s_endpgm
	.section	.rodata,"a",@progbits
	.p2align	6, 0x0
	.amdhsa_kernel _ZN4vllm4gptq19shuffle_3bit_kernelEPjii
		.amdhsa_group_segment_fixed_size 0
		.amdhsa_private_segment_fixed_size 0
		.amdhsa_kernarg_size 16
		.amdhsa_user_sgpr_count 15
		.amdhsa_user_sgpr_dispatch_ptr 0
		.amdhsa_user_sgpr_queue_ptr 0
		.amdhsa_user_sgpr_kernarg_segment_ptr 1
		.amdhsa_user_sgpr_dispatch_id 0
		.amdhsa_user_sgpr_private_segment_size 0
		.amdhsa_wavefront_size32 1
		.amdhsa_uses_dynamic_stack 0
		.amdhsa_enable_private_segment 0
		.amdhsa_system_sgpr_workgroup_id_x 1
		.amdhsa_system_sgpr_workgroup_id_y 0
		.amdhsa_system_sgpr_workgroup_id_z 0
		.amdhsa_system_sgpr_workgroup_info 0
		.amdhsa_system_vgpr_workitem_id 0
		.amdhsa_next_free_vgpr 39
		.amdhsa_next_free_sgpr 16
		.amdhsa_reserve_vcc 1
		.amdhsa_float_round_mode_32 0
		.amdhsa_float_round_mode_16_64 0
		.amdhsa_float_denorm_mode_32 3
		.amdhsa_float_denorm_mode_16_64 3
		.amdhsa_dx10_clamp 1
		.amdhsa_ieee_mode 1
		.amdhsa_fp16_overflow 0
		.amdhsa_workgroup_processor_mode 1
		.amdhsa_memory_ordered 1
		.amdhsa_forward_progress 0
		.amdhsa_shared_vgpr_count 0
		.amdhsa_exception_fp_ieee_invalid_op 0
		.amdhsa_exception_fp_denorm_src 0
		.amdhsa_exception_fp_ieee_div_zero 0
		.amdhsa_exception_fp_ieee_overflow 0
		.amdhsa_exception_fp_ieee_underflow 0
		.amdhsa_exception_fp_ieee_inexact 0
		.amdhsa_exception_int_div_zero 0
	.end_amdhsa_kernel
	.text
.Lfunc_end10:
	.size	_ZN4vllm4gptq19shuffle_3bit_kernelEPjii, .Lfunc_end10-_ZN4vllm4gptq19shuffle_3bit_kernelEPjii
                                        ; -- End function
	.section	.AMDGPU.csdata,"",@progbits
; Kernel info:
; codeLenInByte = 796
; NumSgprs: 18
; NumVgprs: 39
; ScratchSize: 0
; MemoryBound: 0
; FloatMode: 240
; IeeeMode: 1
; LDSByteSize: 0 bytes/workgroup (compile time only)
; SGPRBlocks: 2
; VGPRBlocks: 4
; NumSGPRsForWavesPerEU: 18
; NumVGPRsForWavesPerEU: 39
; Occupancy: 16
; WaveLimiterHint : 0
; COMPUTE_PGM_RSRC2:SCRATCH_EN: 0
; COMPUTE_PGM_RSRC2:USER_SGPR: 15
; COMPUTE_PGM_RSRC2:TRAP_HANDLER: 0
; COMPUTE_PGM_RSRC2:TGID_X_EN: 1
; COMPUTE_PGM_RSRC2:TGID_Y_EN: 0
; COMPUTE_PGM_RSRC2:TGID_Z_EN: 0
; COMPUTE_PGM_RSRC2:TIDIG_COMP_CNT: 0
	.text
	.protected	_ZN4vllm4gptq27make_sequential_4bit_kernelEPKjPjPKii ; -- Begin function _ZN4vllm4gptq27make_sequential_4bit_kernelEPKjPjPKii
	.globl	_ZN4vllm4gptq27make_sequential_4bit_kernelEPKjPjPKii
	.p2align	8
	.type	_ZN4vllm4gptq27make_sequential_4bit_kernelEPKjPjPKii,@function
_ZN4vllm4gptq27make_sequential_4bit_kernelEPKjPjPKii: ; @_ZN4vllm4gptq27make_sequential_4bit_kernelEPKjPjPKii
; %bb.0:
	s_load_b32 s2, s[0:1], 0x18
	v_lshl_add_u32 v0, s14, 5, v0
	s_waitcnt lgkmcnt(0)
	s_ashr_i32 s12, s2, 1
	s_mov_b32 s2, exec_lo
	s_delay_alu instid0(VALU_DEP_1)
	v_cmpx_gt_u32_e64 s12, v0
	s_cbranch_execz .LBB11_2
; %bb.1:
	s_load_b64 s[2:3], s[0:1], 0x10
	s_lshl_b32 s4, s15, 3
	s_delay_alu instid0(SALU_CYCLE_1) | instskip(NEXT) | instid1(SALU_CYCLE_1)
	s_ashr_i32 s5, s4, 31
	s_lshl_b64 s[4:5], s[4:5], 2
	s_waitcnt lgkmcnt(0)
	s_add_u32 s2, s2, s4
	s_addc_u32 s3, s3, s5
	s_load_b256 s[4:11], s[2:3], 0x0
	s_load_b128 s[0:3], s[0:1], 0x0
	s_waitcnt lgkmcnt(0)
	s_ashr_i32 s13, s4, 3
	s_ashr_i32 s14, s5, 3
	v_mad_u64_u32 v[1:2], null, s13, s12, v[0:1]
	v_mov_b32_e32 v2, 0
	s_ashr_i32 s16, s6, 3
	s_ashr_i32 s21, s11, 3
	;; [unrolled: 1-line block ×5, first 2 shown]
	s_delay_alu instid0(VALU_DEP_2)
	v_mad_u64_u32 v[3:4], null, s14, s12, v[0:1]
	v_mad_u64_u32 v[5:6], null, s16, s12, v[0:1]
	v_mov_b32_e32 v4, v2
	v_mad_u64_u32 v[15:16], null, s21, s12, v[0:1]
	v_lshlrev_b64 v[16:17], 3, v[1:2]
	v_mad_u64_u32 v[7:8], null, s17, s12, v[0:1]
	v_mov_b32_e32 v6, v2
	v_lshlrev_b64 v[3:4], 3, v[3:4]
	v_mad_u64_u32 v[9:10], null, s18, s12, v[0:1]
	v_mov_b32_e32 v8, v2
	s_delay_alu instid0(VALU_DEP_4)
	v_lshlrev_b64 v[5:6], 3, v[5:6]
	v_add_co_u32 v18, vcc_lo, s0, v16
	v_mad_u64_u32 v[11:12], null, s19, s12, v[0:1]
	v_mov_b32_e32 v10, v2
	s_ashr_i32 s20, s10, 3
	v_add_co_ci_u32_e32 v19, vcc_lo, s1, v17, vcc_lo
	v_lshlrev_b64 v[7:8], 3, v[7:8]
	v_add_co_u32 v3, vcc_lo, s0, v3
	v_mad_u64_u32 v[13:14], null, s20, s12, v[0:1]
	v_mov_b32_e32 v12, v2
	v_add_co_ci_u32_e32 v4, vcc_lo, s1, v4, vcc_lo
	v_lshlrev_b64 v[9:10], 3, v[9:10]
	v_add_co_u32 v5, vcc_lo, s0, v5
	v_mov_b32_e32 v14, v2
	v_add_co_ci_u32_e32 v6, vcc_lo, s1, v6, vcc_lo
	v_lshlrev_b64 v[11:12], 3, v[11:12]
	v_add_co_u32 v7, vcc_lo, s0, v7
	v_mov_b32_e32 v16, v2
	v_add_co_ci_u32_e32 v8, vcc_lo, s1, v8, vcc_lo
	v_add_co_u32 v9, vcc_lo, s0, v9
	v_lshlrev_b64 v[13:14], 3, v[13:14]
	v_add_co_ci_u32_e32 v10, vcc_lo, s1, v10, vcc_lo
	v_add_co_u32 v11, vcc_lo, s0, v11
	v_lshlrev_b64 v[15:16], 3, v[15:16]
	v_add_co_ci_u32_e32 v12, vcc_lo, s1, v12, vcc_lo
	v_add_co_u32 v13, vcc_lo, s0, v13
	v_add_co_ci_u32_e32 v14, vcc_lo, s1, v14, vcc_lo
	s_delay_alu instid0(VALU_DEP_4)
	v_add_co_u32 v15, vcc_lo, s0, v15
	v_add_co_ci_u32_e32 v16, vcc_lo, s1, v16, vcc_lo
	s_clause 0x7
	global_load_b64 v[17:18], v[18:19], off
	global_load_b64 v[3:4], v[3:4], off
	;; [unrolled: 1-line block ×8, first 2 shown]
	s_lshl_b32 s0, s4, 2
	v_mad_u64_u32 v[19:20], null, s12, s15, v[0:1]
	s_and_b32 s0, s0, 28
	s_lshl_b32 s1, s5, 2
	s_lshl_b32 s4, s6, 2
	s_and_b32 s1, s1, 28
	s_lshl_b32 s5, s7, 2
	s_lshl_b32 s6, s8, 2
	;; [unrolled: 1-line block ×5, first 2 shown]
	s_and_b32 s4, s4, 28
	s_and_b32 s5, s5, 28
	;; [unrolled: 1-line block ×6, first 2 shown]
	s_waitcnt vmcnt(7)
	v_lshrrev_b64 v[0:1], s0, v[17:18]
	s_delay_alu instid0(VALU_DEP_1)
	v_dual_mov_b32 v20, v2 :: v_dual_and_b32 v17, 15, v0
	s_waitcnt vmcnt(6)
	v_lshrrev_b64 v[2:3], s1, v[3:4]
	s_waitcnt vmcnt(5)
	v_lshrrev_b64 v[4:5], s4, v[5:6]
	;; [unrolled: 2-line block ×7, first 2 shown]
	v_and_b32_e32 v16, 15, v1
	v_lshlrev_b64 v[0:1], 4, v[2:3]
	v_lshlrev_b64 v[2:3], 8, v[4:5]
	;; [unrolled: 1-line block ×6, first 2 shown]
	v_and_b32_e32 v1, 0xf0, v1
	v_and_b32_e32 v0, 0xf0, v0
	;; [unrolled: 1-line block ×6, first 2 shown]
	v_or_b32_e32 v1, v1, v16
	v_or_b32_e32 v0, v0, v17
	v_and_b32_e32 v7, 0xf0000, v7
	v_and_b32_e32 v6, 0xf0000, v6
	;; [unrolled: 1-line block ×4, first 2 shown]
	v_or3_b32 v1, v3, v1, v5
	v_or3_b32 v0, v2, v0, v4
	v_lshlrev_b64 v[12:13], 28, v[14:15]
	v_and_b32_e32 v2, 0xf000000, v11
	v_and_b32_e32 v4, 0xf000000, v10
	v_or3_b32 v5, v7, v1, v9
	v_or3_b32 v6, v6, v0, v8
	v_lshlrev_b64 v[0:1], 3, v[19:20]
	v_and_b32_e32 v3, 0xf0000000, v13
	s_delay_alu instid0(VALU_DEP_2) | instskip(NEXT) | instid1(VALU_DEP_2)
	v_add_co_u32 v0, vcc_lo, s2, v0
	v_or3_b32 v3, v2, v5, v3
	v_or3_b32 v2, v4, v6, v12
	v_add_co_ci_u32_e32 v1, vcc_lo, s3, v1, vcc_lo
	global_store_b64 v[0:1], v[2:3], off
.LBB11_2:
	s_nop 0
	s_sendmsg sendmsg(MSG_DEALLOC_VGPRS)
	s_endpgm
	.section	.rodata,"a",@progbits
	.p2align	6, 0x0
	.amdhsa_kernel _ZN4vllm4gptq27make_sequential_4bit_kernelEPKjPjPKii
		.amdhsa_group_segment_fixed_size 0
		.amdhsa_private_segment_fixed_size 0
		.amdhsa_kernarg_size 28
		.amdhsa_user_sgpr_count 14
		.amdhsa_user_sgpr_dispatch_ptr 0
		.amdhsa_user_sgpr_queue_ptr 0
		.amdhsa_user_sgpr_kernarg_segment_ptr 1
		.amdhsa_user_sgpr_dispatch_id 0
		.amdhsa_user_sgpr_private_segment_size 0
		.amdhsa_wavefront_size32 1
		.amdhsa_uses_dynamic_stack 0
		.amdhsa_enable_private_segment 0
		.amdhsa_system_sgpr_workgroup_id_x 1
		.amdhsa_system_sgpr_workgroup_id_y 1
		.amdhsa_system_sgpr_workgroup_id_z 0
		.amdhsa_system_sgpr_workgroup_info 0
		.amdhsa_system_vgpr_workitem_id 0
		.amdhsa_next_free_vgpr 21
		.amdhsa_next_free_sgpr 22
		.amdhsa_reserve_vcc 1
		.amdhsa_float_round_mode_32 0
		.amdhsa_float_round_mode_16_64 0
		.amdhsa_float_denorm_mode_32 3
		.amdhsa_float_denorm_mode_16_64 3
		.amdhsa_dx10_clamp 1
		.amdhsa_ieee_mode 1
		.amdhsa_fp16_overflow 0
		.amdhsa_workgroup_processor_mode 1
		.amdhsa_memory_ordered 1
		.amdhsa_forward_progress 0
		.amdhsa_shared_vgpr_count 0
		.amdhsa_exception_fp_ieee_invalid_op 0
		.amdhsa_exception_fp_denorm_src 0
		.amdhsa_exception_fp_ieee_div_zero 0
		.amdhsa_exception_fp_ieee_overflow 0
		.amdhsa_exception_fp_ieee_underflow 0
		.amdhsa_exception_fp_ieee_inexact 0
		.amdhsa_exception_int_div_zero 0
	.end_amdhsa_kernel
	.text
.Lfunc_end11:
	.size	_ZN4vllm4gptq27make_sequential_4bit_kernelEPKjPjPKii, .Lfunc_end11-_ZN4vllm4gptq27make_sequential_4bit_kernelEPKjPjPKii
                                        ; -- End function
	.section	.AMDGPU.csdata,"",@progbits
; Kernel info:
; codeLenInByte = 912
; NumSgprs: 24
; NumVgprs: 21
; ScratchSize: 0
; MemoryBound: 0
; FloatMode: 240
; IeeeMode: 1
; LDSByteSize: 0 bytes/workgroup (compile time only)
; SGPRBlocks: 2
; VGPRBlocks: 2
; NumSGPRsForWavesPerEU: 24
; NumVGPRsForWavesPerEU: 21
; Occupancy: 16
; WaveLimiterHint : 1
; COMPUTE_PGM_RSRC2:SCRATCH_EN: 0
; COMPUTE_PGM_RSRC2:USER_SGPR: 14
; COMPUTE_PGM_RSRC2:TRAP_HANDLER: 0
; COMPUTE_PGM_RSRC2:TGID_X_EN: 1
; COMPUTE_PGM_RSRC2:TGID_Y_EN: 1
; COMPUTE_PGM_RSRC2:TGID_Z_EN: 0
; COMPUTE_PGM_RSRC2:TIDIG_COMP_CNT: 0
	.text
	.protected	_ZN4vllm4gptq27make_sequential_2bit_kernelEPKjPjPKii ; -- Begin function _ZN4vllm4gptq27make_sequential_2bit_kernelEPKjPjPKii
	.globl	_ZN4vllm4gptq27make_sequential_2bit_kernelEPKjPjPKii
	.p2align	8
	.type	_ZN4vllm4gptq27make_sequential_2bit_kernelEPKjPjPKii,@function
_ZN4vllm4gptq27make_sequential_2bit_kernelEPKjPjPKii: ; @_ZN4vllm4gptq27make_sequential_2bit_kernelEPKjPjPKii
; %bb.0:
	s_load_b32 s2, s[0:1], 0x18
	v_lshl_add_u32 v0, s14, 5, v0
	s_waitcnt lgkmcnt(0)
	s_ashr_i32 s4, s2, 1
	s_mov_b32 s2, exec_lo
	s_delay_alu instid0(VALU_DEP_1)
	v_cmpx_gt_u32_e64 s4, v0
	s_cbranch_execz .LBB12_2
; %bb.1:
	s_load_b64 s[2:3], s[0:1], 0x10
	s_lshl_b32 s6, s15, 4
	s_delay_alu instid0(SALU_CYCLE_1) | instskip(NEXT) | instid1(SALU_CYCLE_1)
	s_ashr_i32 s7, s6, 31
	s_lshl_b64 s[6:7], s[6:7], 2
	s_waitcnt lgkmcnt(0)
	s_add_u32 s2, s2, s6
	s_addc_u32 s3, s3, s7
	s_load_b512 s[16:31], s[2:3], 0x0
	s_load_b128 s[0:3], s[0:1], 0x0
	s_waitcnt lgkmcnt(0)
	s_ashr_i32 s5, s16, 4
	s_ashr_i32 s6, s17, 4
	v_mad_u64_u32 v[1:2], null, s5, s4, v[0:1]
	v_mov_b32_e32 v2, 0
	s_ashr_i32 s7, s18, 4
	s_ashr_i32 s12, s23, 4
	;; [unrolled: 1-line block ×5, first 2 shown]
	s_delay_alu instid0(VALU_DEP_2)
	v_mad_u64_u32 v[3:4], null, s6, s4, v[0:1]
	v_mad_u64_u32 v[5:6], null, s7, s4, v[0:1]
	v_mov_b32_e32 v4, v2
	v_mad_u64_u32 v[15:16], null, s12, s4, v[0:1]
	v_lshlrev_b64 v[16:17], 3, v[1:2]
	v_mad_u64_u32 v[7:8], null, s8, s4, v[0:1]
	v_mov_b32_e32 v6, v2
	v_lshlrev_b64 v[3:4], 3, v[3:4]
	v_mov_b32_e32 v8, v2
	v_add_co_u32 v16, vcc_lo, s0, v16
	s_delay_alu instid0(VALU_DEP_4)
	v_lshlrev_b64 v[5:6], 3, v[5:6]
	v_mad_u64_u32 v[9:10], null, s9, s4, v[0:1]
	v_add_co_ci_u32_e32 v17, vcc_lo, s1, v17, vcc_lo
	v_lshlrev_b64 v[7:8], 3, v[7:8]
	v_add_co_u32 v3, vcc_lo, s0, v3
	v_mad_u64_u32 v[11:12], null, s10, s4, v[0:1]
	v_mov_b32_e32 v10, v2
	s_ashr_i32 s11, s22, 4
	v_add_co_ci_u32_e32 v4, vcc_lo, s1, v4, vcc_lo
	v_add_co_u32 v5, vcc_lo, s0, v5
	v_mad_u64_u32 v[13:14], null, s11, s4, v[0:1]
	v_mov_b32_e32 v12, v2
	v_add_co_ci_u32_e32 v6, vcc_lo, s1, v6, vcc_lo
	v_lshlrev_b64 v[9:10], 3, v[9:10]
	v_add_co_u32 v7, vcc_lo, s0, v7
	v_mov_b32_e32 v14, v2
	v_add_co_ci_u32_e32 v8, vcc_lo, s1, v8, vcc_lo
	s_ashr_i32 s5, s24, 4
	v_lshlrev_b64 v[11:12], 3, v[11:12]
	s_clause 0x3
	global_load_b64 v[17:18], v[16:17], off
	global_load_b64 v[3:4], v[3:4], off
	;; [unrolled: 1-line block ×4, first 2 shown]
	v_mov_b32_e32 v16, v2
	v_mad_u64_u32 v[19:20], null, s5, s4, v[0:1]
	s_ashr_i32 s5, s25, 4
	v_add_co_u32 v9, vcc_lo, s0, v9
	v_lshlrev_b64 v[13:14], 3, v[13:14]
	v_mov_b32_e32 v20, v2
	v_mad_u64_u32 v[21:22], null, s5, s4, v[0:1]
	v_add_co_ci_u32_e32 v10, vcc_lo, s1, v10, vcc_lo
	s_ashr_i32 s5, s26, 4
	v_add_co_u32 v11, vcc_lo, s0, v11
	v_lshlrev_b64 v[15:16], 3, v[15:16]
	v_mad_u64_u32 v[23:24], null, s5, s4, v[0:1]
	v_mov_b32_e32 v22, v2
	v_add_co_ci_u32_e32 v12, vcc_lo, s1, v12, vcc_lo
	s_ashr_i32 s5, s27, 4
	v_add_co_u32 v13, vcc_lo, s0, v13
	v_lshlrev_b64 v[19:20], 3, v[19:20]
	v_mov_b32_e32 v24, v2
	v_mad_u64_u32 v[25:26], null, s5, s4, v[0:1]
	v_add_co_ci_u32_e32 v14, vcc_lo, s1, v14, vcc_lo
	s_ashr_i32 s5, s28, 4
	v_add_co_u32 v15, vcc_lo, s0, v15
	v_lshlrev_b64 v[21:22], 3, v[21:22]
	v_mov_b32_e32 v26, v2
	v_mad_u64_u32 v[27:28], null, s5, s4, v[0:1]
	v_add_co_ci_u32_e32 v16, vcc_lo, s1, v16, vcc_lo
	s_ashr_i32 s5, s29, 4
	v_add_co_u32 v19, vcc_lo, s0, v19
	v_lshlrev_b64 v[23:24], 3, v[23:24]
	v_mad_u64_u32 v[29:30], null, s5, s4, v[0:1]
	v_mov_b32_e32 v28, v2
	v_add_co_ci_u32_e32 v20, vcc_lo, s1, v20, vcc_lo
	s_ashr_i32 s5, s30, 4
	v_add_co_u32 v21, vcc_lo, s0, v21
	v_lshlrev_b64 v[25:26], 3, v[25:26]
	v_mov_b32_e32 v30, v2
	v_mad_u64_u32 v[31:32], null, s5, s4, v[0:1]
	v_add_co_ci_u32_e32 v22, vcc_lo, s1, v22, vcc_lo
	s_ashr_i32 s5, s31, 4
	v_add_co_u32 v23, vcc_lo, s0, v23
	v_lshlrev_b64 v[27:28], 3, v[27:28]
	v_mov_b32_e32 v32, v2
	v_mad_u64_u32 v[33:34], null, s5, s4, v[0:1]
	v_add_co_ci_u32_e32 v24, vcc_lo, s1, v24, vcc_lo
	v_add_co_u32 v25, vcc_lo, s0, v25
	v_lshlrev_b64 v[29:30], 3, v[29:30]
	v_mov_b32_e32 v34, v2
	v_add_co_ci_u32_e32 v26, vcc_lo, s1, v26, vcc_lo
	v_add_co_u32 v27, vcc_lo, s0, v27
	v_lshlrev_b64 v[31:32], 3, v[31:32]
	v_add_co_ci_u32_e32 v28, vcc_lo, s1, v28, vcc_lo
	v_add_co_u32 v29, vcc_lo, s0, v29
	v_lshlrev_b64 v[33:34], 3, v[33:34]
	v_add_co_ci_u32_e32 v30, vcc_lo, s1, v30, vcc_lo
	v_add_co_u32 v31, vcc_lo, s0, v31
	v_add_co_ci_u32_e32 v32, vcc_lo, s1, v32, vcc_lo
	s_delay_alu instid0(VALU_DEP_4)
	v_add_co_u32 v33, vcc_lo, s0, v33
	v_add_co_ci_u32_e32 v34, vcc_lo, s1, v34, vcc_lo
	s_clause 0xb
	global_load_b64 v[9:10], v[9:10], off
	global_load_b64 v[11:12], v[11:12], off
	;; [unrolled: 1-line block ×12, first 2 shown]
	s_lshl_b32 s0, s16, 1
	s_lshl_b32 s1, s17, 1
	s_and_b32 s0, s0, 30
	s_and_b32 s1, s1, 30
	v_mad_u64_u32 v[35:36], null, s4, s15, v[0:1]
	v_mov_b32_e32 v36, v2
	s_lshl_b32 s4, s18, 1
	s_lshl_b32 s5, s19, 1
	;; [unrolled: 1-line block ×14, first 2 shown]
	s_and_b32 s4, s4, 30
	s_and_b32 s5, s5, 30
	;; [unrolled: 1-line block ×14, first 2 shown]
	s_waitcnt vmcnt(15)
	v_lshrrev_b64 v[0:1], s0, v[17:18]
	s_waitcnt vmcnt(14)
	v_lshrrev_b64 v[2:3], s1, v[3:4]
	;; [unrolled: 2-line block ×16, first 2 shown]
	v_and_b32_e32 v32, 3, v1
	v_and_b32_e32 v33, 3, v0
	v_lshlrev_b64 v[0:1], 2, v[2:3]
	v_lshlrev_b64 v[2:3], 4, v[4:5]
	;; [unrolled: 1-line block ×6, first 2 shown]
	v_and_b32_e32 v1, 12, v1
	v_and_b32_e32 v0, 12, v0
	;; [unrolled: 1-line block ×6, first 2 shown]
	v_or_b32_e32 v1, v1, v32
	v_or_b32_e32 v0, v0, v33
	v_lshlrev_b64 v[12:13], 14, v[14:15]
	v_and_b32_e32 v7, 0x300, v7
	v_and_b32_e32 v6, 0x300, v6
	v_and_b32_e32 v9, 0xc00, v9
	v_and_b32_e32 v8, 0xc00, v8
	v_or3_b32 v1, v3, v1, v5
	v_or3_b32 v0, v2, v0, v4
	v_lshlrev_b64 v[14:15], 16, v[16:17]
	v_lshlrev_b64 v[16:17], 18, v[18:19]
	v_and_b32_e32 v11, 0x3000, v11
	v_and_b32_e32 v10, 0x3000, v10
	v_and_b32_e32 v13, 0xc000, v13
	v_and_b32_e32 v12, 0xc000, v12
	v_or3_b32 v1, v7, v1, v9
	v_or3_b32 v0, v6, v0, v8
	v_lshlrev_b64 v[18:19], 20, v[20:21]
	;; [unrolled: 8-line block ×3, first 2 shown]
	v_lshlrev_b64 v[24:25], 26, v[26:27]
	v_and_b32_e32 v6, 0x300000, v19
	v_and_b32_e32 v7, 0x300000, v18
	;; [unrolled: 1-line block ×4, first 2 shown]
	v_or3_b32 v1, v2, v1, v4
	v_or3_b32 v0, v3, v0, v5
	v_and_b32_e32 v10, 0x3000000, v23
	v_and_b32_e32 v2, 0x3000000, v22
	;; [unrolled: 1-line block ×4, first 2 shown]
	v_or3_b32 v1, v6, v1, v8
	v_or3_b32 v0, v7, v0, v9
	v_lshlrev_b64 v[26:27], 28, v[28:29]
	v_lshlrev_b64 v[28:29], 30, v[30:31]
	s_delay_alu instid0(VALU_DEP_4) | instskip(NEXT) | instid1(VALU_DEP_4)
	v_or3_b32 v3, v10, v1, v3
	v_or3_b32 v2, v2, v0, v4
	v_lshlrev_b64 v[0:1], 3, v[35:36]
	v_and_b32_e32 v5, 0x30000000, v27
	v_and_b32_e32 v7, -2.0, v29
	v_and_b32_e32 v6, 0x30000000, v26
	s_delay_alu instid0(VALU_DEP_4) | instskip(NEXT) | instid1(VALU_DEP_3)
	v_add_co_u32 v0, vcc_lo, s2, v0
	v_or3_b32 v3, v5, v3, v7
	s_delay_alu instid0(VALU_DEP_3)
	v_or3_b32 v2, v6, v2, v28
	v_add_co_ci_u32_e32 v1, vcc_lo, s3, v1, vcc_lo
	global_store_b64 v[0:1], v[2:3], off
.LBB12_2:
	s_nop 0
	s_sendmsg sendmsg(MSG_DEALLOC_VGPRS)
	s_endpgm
	.section	.rodata,"a",@progbits
	.p2align	6, 0x0
	.amdhsa_kernel _ZN4vllm4gptq27make_sequential_2bit_kernelEPKjPjPKii
		.amdhsa_group_segment_fixed_size 0
		.amdhsa_private_segment_fixed_size 0
		.amdhsa_kernarg_size 28
		.amdhsa_user_sgpr_count 14
		.amdhsa_user_sgpr_dispatch_ptr 0
		.amdhsa_user_sgpr_queue_ptr 0
		.amdhsa_user_sgpr_kernarg_segment_ptr 1
		.amdhsa_user_sgpr_dispatch_id 0
		.amdhsa_user_sgpr_private_segment_size 0
		.amdhsa_wavefront_size32 1
		.amdhsa_uses_dynamic_stack 0
		.amdhsa_enable_private_segment 0
		.amdhsa_system_sgpr_workgroup_id_x 1
		.amdhsa_system_sgpr_workgroup_id_y 1
		.amdhsa_system_sgpr_workgroup_id_z 0
		.amdhsa_system_sgpr_workgroup_info 0
		.amdhsa_system_vgpr_workitem_id 0
		.amdhsa_next_free_vgpr 37
		.amdhsa_next_free_sgpr 32
		.amdhsa_reserve_vcc 1
		.amdhsa_float_round_mode_32 0
		.amdhsa_float_round_mode_16_64 0
		.amdhsa_float_denorm_mode_32 3
		.amdhsa_float_denorm_mode_16_64 3
		.amdhsa_dx10_clamp 1
		.amdhsa_ieee_mode 1
		.amdhsa_fp16_overflow 0
		.amdhsa_workgroup_processor_mode 1
		.amdhsa_memory_ordered 1
		.amdhsa_forward_progress 0
		.amdhsa_shared_vgpr_count 0
		.amdhsa_exception_fp_ieee_invalid_op 0
		.amdhsa_exception_fp_denorm_src 0
		.amdhsa_exception_fp_ieee_div_zero 0
		.amdhsa_exception_fp_ieee_overflow 0
		.amdhsa_exception_fp_ieee_underflow 0
		.amdhsa_exception_fp_ieee_inexact 0
		.amdhsa_exception_int_div_zero 0
	.end_amdhsa_kernel
	.text
.Lfunc_end12:
	.size	_ZN4vllm4gptq27make_sequential_2bit_kernelEPKjPjPKii, .Lfunc_end12-_ZN4vllm4gptq27make_sequential_2bit_kernelEPKjPjPKii
                                        ; -- End function
	.section	.AMDGPU.csdata,"",@progbits
; Kernel info:
; codeLenInByte = 1668
; NumSgprs: 34
; NumVgprs: 37
; ScratchSize: 0
; MemoryBound: 0
; FloatMode: 240
; IeeeMode: 1
; LDSByteSize: 0 bytes/workgroup (compile time only)
; SGPRBlocks: 4
; VGPRBlocks: 4
; NumSGPRsForWavesPerEU: 34
; NumVGPRsForWavesPerEU: 37
; Occupancy: 16
; WaveLimiterHint : 1
; COMPUTE_PGM_RSRC2:SCRATCH_EN: 0
; COMPUTE_PGM_RSRC2:USER_SGPR: 14
; COMPUTE_PGM_RSRC2:TRAP_HANDLER: 0
; COMPUTE_PGM_RSRC2:TGID_X_EN: 1
; COMPUTE_PGM_RSRC2:TGID_Y_EN: 1
; COMPUTE_PGM_RSRC2:TGID_Z_EN: 0
; COMPUTE_PGM_RSRC2:TIDIG_COMP_CNT: 0
	.text
	.protected	_ZN4vllm4gptq27make_sequential_3bit_kernelEPKjPjPKii ; -- Begin function _ZN4vllm4gptq27make_sequential_3bit_kernelEPKjPjPKii
	.globl	_ZN4vllm4gptq27make_sequential_3bit_kernelEPKjPjPKii
	.p2align	8
	.type	_ZN4vllm4gptq27make_sequential_3bit_kernelEPKjPjPKii,@function
_ZN4vllm4gptq27make_sequential_3bit_kernelEPKjPjPKii: ; @_ZN4vllm4gptq27make_sequential_3bit_kernelEPKjPjPKii
; %bb.0:
	s_load_b32 s8, s[0:1], 0x18
	v_lshl_add_u32 v0, s14, 5, v0
	s_mov_b32 s2, exec_lo
	s_waitcnt lgkmcnt(0)
	s_delay_alu instid0(VALU_DEP_1)
	v_cmpx_gt_u32_e64 s8, v0
	s_cbranch_execz .LBB13_801
; %bb.1:
	s_clause 0x1
	s_load_b128 s[4:7], s[0:1], 0x0
	s_load_b64 s[0:1], s[0:1], 0x10
	s_lshl_b32 s2, s15, 5
	s_mov_b32 s3, 0
	s_delay_alu instid0(SALU_CYCLE_1)
	s_lshl_b64 s[10:11], s[2:3], 2
	s_waitcnt lgkmcnt(0)
	s_add_u32 s0, s0, s10
	s_addc_u32 s1, s1, s11
	s_load_b32 s2, s[0:1], 0x0
	s_waitcnt lgkmcnt(0)
	s_ashr_i32 s9, s2, 31
	s_delay_alu instid0(SALU_CYCLE_1) | instskip(NEXT) | instid1(SALU_CYCLE_1)
	s_lshr_b32 s9, s9, 27
	s_add_i32 s10, s2, s9
	s_delay_alu instid0(SALU_CYCLE_1)
	s_and_b32 s9, s10, 0xffffffe0
	s_ashr_i32 s10, s10, 5
	s_sub_i32 s9, s2, s9
	s_mul_i32 s10, s10, 3
	s_cmp_lt_i32 s9, 21
	s_cbranch_scc1 .LBB13_4
; %bb.2:
	s_cmp_eq_u32 s9, 21
	s_cbranch_scc0 .LBB13_5
; %bb.3:
	s_add_i32 s2, s10, 1
	s_branch .LBB13_6
.LBB13_4:
                                        ; implicit-def: $sgpr2
	s_cbranch_execnz .LBB13_7
	s_branch .LBB13_8
.LBB13_5:
	s_mov_b32 s3, -1
                                        ; implicit-def: $sgpr2
.LBB13_6:
	s_branch .LBB13_8
.LBB13_7:
	s_cmp_lg_u32 s9, 10
	s_mov_b32 s2, s10
	s_cselect_b32 s3, -1, 0
.LBB13_8:
	s_delay_alu instid0(SALU_CYCLE_1)
	s_and_not1_b32 vcc_lo, exec_lo, s3
                                        ; implicit-def: $sgpr3
	s_cbranch_vccnz .LBB13_15
; %bb.9:
	s_cmp_lt_i32 s9, 22
	s_mul_i32 s11, s9, 3
	s_cbranch_scc0 .LBB13_13
; %bb.10:
	s_cmp_lt_i32 s9, 11
	s_mov_b32 s3, s11
	s_mov_b32 s2, s10
	s_cbranch_scc1 .LBB13_12
; %bb.11:
	s_sub_i32 s3, s11, 32
	s_add_i32 s2, s10, 1
.LBB13_12:
	s_cbranch_execz .LBB13_14
	s_branch .LBB13_15
.LBB13_13:
                                        ; implicit-def: $sgpr3
                                        ; implicit-def: $sgpr2
.LBB13_14:
	s_sub_i32 s3, s11, 64
	s_add_i32 s2, s10, 2
.LBB13_15:
	s_delay_alu instid0(SALU_CYCLE_1) | instskip(SKIP_3) | instid1(VALU_DEP_1)
	v_mad_u64_u32 v[1:2], null, s2, s8, v[0:1]
	v_mov_b32_e32 v2, 0
	s_cmp_lt_i32 s9, 21
	s_mov_b32 s10, 0
	v_lshlrev_b64 v[1:2], 2, v[1:2]
	s_delay_alu instid0(VALU_DEP_1) | instskip(NEXT) | instid1(VALU_DEP_2)
	v_add_co_u32 v1, vcc_lo, s4, v1
	v_add_co_ci_u32_e32 v2, vcc_lo, s5, v2, vcc_lo
	global_load_b32 v3, v[1:2], off
	s_cbranch_scc1 .LBB13_18
; %bb.16:
	s_cmp_eq_u32 s9, 21
	s_cbranch_scc0 .LBB13_19
; %bb.17:
	s_add_i32 s11, s2, 1
	s_delay_alu instid0(SALU_CYCLE_1) | instskip(SKIP_2) | instid1(VALU_DEP_1)
	v_mad_u64_u32 v[1:2], null, s11, s8, v[0:1]
	v_mov_b32_e32 v2, 0
	s_mov_b32 s11, 0
	v_lshlrev_b64 v[1:2], 2, v[1:2]
	s_delay_alu instid0(VALU_DEP_1) | instskip(NEXT) | instid1(VALU_DEP_2)
	v_add_co_u32 v1, vcc_lo, s4, v1
	v_add_co_ci_u32_e32 v2, vcc_lo, s5, v2, vcc_lo
	global_load_b32 v1, v[1:2], off
	s_waitcnt vmcnt(0)
	v_alignbit_b32 v1, v1, v3, 31
	s_delay_alu instid0(VALU_DEP_1)
	v_and_b32_e32 v1, 7, v1
	s_branch .LBB13_20
.LBB13_18:
	s_mov_b32 s11, 0
                                        ; implicit-def: $vgpr1_vgpr2
	s_cbranch_execnz .LBB13_21
	s_branch .LBB13_22
.LBB13_19:
	s_mov_b32 s11, -1
                                        ; implicit-def: $vgpr1_vgpr2
.LBB13_20:
	s_branch .LBB13_22
.LBB13_21:
	s_cmp_lg_u32 s9, 10
	s_mov_b32 s10, -1
	s_cselect_b32 s11, -1, 0
                                        ; implicit-def: $vgpr1_vgpr2
.LBB13_22:
	s_delay_alu instid0(SALU_CYCLE_1)
	s_and_not1_b32 vcc_lo, exec_lo, s11
	s_cbranch_vccz .LBB13_28
; %bb.23:
	s_and_not1_b32 vcc_lo, exec_lo, s10
	s_cbranch_vccnz .LBB13_25
.LBB13_24:
	s_add_i32 s2, s2, 1
	s_delay_alu instid0(VALU_DEP_1) | instid1(SALU_CYCLE_1)
	v_mad_u64_u32 v[1:2], null, s2, s8, v[0:1]
	v_mov_b32_e32 v2, 0
	s_delay_alu instid0(VALU_DEP_1) | instskip(NEXT) | instid1(VALU_DEP_1)
	v_lshlrev_b64 v[1:2], 2, v[1:2]
	v_add_co_u32 v1, vcc_lo, s4, v1
	s_delay_alu instid0(VALU_DEP_2) | instskip(SKIP_3) | instid1(VALU_DEP_1)
	v_add_co_ci_u32_e32 v2, vcc_lo, s5, v2, vcc_lo
	global_load_b32 v1, v[1:2], off
	s_waitcnt vmcnt(0)
	v_alignbit_b32 v1, v1, v3, 30
	v_and_b32_e32 v1, 7, v1
.LBB13_25:
	s_load_b32 s2, s[0:1], 0x4
	s_waitcnt lgkmcnt(0)
	s_ashr_i32 s3, s2, 31
	s_delay_alu instid0(SALU_CYCLE_1) | instskip(NEXT) | instid1(SALU_CYCLE_1)
	s_lshr_b32 s3, s3, 27
	s_add_i32 s9, s2, s3
	s_delay_alu instid0(SALU_CYCLE_1)
	s_and_b32 s3, s9, 0xffffffe0
	s_ashr_i32 s10, s9, 5
	s_sub_i32 s3, s2, s3
	s_mul_i32 s10, s10, 3
	s_cmp_lt_i32 s3, 21
	s_cbranch_scc1 .LBB13_29
; %bb.26:
	s_cmp_eq_u32 s3, 21
	s_cbranch_scc0 .LBB13_30
; %bb.27:
	s_add_i32 s2, s10, 1
	s_mov_b32 s11, 0
	s_mov_b32 s9, 0
	s_branch .LBB13_31
.LBB13_28:
	v_mov_b32_e32 v4, 0
	s_waitcnt vmcnt(0)
	s_delay_alu instid0(VALU_DEP_1) | instskip(NEXT) | instid1(VALU_DEP_1)
	v_lshrrev_b64 v[1:2], s3, v[3:4]
	v_and_b32_e32 v1, 7, v1
	s_cbranch_execz .LBB13_24
	s_branch .LBB13_25
.LBB13_29:
	s_mov_b32 s11, 0
                                        ; implicit-def: $sgpr9
                                        ; implicit-def: $sgpr2
	s_cbranch_execnz .LBB13_32
	s_branch .LBB13_33
.LBB13_30:
	s_mov_b32 s11, -1
                                        ; implicit-def: $sgpr9
                                        ; implicit-def: $sgpr2
.LBB13_31:
	s_branch .LBB13_33
.LBB13_32:
	s_cmp_lg_u32 s3, 10
	s_mov_b32 s9, 0
	s_cselect_b32 s11, -1, 0
	s_mov_b32 s2, s10
.LBB13_33:
	s_and_not1_b32 vcc_lo, exec_lo, s11
	s_cbranch_vccnz .LBB13_40
; %bb.34:
	s_cmp_gt_i32 s3, 21
	s_mul_i32 s11, s3, 3
	s_cbranch_scc1 .LBB13_38
; %bb.35:
	s_cmp_lt_i32 s3, 11
	s_mov_b32 s9, s11
	s_mov_b32 s2, s10
	s_cbranch_scc1 .LBB13_37
; %bb.36:
	s_sub_i32 s9, s11, 32
	s_add_i32 s2, s10, 1
.LBB13_37:
	s_cbranch_execz .LBB13_39
	s_branch .LBB13_40
.LBB13_38:
                                        ; implicit-def: $sgpr9
                                        ; implicit-def: $sgpr2
.LBB13_39:
	s_sub_i32 s9, s11, 64
	s_add_i32 s2, s10, 2
.LBB13_40:
	s_waitcnt vmcnt(0)
	v_mad_u64_u32 v[2:3], null, s2, s8, v[0:1]
	v_mov_b32_e32 v3, 0
	s_cmp_lt_i32 s3, 21
	s_mov_b32 s10, 0
	s_delay_alu instid0(VALU_DEP_1) | instskip(NEXT) | instid1(VALU_DEP_1)
	v_lshlrev_b64 v[2:3], 2, v[2:3]
	v_add_co_u32 v2, vcc_lo, s4, v2
	s_delay_alu instid0(VALU_DEP_2)
	v_add_co_ci_u32_e32 v3, vcc_lo, s5, v3, vcc_lo
	global_load_b32 v4, v[2:3], off
	s_cbranch_scc1 .LBB13_43
; %bb.41:
	s_cmp_eq_u32 s3, 21
	s_cbranch_scc0 .LBB13_44
; %bb.42:
	s_add_i32 s11, s2, 1
	s_delay_alu instid0(SALU_CYCLE_1) | instskip(SKIP_2) | instid1(VALU_DEP_1)
	v_mad_u64_u32 v[2:3], null, s11, s8, v[0:1]
	v_mov_b32_e32 v3, 0
	s_mov_b32 s11, 0
	v_lshlrev_b64 v[2:3], 2, v[2:3]
	s_delay_alu instid0(VALU_DEP_1) | instskip(NEXT) | instid1(VALU_DEP_2)
	v_add_co_u32 v2, vcc_lo, s4, v2
	v_add_co_ci_u32_e32 v3, vcc_lo, s5, v3, vcc_lo
	global_load_b32 v2, v[2:3], off
	s_waitcnt vmcnt(0)
	v_alignbit_b32 v2, v2, v4, 31
	s_delay_alu instid0(VALU_DEP_1)
	v_and_b32_e32 v2, 7, v2
	s_branch .LBB13_45
.LBB13_43:
	s_mov_b32 s11, 0
                                        ; implicit-def: $vgpr2_vgpr3
	s_cbranch_execnz .LBB13_46
	s_branch .LBB13_47
.LBB13_44:
	s_mov_b32 s11, -1
                                        ; implicit-def: $vgpr2_vgpr3
.LBB13_45:
	s_branch .LBB13_47
.LBB13_46:
	s_cmp_lg_u32 s3, 10
	s_mov_b32 s10, -1
	s_cselect_b32 s11, -1, 0
                                        ; implicit-def: $vgpr2_vgpr3
.LBB13_47:
	s_delay_alu instid0(SALU_CYCLE_1)
	s_and_not1_b32 vcc_lo, exec_lo, s11
	s_cbranch_vccz .LBB13_53
; %bb.48:
	s_and_not1_b32 vcc_lo, exec_lo, s10
	s_cbranch_vccnz .LBB13_50
.LBB13_49:
	s_add_i32 s2, s2, 1
	s_delay_alu instid0(SALU_CYCLE_1) | instskip(SKIP_1) | instid1(VALU_DEP_1)
	v_mad_u64_u32 v[2:3], null, s2, s8, v[0:1]
	v_mov_b32_e32 v3, 0
	v_lshlrev_b64 v[2:3], 2, v[2:3]
	s_delay_alu instid0(VALU_DEP_1) | instskip(NEXT) | instid1(VALU_DEP_2)
	v_add_co_u32 v2, vcc_lo, s4, v2
	v_add_co_ci_u32_e32 v3, vcc_lo, s5, v3, vcc_lo
	global_load_b32 v2, v[2:3], off
	s_waitcnt vmcnt(0)
	v_alignbit_b32 v2, v2, v4, 30
	s_delay_alu instid0(VALU_DEP_1)
	v_and_b32_e32 v2, 7, v2
.LBB13_50:
	s_load_b32 s2, s[0:1], 0x8
	s_waitcnt lgkmcnt(0)
	s_ashr_i32 s3, s2, 31
	s_delay_alu instid0(SALU_CYCLE_1) | instskip(NEXT) | instid1(SALU_CYCLE_1)
	s_lshr_b32 s3, s3, 27
	s_add_i32 s9, s2, s3
	s_delay_alu instid0(SALU_CYCLE_1)
	s_and_b32 s3, s9, 0xffffffe0
	s_ashr_i32 s10, s9, 5
	s_sub_i32 s3, s2, s3
	s_mul_i32 s10, s10, 3
	s_cmp_lt_i32 s3, 21
	s_cbranch_scc1 .LBB13_54
; %bb.51:
	s_cmp_eq_u32 s3, 21
	s_cbranch_scc0 .LBB13_55
; %bb.52:
	s_add_i32 s2, s10, 1
	s_mov_b32 s11, 0
	s_mov_b32 s9, 3
	s_branch .LBB13_56
.LBB13_53:
	v_mov_b32_e32 v5, 0
	s_waitcnt vmcnt(0)
	s_delay_alu instid0(VALU_DEP_1) | instskip(NEXT) | instid1(VALU_DEP_1)
	v_lshrrev_b64 v[2:3], s9, v[4:5]
	v_and_b32_e32 v2, 7, v2
	s_cbranch_execz .LBB13_49
	s_branch .LBB13_50
.LBB13_54:
	s_mov_b32 s11, 0
                                        ; implicit-def: $sgpr9
                                        ; implicit-def: $sgpr2
	s_cbranch_execnz .LBB13_57
	s_branch .LBB13_58
.LBB13_55:
	s_mov_b32 s11, -1
                                        ; implicit-def: $sgpr9
                                        ; implicit-def: $sgpr2
.LBB13_56:
	s_branch .LBB13_58
.LBB13_57:
	s_cmp_lg_u32 s3, 10
	s_mov_b32 s9, 3
	s_cselect_b32 s11, -1, 0
	s_mov_b32 s2, s10
.LBB13_58:
	s_and_not1_b32 vcc_lo, exec_lo, s11
	s_cbranch_vccnz .LBB13_65
; %bb.59:
	s_cmp_gt_i32 s3, 21
	s_mul_i32 s11, s3, 3
	s_cbranch_scc1 .LBB13_63
; %bb.60:
	s_cmp_lt_i32 s3, 11
	s_mov_b32 s9, s11
	s_mov_b32 s2, s10
	s_cbranch_scc1 .LBB13_62
; %bb.61:
	s_sub_i32 s9, s11, 32
	s_add_i32 s2, s10, 1
.LBB13_62:
	s_cbranch_execz .LBB13_64
	s_branch .LBB13_65
.LBB13_63:
                                        ; implicit-def: $sgpr9
                                        ; implicit-def: $sgpr2
.LBB13_64:
	s_sub_i32 s9, s11, 64
	s_add_i32 s2, s10, 2
.LBB13_65:
	s_waitcnt vmcnt(0)
	v_mad_u64_u32 v[3:4], null, s2, s8, v[0:1]
	v_mov_b32_e32 v4, 0
	s_cmp_lt_i32 s3, 21
	s_mov_b32 s10, 0
	s_delay_alu instid0(VALU_DEP_1) | instskip(NEXT) | instid1(VALU_DEP_1)
	v_lshlrev_b64 v[3:4], 2, v[3:4]
	v_add_co_u32 v3, vcc_lo, s4, v3
	s_delay_alu instid0(VALU_DEP_2)
	v_add_co_ci_u32_e32 v4, vcc_lo, s5, v4, vcc_lo
	global_load_b32 v5, v[3:4], off
	s_cbranch_scc1 .LBB13_68
; %bb.66:
	s_cmp_eq_u32 s3, 21
	s_cbranch_scc0 .LBB13_69
; %bb.67:
	s_add_i32 s11, s2, 1
	s_delay_alu instid0(SALU_CYCLE_1) | instskip(SKIP_2) | instid1(VALU_DEP_1)
	v_mad_u64_u32 v[3:4], null, s11, s8, v[0:1]
	v_mov_b32_e32 v4, 0
	s_mov_b32 s11, 0
	v_lshlrev_b64 v[3:4], 2, v[3:4]
	s_delay_alu instid0(VALU_DEP_1) | instskip(NEXT) | instid1(VALU_DEP_2)
	v_add_co_u32 v3, vcc_lo, s4, v3
	v_add_co_ci_u32_e32 v4, vcc_lo, s5, v4, vcc_lo
	global_load_b32 v3, v[3:4], off
	s_waitcnt vmcnt(0)
	v_alignbit_b32 v3, v3, v5, 31
	s_delay_alu instid0(VALU_DEP_1)
	v_and_b32_e32 v3, 7, v3
	s_branch .LBB13_70
.LBB13_68:
	s_mov_b32 s11, 0
                                        ; implicit-def: $vgpr3_vgpr4
	s_cbranch_execnz .LBB13_71
	s_branch .LBB13_72
.LBB13_69:
	s_mov_b32 s11, -1
                                        ; implicit-def: $vgpr3_vgpr4
.LBB13_70:
	s_branch .LBB13_72
.LBB13_71:
	s_cmp_lg_u32 s3, 10
	s_mov_b32 s10, -1
	s_cselect_b32 s11, -1, 0
                                        ; implicit-def: $vgpr3_vgpr4
.LBB13_72:
	s_delay_alu instid0(SALU_CYCLE_1)
	s_and_not1_b32 vcc_lo, exec_lo, s11
	s_cbranch_vccz .LBB13_78
; %bb.73:
	s_and_not1_b32 vcc_lo, exec_lo, s10
	s_cbranch_vccnz .LBB13_75
.LBB13_74:
	s_add_i32 s2, s2, 1
	s_delay_alu instid0(SALU_CYCLE_1) | instskip(SKIP_1) | instid1(VALU_DEP_1)
	v_mad_u64_u32 v[3:4], null, s2, s8, v[0:1]
	v_mov_b32_e32 v4, 0
	v_lshlrev_b64 v[3:4], 2, v[3:4]
	s_delay_alu instid0(VALU_DEP_1) | instskip(NEXT) | instid1(VALU_DEP_2)
	v_add_co_u32 v3, vcc_lo, s4, v3
	v_add_co_ci_u32_e32 v4, vcc_lo, s5, v4, vcc_lo
	global_load_b32 v3, v[3:4], off
	s_waitcnt vmcnt(0)
	v_alignbit_b32 v3, v3, v5, 30
	s_delay_alu instid0(VALU_DEP_1)
	v_and_b32_e32 v3, 7, v3
.LBB13_75:
	s_load_b32 s2, s[0:1], 0xc
	s_waitcnt lgkmcnt(0)
	s_ashr_i32 s3, s2, 31
	s_delay_alu instid0(SALU_CYCLE_1) | instskip(NEXT) | instid1(SALU_CYCLE_1)
	s_lshr_b32 s3, s3, 27
	s_add_i32 s9, s2, s3
	s_delay_alu instid0(SALU_CYCLE_1)
	s_and_b32 s3, s9, 0xffffffe0
	s_ashr_i32 s10, s9, 5
	s_sub_i32 s3, s2, s3
	s_mul_i32 s10, s10, 3
	s_cmp_lt_i32 s3, 21
	s_cbranch_scc1 .LBB13_79
; %bb.76:
	s_cmp_eq_u32 s3, 21
	s_cbranch_scc0 .LBB13_80
; %bb.77:
	s_add_i32 s2, s10, 1
	s_mov_b32 s11, 0
	s_mov_b32 s9, 6
	s_branch .LBB13_81
.LBB13_78:
	v_mov_b32_e32 v6, 0
	s_waitcnt vmcnt(0)
	s_delay_alu instid0(VALU_DEP_1) | instskip(NEXT) | instid1(VALU_DEP_1)
	v_lshrrev_b64 v[3:4], s9, v[5:6]
	v_and_b32_e32 v3, 7, v3
	s_cbranch_execz .LBB13_74
	s_branch .LBB13_75
.LBB13_79:
	s_mov_b32 s11, 0
                                        ; implicit-def: $sgpr9
                                        ; implicit-def: $sgpr2
	s_cbranch_execnz .LBB13_82
	s_branch .LBB13_83
.LBB13_80:
	s_mov_b32 s11, -1
                                        ; implicit-def: $sgpr9
                                        ; implicit-def: $sgpr2
.LBB13_81:
	s_branch .LBB13_83
.LBB13_82:
	s_cmp_lg_u32 s3, 10
	s_mov_b32 s9, 6
	s_cselect_b32 s11, -1, 0
	s_mov_b32 s2, s10
.LBB13_83:
	s_and_not1_b32 vcc_lo, exec_lo, s11
	s_cbranch_vccnz .LBB13_90
; %bb.84:
	s_cmp_gt_i32 s3, 21
	s_mul_i32 s11, s3, 3
	s_cbranch_scc1 .LBB13_88
; %bb.85:
	s_cmp_lt_i32 s3, 11
	s_mov_b32 s9, s11
	s_mov_b32 s2, s10
	s_cbranch_scc1 .LBB13_87
; %bb.86:
	s_sub_i32 s9, s11, 32
	s_add_i32 s2, s10, 1
.LBB13_87:
	s_cbranch_execz .LBB13_89
	s_branch .LBB13_90
.LBB13_88:
                                        ; implicit-def: $sgpr9
                                        ; implicit-def: $sgpr2
.LBB13_89:
	s_sub_i32 s9, s11, 64
	s_add_i32 s2, s10, 2
.LBB13_90:
	s_waitcnt vmcnt(0)
	v_mad_u64_u32 v[4:5], null, s2, s8, v[0:1]
	v_mov_b32_e32 v5, 0
	s_cmp_lt_i32 s3, 21
	s_mov_b32 s10, 0
	s_delay_alu instid0(VALU_DEP_1) | instskip(NEXT) | instid1(VALU_DEP_1)
	v_lshlrev_b64 v[4:5], 2, v[4:5]
	v_add_co_u32 v4, vcc_lo, s4, v4
	s_delay_alu instid0(VALU_DEP_2)
	v_add_co_ci_u32_e32 v5, vcc_lo, s5, v5, vcc_lo
	global_load_b32 v6, v[4:5], off
	s_cbranch_scc1 .LBB13_93
; %bb.91:
	s_cmp_eq_u32 s3, 21
	s_cbranch_scc0 .LBB13_94
; %bb.92:
	s_add_i32 s11, s2, 1
	s_delay_alu instid0(SALU_CYCLE_1) | instskip(SKIP_2) | instid1(VALU_DEP_1)
	v_mad_u64_u32 v[4:5], null, s11, s8, v[0:1]
	v_mov_b32_e32 v5, 0
	s_mov_b32 s11, 0
	v_lshlrev_b64 v[4:5], 2, v[4:5]
	s_delay_alu instid0(VALU_DEP_1) | instskip(NEXT) | instid1(VALU_DEP_2)
	v_add_co_u32 v4, vcc_lo, s4, v4
	v_add_co_ci_u32_e32 v5, vcc_lo, s5, v5, vcc_lo
	global_load_b32 v4, v[4:5], off
	s_waitcnt vmcnt(0)
	v_alignbit_b32 v4, v4, v6, 31
	s_delay_alu instid0(VALU_DEP_1)
	v_and_b32_e32 v4, 7, v4
	s_branch .LBB13_95
.LBB13_93:
	s_mov_b32 s11, 0
                                        ; implicit-def: $vgpr4_vgpr5
	s_cbranch_execnz .LBB13_96
	s_branch .LBB13_97
.LBB13_94:
	s_mov_b32 s11, -1
                                        ; implicit-def: $vgpr4_vgpr5
.LBB13_95:
	s_branch .LBB13_97
.LBB13_96:
	s_cmp_lg_u32 s3, 10
	s_mov_b32 s10, -1
	s_cselect_b32 s11, -1, 0
                                        ; implicit-def: $vgpr4_vgpr5
.LBB13_97:
	s_delay_alu instid0(SALU_CYCLE_1)
	s_and_not1_b32 vcc_lo, exec_lo, s11
	s_cbranch_vccz .LBB13_103
; %bb.98:
	s_and_not1_b32 vcc_lo, exec_lo, s10
	s_cbranch_vccnz .LBB13_100
.LBB13_99:
	s_add_i32 s2, s2, 1
	s_delay_alu instid0(SALU_CYCLE_1) | instskip(SKIP_1) | instid1(VALU_DEP_1)
	v_mad_u64_u32 v[4:5], null, s2, s8, v[0:1]
	v_mov_b32_e32 v5, 0
	v_lshlrev_b64 v[4:5], 2, v[4:5]
	s_delay_alu instid0(VALU_DEP_1) | instskip(NEXT) | instid1(VALU_DEP_2)
	v_add_co_u32 v4, vcc_lo, s4, v4
	v_add_co_ci_u32_e32 v5, vcc_lo, s5, v5, vcc_lo
	global_load_b32 v4, v[4:5], off
	s_waitcnt vmcnt(0)
	v_alignbit_b32 v4, v4, v6, 30
	s_delay_alu instid0(VALU_DEP_1)
	v_and_b32_e32 v4, 7, v4
.LBB13_100:
	s_load_b32 s2, s[0:1], 0x10
	s_waitcnt lgkmcnt(0)
	s_ashr_i32 s3, s2, 31
	s_delay_alu instid0(SALU_CYCLE_1) | instskip(NEXT) | instid1(SALU_CYCLE_1)
	s_lshr_b32 s3, s3, 27
	s_add_i32 s9, s2, s3
	s_delay_alu instid0(SALU_CYCLE_1)
	s_and_b32 s3, s9, 0xffffffe0
	s_ashr_i32 s10, s9, 5
	s_sub_i32 s3, s2, s3
	s_mul_i32 s10, s10, 3
	s_cmp_lt_i32 s3, 21
	s_cbranch_scc1 .LBB13_104
; %bb.101:
	s_cmp_eq_u32 s3, 21
	s_cbranch_scc0 .LBB13_105
; %bb.102:
	s_add_i32 s2, s10, 1
	s_mov_b32 s11, 0
	s_mov_b32 s9, 9
	s_branch .LBB13_106
.LBB13_103:
	v_mov_b32_e32 v7, 0
	s_waitcnt vmcnt(0)
	s_delay_alu instid0(VALU_DEP_1) | instskip(NEXT) | instid1(VALU_DEP_1)
	v_lshrrev_b64 v[4:5], s9, v[6:7]
	v_and_b32_e32 v4, 7, v4
	s_cbranch_execz .LBB13_99
	s_branch .LBB13_100
.LBB13_104:
	s_mov_b32 s11, 0
                                        ; implicit-def: $sgpr9
                                        ; implicit-def: $sgpr2
	s_cbranch_execnz .LBB13_107
	s_branch .LBB13_108
.LBB13_105:
	s_mov_b32 s11, -1
                                        ; implicit-def: $sgpr9
                                        ; implicit-def: $sgpr2
.LBB13_106:
	s_branch .LBB13_108
.LBB13_107:
	s_cmp_lg_u32 s3, 10
	s_mov_b32 s9, 9
	s_cselect_b32 s11, -1, 0
	s_mov_b32 s2, s10
.LBB13_108:
	s_and_not1_b32 vcc_lo, exec_lo, s11
	s_cbranch_vccnz .LBB13_115
; %bb.109:
	s_cmp_gt_i32 s3, 21
	s_mul_i32 s11, s3, 3
	s_cbranch_scc1 .LBB13_113
; %bb.110:
	s_cmp_lt_i32 s3, 11
	s_mov_b32 s9, s11
	s_mov_b32 s2, s10
	s_cbranch_scc1 .LBB13_112
; %bb.111:
	s_sub_i32 s9, s11, 32
	s_add_i32 s2, s10, 1
.LBB13_112:
	s_cbranch_execz .LBB13_114
	s_branch .LBB13_115
.LBB13_113:
                                        ; implicit-def: $sgpr9
                                        ; implicit-def: $sgpr2
.LBB13_114:
	s_sub_i32 s9, s11, 64
	s_add_i32 s2, s10, 2
.LBB13_115:
	s_waitcnt vmcnt(0)
	v_mad_u64_u32 v[5:6], null, s2, s8, v[0:1]
	v_mov_b32_e32 v6, 0
	s_cmp_lt_i32 s3, 21
	s_mov_b32 s10, 0
	s_delay_alu instid0(VALU_DEP_1) | instskip(NEXT) | instid1(VALU_DEP_1)
	v_lshlrev_b64 v[5:6], 2, v[5:6]
	v_add_co_u32 v5, vcc_lo, s4, v5
	s_delay_alu instid0(VALU_DEP_2)
	v_add_co_ci_u32_e32 v6, vcc_lo, s5, v6, vcc_lo
	global_load_b32 v7, v[5:6], off
	s_cbranch_scc1 .LBB13_118
; %bb.116:
	s_cmp_eq_u32 s3, 21
	s_cbranch_scc0 .LBB13_119
; %bb.117:
	s_add_i32 s11, s2, 1
	s_delay_alu instid0(SALU_CYCLE_1) | instskip(SKIP_2) | instid1(VALU_DEP_1)
	v_mad_u64_u32 v[5:6], null, s11, s8, v[0:1]
	v_mov_b32_e32 v6, 0
	s_mov_b32 s11, 0
	v_lshlrev_b64 v[5:6], 2, v[5:6]
	s_delay_alu instid0(VALU_DEP_1) | instskip(NEXT) | instid1(VALU_DEP_2)
	v_add_co_u32 v5, vcc_lo, s4, v5
	v_add_co_ci_u32_e32 v6, vcc_lo, s5, v6, vcc_lo
	global_load_b32 v5, v[5:6], off
	s_waitcnt vmcnt(0)
	v_alignbit_b32 v5, v5, v7, 31
	s_delay_alu instid0(VALU_DEP_1)
	v_and_b32_e32 v5, 7, v5
	s_branch .LBB13_120
.LBB13_118:
	s_mov_b32 s11, 0
                                        ; implicit-def: $vgpr5_vgpr6
	s_cbranch_execnz .LBB13_121
	s_branch .LBB13_122
.LBB13_119:
	s_mov_b32 s11, -1
                                        ; implicit-def: $vgpr5_vgpr6
.LBB13_120:
	s_branch .LBB13_122
.LBB13_121:
	s_cmp_lg_u32 s3, 10
	s_mov_b32 s10, -1
	s_cselect_b32 s11, -1, 0
                                        ; implicit-def: $vgpr5_vgpr6
.LBB13_122:
	s_delay_alu instid0(SALU_CYCLE_1)
	s_and_not1_b32 vcc_lo, exec_lo, s11
	s_cbranch_vccz .LBB13_128
; %bb.123:
	s_and_not1_b32 vcc_lo, exec_lo, s10
	s_cbranch_vccnz .LBB13_125
.LBB13_124:
	s_add_i32 s2, s2, 1
	s_delay_alu instid0(SALU_CYCLE_1) | instskip(SKIP_1) | instid1(VALU_DEP_1)
	v_mad_u64_u32 v[5:6], null, s2, s8, v[0:1]
	v_mov_b32_e32 v6, 0
	v_lshlrev_b64 v[5:6], 2, v[5:6]
	s_delay_alu instid0(VALU_DEP_1) | instskip(NEXT) | instid1(VALU_DEP_2)
	v_add_co_u32 v5, vcc_lo, s4, v5
	v_add_co_ci_u32_e32 v6, vcc_lo, s5, v6, vcc_lo
	global_load_b32 v5, v[5:6], off
	s_waitcnt vmcnt(0)
	v_alignbit_b32 v5, v5, v7, 30
	s_delay_alu instid0(VALU_DEP_1)
	v_and_b32_e32 v5, 7, v5
.LBB13_125:
	s_load_b32 s2, s[0:1], 0x14
	s_waitcnt lgkmcnt(0)
	s_ashr_i32 s3, s2, 31
	s_delay_alu instid0(SALU_CYCLE_1) | instskip(NEXT) | instid1(SALU_CYCLE_1)
	s_lshr_b32 s3, s3, 27
	s_add_i32 s9, s2, s3
	s_delay_alu instid0(SALU_CYCLE_1)
	s_and_b32 s3, s9, 0xffffffe0
	s_ashr_i32 s10, s9, 5
	s_sub_i32 s3, s2, s3
	s_mul_i32 s10, s10, 3
	s_cmp_lt_i32 s3, 21
	s_cbranch_scc1 .LBB13_129
; %bb.126:
	s_cmp_eq_u32 s3, 21
	s_cbranch_scc0 .LBB13_130
; %bb.127:
	s_add_i32 s2, s10, 1
	s_mov_b32 s11, 0
	s_mov_b32 s9, 12
	s_branch .LBB13_131
.LBB13_128:
	v_mov_b32_e32 v8, 0
	s_waitcnt vmcnt(0)
	s_delay_alu instid0(VALU_DEP_1) | instskip(NEXT) | instid1(VALU_DEP_1)
	v_lshrrev_b64 v[5:6], s9, v[7:8]
	v_and_b32_e32 v5, 7, v5
	s_cbranch_execz .LBB13_124
	s_branch .LBB13_125
.LBB13_129:
	s_mov_b32 s11, 0
                                        ; implicit-def: $sgpr9
                                        ; implicit-def: $sgpr2
	s_cbranch_execnz .LBB13_132
	s_branch .LBB13_133
.LBB13_130:
	s_mov_b32 s11, -1
                                        ; implicit-def: $sgpr9
                                        ; implicit-def: $sgpr2
.LBB13_131:
	s_branch .LBB13_133
.LBB13_132:
	s_cmp_lg_u32 s3, 10
	s_mov_b32 s9, 12
	s_cselect_b32 s11, -1, 0
	s_mov_b32 s2, s10
.LBB13_133:
	s_and_not1_b32 vcc_lo, exec_lo, s11
	s_cbranch_vccnz .LBB13_140
; %bb.134:
	s_cmp_gt_i32 s3, 21
	s_mul_i32 s11, s3, 3
	s_cbranch_scc1 .LBB13_138
; %bb.135:
	s_cmp_lt_i32 s3, 11
	s_mov_b32 s9, s11
	s_mov_b32 s2, s10
	s_cbranch_scc1 .LBB13_137
; %bb.136:
	s_sub_i32 s9, s11, 32
	s_add_i32 s2, s10, 1
.LBB13_137:
	s_cbranch_execz .LBB13_139
	s_branch .LBB13_140
.LBB13_138:
                                        ; implicit-def: $sgpr9
                                        ; implicit-def: $sgpr2
.LBB13_139:
	s_sub_i32 s9, s11, 64
	s_add_i32 s2, s10, 2
.LBB13_140:
	s_waitcnt vmcnt(0)
	v_mad_u64_u32 v[6:7], null, s2, s8, v[0:1]
	v_mov_b32_e32 v7, 0
	s_cmp_lt_i32 s3, 21
	s_mov_b32 s10, 0
	s_delay_alu instid0(VALU_DEP_1) | instskip(NEXT) | instid1(VALU_DEP_1)
	v_lshlrev_b64 v[6:7], 2, v[6:7]
	v_add_co_u32 v6, vcc_lo, s4, v6
	s_delay_alu instid0(VALU_DEP_2)
	v_add_co_ci_u32_e32 v7, vcc_lo, s5, v7, vcc_lo
	global_load_b32 v8, v[6:7], off
	s_cbranch_scc1 .LBB13_143
; %bb.141:
	s_cmp_eq_u32 s3, 21
	s_cbranch_scc0 .LBB13_144
; %bb.142:
	s_add_i32 s11, s2, 1
	s_delay_alu instid0(SALU_CYCLE_1) | instskip(SKIP_2) | instid1(VALU_DEP_1)
	v_mad_u64_u32 v[6:7], null, s11, s8, v[0:1]
	v_mov_b32_e32 v7, 0
	s_mov_b32 s11, 0
	v_lshlrev_b64 v[6:7], 2, v[6:7]
	s_delay_alu instid0(VALU_DEP_1) | instskip(NEXT) | instid1(VALU_DEP_2)
	v_add_co_u32 v6, vcc_lo, s4, v6
	v_add_co_ci_u32_e32 v7, vcc_lo, s5, v7, vcc_lo
	global_load_b32 v6, v[6:7], off
	s_waitcnt vmcnt(0)
	v_alignbit_b32 v6, v6, v8, 31
	s_delay_alu instid0(VALU_DEP_1)
	v_and_b32_e32 v6, 7, v6
	s_branch .LBB13_145
.LBB13_143:
	s_mov_b32 s11, 0
                                        ; implicit-def: $vgpr6_vgpr7
	s_cbranch_execnz .LBB13_146
	s_branch .LBB13_147
.LBB13_144:
	s_mov_b32 s11, -1
                                        ; implicit-def: $vgpr6_vgpr7
.LBB13_145:
	s_branch .LBB13_147
.LBB13_146:
	s_cmp_lg_u32 s3, 10
	s_mov_b32 s10, -1
	s_cselect_b32 s11, -1, 0
                                        ; implicit-def: $vgpr6_vgpr7
.LBB13_147:
	s_delay_alu instid0(SALU_CYCLE_1)
	s_and_not1_b32 vcc_lo, exec_lo, s11
	s_cbranch_vccz .LBB13_153
; %bb.148:
	s_and_not1_b32 vcc_lo, exec_lo, s10
	s_cbranch_vccnz .LBB13_150
.LBB13_149:
	s_add_i32 s2, s2, 1
	s_delay_alu instid0(SALU_CYCLE_1) | instskip(SKIP_1) | instid1(VALU_DEP_1)
	v_mad_u64_u32 v[6:7], null, s2, s8, v[0:1]
	v_mov_b32_e32 v7, 0
	v_lshlrev_b64 v[6:7], 2, v[6:7]
	s_delay_alu instid0(VALU_DEP_1) | instskip(NEXT) | instid1(VALU_DEP_2)
	v_add_co_u32 v6, vcc_lo, s4, v6
	v_add_co_ci_u32_e32 v7, vcc_lo, s5, v7, vcc_lo
	global_load_b32 v6, v[6:7], off
	s_waitcnt vmcnt(0)
	v_alignbit_b32 v6, v6, v8, 30
	s_delay_alu instid0(VALU_DEP_1)
	v_and_b32_e32 v6, 7, v6
.LBB13_150:
	s_load_b32 s2, s[0:1], 0x18
	s_waitcnt lgkmcnt(0)
	s_ashr_i32 s3, s2, 31
	s_delay_alu instid0(SALU_CYCLE_1) | instskip(NEXT) | instid1(SALU_CYCLE_1)
	s_lshr_b32 s3, s3, 27
	s_add_i32 s9, s2, s3
	s_delay_alu instid0(SALU_CYCLE_1)
	s_and_b32 s3, s9, 0xffffffe0
	s_ashr_i32 s10, s9, 5
	s_sub_i32 s3, s2, s3
	s_mul_i32 s10, s10, 3
	s_cmp_lt_i32 s3, 21
	s_cbranch_scc1 .LBB13_154
; %bb.151:
	s_cmp_eq_u32 s3, 21
	s_cbranch_scc0 .LBB13_155
; %bb.152:
	s_add_i32 s2, s10, 1
	s_mov_b32 s11, 0
	s_mov_b32 s9, 15
	s_branch .LBB13_156
.LBB13_153:
	v_mov_b32_e32 v9, 0
	s_waitcnt vmcnt(0)
	s_delay_alu instid0(VALU_DEP_1) | instskip(NEXT) | instid1(VALU_DEP_1)
	v_lshrrev_b64 v[6:7], s9, v[8:9]
	v_and_b32_e32 v6, 7, v6
	s_cbranch_execz .LBB13_149
	s_branch .LBB13_150
.LBB13_154:
	s_mov_b32 s11, 0
                                        ; implicit-def: $sgpr9
                                        ; implicit-def: $sgpr2
	s_cbranch_execnz .LBB13_157
	s_branch .LBB13_158
.LBB13_155:
	s_mov_b32 s11, -1
                                        ; implicit-def: $sgpr9
                                        ; implicit-def: $sgpr2
.LBB13_156:
	s_branch .LBB13_158
.LBB13_157:
	s_cmp_lg_u32 s3, 10
	s_mov_b32 s9, 15
	s_cselect_b32 s11, -1, 0
	s_mov_b32 s2, s10
.LBB13_158:
	s_and_not1_b32 vcc_lo, exec_lo, s11
	s_cbranch_vccnz .LBB13_165
; %bb.159:
	s_cmp_gt_i32 s3, 21
	s_mul_i32 s11, s3, 3
	s_cbranch_scc1 .LBB13_163
; %bb.160:
	s_cmp_lt_i32 s3, 11
	s_mov_b32 s9, s11
	s_mov_b32 s2, s10
	s_cbranch_scc1 .LBB13_162
; %bb.161:
	s_sub_i32 s9, s11, 32
	s_add_i32 s2, s10, 1
.LBB13_162:
	s_cbranch_execz .LBB13_164
	s_branch .LBB13_165
.LBB13_163:
                                        ; implicit-def: $sgpr9
                                        ; implicit-def: $sgpr2
.LBB13_164:
	s_sub_i32 s9, s11, 64
	s_add_i32 s2, s10, 2
.LBB13_165:
	s_waitcnt vmcnt(0)
	v_mad_u64_u32 v[7:8], null, s2, s8, v[0:1]
	v_mov_b32_e32 v8, 0
	s_cmp_lt_i32 s3, 21
	s_mov_b32 s10, 0
	s_delay_alu instid0(VALU_DEP_1) | instskip(NEXT) | instid1(VALU_DEP_1)
	v_lshlrev_b64 v[7:8], 2, v[7:8]
	v_add_co_u32 v7, vcc_lo, s4, v7
	s_delay_alu instid0(VALU_DEP_2)
	v_add_co_ci_u32_e32 v8, vcc_lo, s5, v8, vcc_lo
	global_load_b32 v9, v[7:8], off
	s_cbranch_scc1 .LBB13_168
; %bb.166:
	s_cmp_eq_u32 s3, 21
	s_cbranch_scc0 .LBB13_169
; %bb.167:
	s_add_i32 s11, s2, 1
	s_delay_alu instid0(SALU_CYCLE_1) | instskip(SKIP_2) | instid1(VALU_DEP_1)
	v_mad_u64_u32 v[7:8], null, s11, s8, v[0:1]
	v_mov_b32_e32 v8, 0
	s_mov_b32 s11, 0
	v_lshlrev_b64 v[7:8], 2, v[7:8]
	s_delay_alu instid0(VALU_DEP_1) | instskip(NEXT) | instid1(VALU_DEP_2)
	v_add_co_u32 v7, vcc_lo, s4, v7
	v_add_co_ci_u32_e32 v8, vcc_lo, s5, v8, vcc_lo
	global_load_b32 v7, v[7:8], off
	s_waitcnt vmcnt(0)
	v_alignbit_b32 v7, v7, v9, 31
	s_delay_alu instid0(VALU_DEP_1)
	v_and_b32_e32 v7, 7, v7
	s_branch .LBB13_170
.LBB13_168:
	s_mov_b32 s11, 0
                                        ; implicit-def: $vgpr7_vgpr8
	s_cbranch_execnz .LBB13_171
	s_branch .LBB13_172
.LBB13_169:
	s_mov_b32 s11, -1
                                        ; implicit-def: $vgpr7_vgpr8
.LBB13_170:
	s_branch .LBB13_172
.LBB13_171:
	s_cmp_lg_u32 s3, 10
	s_mov_b32 s10, -1
	s_cselect_b32 s11, -1, 0
                                        ; implicit-def: $vgpr7_vgpr8
.LBB13_172:
	s_delay_alu instid0(SALU_CYCLE_1)
	s_and_not1_b32 vcc_lo, exec_lo, s11
	s_cbranch_vccz .LBB13_178
; %bb.173:
	s_and_not1_b32 vcc_lo, exec_lo, s10
	s_cbranch_vccnz .LBB13_175
.LBB13_174:
	s_add_i32 s2, s2, 1
	s_delay_alu instid0(SALU_CYCLE_1) | instskip(SKIP_1) | instid1(VALU_DEP_1)
	v_mad_u64_u32 v[7:8], null, s2, s8, v[0:1]
	v_mov_b32_e32 v8, 0
	v_lshlrev_b64 v[7:8], 2, v[7:8]
	s_delay_alu instid0(VALU_DEP_1) | instskip(NEXT) | instid1(VALU_DEP_2)
	v_add_co_u32 v7, vcc_lo, s4, v7
	v_add_co_ci_u32_e32 v8, vcc_lo, s5, v8, vcc_lo
	global_load_b32 v7, v[7:8], off
	s_waitcnt vmcnt(0)
	v_alignbit_b32 v7, v7, v9, 30
	s_delay_alu instid0(VALU_DEP_1)
	v_and_b32_e32 v7, 7, v7
.LBB13_175:
	s_load_b32 s2, s[0:1], 0x1c
	s_waitcnt lgkmcnt(0)
	s_ashr_i32 s3, s2, 31
	s_delay_alu instid0(SALU_CYCLE_1) | instskip(NEXT) | instid1(SALU_CYCLE_1)
	s_lshr_b32 s3, s3, 27
	s_add_i32 s9, s2, s3
	s_delay_alu instid0(SALU_CYCLE_1)
	s_and_b32 s3, s9, 0xffffffe0
	s_ashr_i32 s10, s9, 5
	s_sub_i32 s3, s2, s3
	s_mul_i32 s10, s10, 3
	s_cmp_lt_i32 s3, 21
	s_cbranch_scc1 .LBB13_179
; %bb.176:
	s_cmp_eq_u32 s3, 21
	s_cbranch_scc0 .LBB13_180
; %bb.177:
	s_add_i32 s2, s10, 1
	s_mov_b32 s11, 0
	s_mov_b32 s9, 18
	s_branch .LBB13_181
.LBB13_178:
	v_mov_b32_e32 v10, 0
	s_waitcnt vmcnt(0)
	s_delay_alu instid0(VALU_DEP_1) | instskip(NEXT) | instid1(VALU_DEP_1)
	v_lshrrev_b64 v[7:8], s9, v[9:10]
	v_and_b32_e32 v7, 7, v7
	s_cbranch_execz .LBB13_174
	s_branch .LBB13_175
.LBB13_179:
	s_mov_b32 s11, 0
                                        ; implicit-def: $sgpr9
                                        ; implicit-def: $sgpr2
	s_cbranch_execnz .LBB13_182
	s_branch .LBB13_183
.LBB13_180:
	s_mov_b32 s11, -1
                                        ; implicit-def: $sgpr9
                                        ; implicit-def: $sgpr2
.LBB13_181:
	s_branch .LBB13_183
.LBB13_182:
	s_cmp_lg_u32 s3, 10
	s_mov_b32 s9, 18
	s_cselect_b32 s11, -1, 0
	s_mov_b32 s2, s10
.LBB13_183:
	s_and_not1_b32 vcc_lo, exec_lo, s11
	s_cbranch_vccnz .LBB13_190
; %bb.184:
	s_cmp_gt_i32 s3, 21
	s_mul_i32 s11, s3, 3
	s_cbranch_scc1 .LBB13_188
; %bb.185:
	s_cmp_lt_i32 s3, 11
	s_mov_b32 s9, s11
	s_mov_b32 s2, s10
	s_cbranch_scc1 .LBB13_187
; %bb.186:
	s_sub_i32 s9, s11, 32
	s_add_i32 s2, s10, 1
.LBB13_187:
	s_cbranch_execz .LBB13_189
	s_branch .LBB13_190
.LBB13_188:
                                        ; implicit-def: $sgpr9
                                        ; implicit-def: $sgpr2
.LBB13_189:
	s_sub_i32 s9, s11, 64
	s_add_i32 s2, s10, 2
.LBB13_190:
	s_waitcnt vmcnt(0)
	v_mad_u64_u32 v[8:9], null, s2, s8, v[0:1]
	v_mov_b32_e32 v9, 0
	s_cmp_lt_i32 s3, 21
	s_mov_b32 s10, 0
	s_delay_alu instid0(VALU_DEP_1) | instskip(NEXT) | instid1(VALU_DEP_1)
	v_lshlrev_b64 v[8:9], 2, v[8:9]
	v_add_co_u32 v8, vcc_lo, s4, v8
	s_delay_alu instid0(VALU_DEP_2)
	v_add_co_ci_u32_e32 v9, vcc_lo, s5, v9, vcc_lo
	global_load_b32 v10, v[8:9], off
	s_cbranch_scc1 .LBB13_193
; %bb.191:
	s_cmp_eq_u32 s3, 21
	s_cbranch_scc0 .LBB13_194
; %bb.192:
	s_add_i32 s11, s2, 1
	s_delay_alu instid0(SALU_CYCLE_1) | instskip(SKIP_2) | instid1(VALU_DEP_1)
	v_mad_u64_u32 v[8:9], null, s11, s8, v[0:1]
	v_mov_b32_e32 v9, 0
	s_mov_b32 s11, 0
	v_lshlrev_b64 v[8:9], 2, v[8:9]
	s_delay_alu instid0(VALU_DEP_1) | instskip(NEXT) | instid1(VALU_DEP_2)
	v_add_co_u32 v8, vcc_lo, s4, v8
	v_add_co_ci_u32_e32 v9, vcc_lo, s5, v9, vcc_lo
	global_load_b32 v8, v[8:9], off
	s_waitcnt vmcnt(0)
	v_alignbit_b32 v8, v8, v10, 31
	s_delay_alu instid0(VALU_DEP_1)
	v_and_b32_e32 v8, 7, v8
	s_branch .LBB13_195
.LBB13_193:
	s_mov_b32 s11, 0
                                        ; implicit-def: $vgpr8_vgpr9
	s_cbranch_execnz .LBB13_196
	s_branch .LBB13_197
.LBB13_194:
	s_mov_b32 s11, -1
                                        ; implicit-def: $vgpr8_vgpr9
.LBB13_195:
	s_branch .LBB13_197
.LBB13_196:
	s_cmp_lg_u32 s3, 10
	s_mov_b32 s10, -1
	s_cselect_b32 s11, -1, 0
                                        ; implicit-def: $vgpr8_vgpr9
.LBB13_197:
	s_delay_alu instid0(SALU_CYCLE_1)
	s_and_not1_b32 vcc_lo, exec_lo, s11
	s_cbranch_vccz .LBB13_203
; %bb.198:
	s_and_not1_b32 vcc_lo, exec_lo, s10
	s_cbranch_vccnz .LBB13_200
.LBB13_199:
	s_add_i32 s2, s2, 1
	s_delay_alu instid0(SALU_CYCLE_1) | instskip(SKIP_1) | instid1(VALU_DEP_1)
	v_mad_u64_u32 v[8:9], null, s2, s8, v[0:1]
	v_mov_b32_e32 v9, 0
	v_lshlrev_b64 v[8:9], 2, v[8:9]
	s_delay_alu instid0(VALU_DEP_1) | instskip(NEXT) | instid1(VALU_DEP_2)
	v_add_co_u32 v8, vcc_lo, s4, v8
	v_add_co_ci_u32_e32 v9, vcc_lo, s5, v9, vcc_lo
	global_load_b32 v8, v[8:9], off
	s_waitcnt vmcnt(0)
	v_alignbit_b32 v8, v8, v10, 30
	s_delay_alu instid0(VALU_DEP_1)
	v_and_b32_e32 v8, 7, v8
.LBB13_200:
	s_load_b32 s2, s[0:1], 0x20
	s_waitcnt lgkmcnt(0)
	s_ashr_i32 s3, s2, 31
	s_delay_alu instid0(SALU_CYCLE_1) | instskip(NEXT) | instid1(SALU_CYCLE_1)
	s_lshr_b32 s3, s3, 27
	s_add_i32 s9, s2, s3
	s_delay_alu instid0(SALU_CYCLE_1)
	s_and_b32 s3, s9, 0xffffffe0
	s_ashr_i32 s10, s9, 5
	s_sub_i32 s3, s2, s3
	s_mul_i32 s10, s10, 3
	s_cmp_lt_i32 s3, 21
	s_cbranch_scc1 .LBB13_204
; %bb.201:
	s_cmp_eq_u32 s3, 21
	s_cbranch_scc0 .LBB13_205
; %bb.202:
	s_add_i32 s2, s10, 1
	s_mov_b32 s11, 0
	s_mov_b32 s9, 21
	s_branch .LBB13_206
.LBB13_203:
	v_mov_b32_e32 v11, 0
	s_waitcnt vmcnt(0)
	s_delay_alu instid0(VALU_DEP_1) | instskip(NEXT) | instid1(VALU_DEP_1)
	v_lshrrev_b64 v[8:9], s9, v[10:11]
	v_and_b32_e32 v8, 7, v8
	s_cbranch_execz .LBB13_199
	s_branch .LBB13_200
.LBB13_204:
	s_mov_b32 s11, 0
                                        ; implicit-def: $sgpr9
                                        ; implicit-def: $sgpr2
	s_cbranch_execnz .LBB13_207
	s_branch .LBB13_208
.LBB13_205:
	s_mov_b32 s11, -1
                                        ; implicit-def: $sgpr9
                                        ; implicit-def: $sgpr2
.LBB13_206:
	s_branch .LBB13_208
.LBB13_207:
	s_cmp_lg_u32 s3, 10
	s_mov_b32 s9, 21
	s_cselect_b32 s11, -1, 0
	s_mov_b32 s2, s10
.LBB13_208:
	s_and_not1_b32 vcc_lo, exec_lo, s11
	s_cbranch_vccnz .LBB13_215
; %bb.209:
	s_cmp_gt_i32 s3, 21
	s_mul_i32 s11, s3, 3
	s_cbranch_scc1 .LBB13_213
; %bb.210:
	s_cmp_lt_i32 s3, 11
	s_mov_b32 s9, s11
	s_mov_b32 s2, s10
	s_cbranch_scc1 .LBB13_212
; %bb.211:
	s_sub_i32 s9, s11, 32
	s_add_i32 s2, s10, 1
.LBB13_212:
	s_cbranch_execz .LBB13_214
	s_branch .LBB13_215
.LBB13_213:
                                        ; implicit-def: $sgpr9
                                        ; implicit-def: $sgpr2
.LBB13_214:
	s_sub_i32 s9, s11, 64
	s_add_i32 s2, s10, 2
.LBB13_215:
	s_waitcnt vmcnt(0)
	v_mad_u64_u32 v[9:10], null, s2, s8, v[0:1]
	v_mov_b32_e32 v10, 0
	s_cmp_lt_i32 s3, 21
	s_mov_b32 s10, 0
	s_delay_alu instid0(VALU_DEP_1) | instskip(NEXT) | instid1(VALU_DEP_1)
	v_lshlrev_b64 v[9:10], 2, v[9:10]
	v_add_co_u32 v9, vcc_lo, s4, v9
	s_delay_alu instid0(VALU_DEP_2)
	v_add_co_ci_u32_e32 v10, vcc_lo, s5, v10, vcc_lo
	global_load_b32 v11, v[9:10], off
	s_cbranch_scc1 .LBB13_218
; %bb.216:
	s_cmp_eq_u32 s3, 21
	s_cbranch_scc0 .LBB13_219
; %bb.217:
	s_add_i32 s11, s2, 1
	s_delay_alu instid0(SALU_CYCLE_1) | instskip(SKIP_2) | instid1(VALU_DEP_1)
	v_mad_u64_u32 v[9:10], null, s11, s8, v[0:1]
	v_mov_b32_e32 v10, 0
	s_mov_b32 s11, 0
	v_lshlrev_b64 v[9:10], 2, v[9:10]
	s_delay_alu instid0(VALU_DEP_1) | instskip(NEXT) | instid1(VALU_DEP_2)
	v_add_co_u32 v9, vcc_lo, s4, v9
	v_add_co_ci_u32_e32 v10, vcc_lo, s5, v10, vcc_lo
	global_load_b32 v9, v[9:10], off
	s_waitcnt vmcnt(0)
	v_alignbit_b32 v9, v9, v11, 31
	s_delay_alu instid0(VALU_DEP_1)
	v_and_b32_e32 v9, 7, v9
	s_branch .LBB13_220
.LBB13_218:
	s_mov_b32 s11, 0
                                        ; implicit-def: $vgpr9_vgpr10
	s_cbranch_execnz .LBB13_221
	s_branch .LBB13_222
.LBB13_219:
	s_mov_b32 s11, -1
                                        ; implicit-def: $vgpr9_vgpr10
.LBB13_220:
	s_branch .LBB13_222
.LBB13_221:
	s_cmp_lg_u32 s3, 10
	s_mov_b32 s10, -1
	s_cselect_b32 s11, -1, 0
                                        ; implicit-def: $vgpr9_vgpr10
.LBB13_222:
	s_delay_alu instid0(SALU_CYCLE_1)
	s_and_not1_b32 vcc_lo, exec_lo, s11
	s_cbranch_vccz .LBB13_228
; %bb.223:
	s_and_not1_b32 vcc_lo, exec_lo, s10
	s_cbranch_vccnz .LBB13_225
.LBB13_224:
	s_add_i32 s2, s2, 1
	s_delay_alu instid0(SALU_CYCLE_1) | instskip(SKIP_1) | instid1(VALU_DEP_1)
	v_mad_u64_u32 v[9:10], null, s2, s8, v[0:1]
	v_mov_b32_e32 v10, 0
	v_lshlrev_b64 v[9:10], 2, v[9:10]
	s_delay_alu instid0(VALU_DEP_1) | instskip(NEXT) | instid1(VALU_DEP_2)
	v_add_co_u32 v9, vcc_lo, s4, v9
	v_add_co_ci_u32_e32 v10, vcc_lo, s5, v10, vcc_lo
	global_load_b32 v9, v[9:10], off
	s_waitcnt vmcnt(0)
	v_alignbit_b32 v9, v9, v11, 30
	s_delay_alu instid0(VALU_DEP_1)
	v_and_b32_e32 v9, 7, v9
.LBB13_225:
	s_load_b32 s2, s[0:1], 0x24
	s_waitcnt lgkmcnt(0)
	s_ashr_i32 s3, s2, 31
	s_delay_alu instid0(SALU_CYCLE_1) | instskip(NEXT) | instid1(SALU_CYCLE_1)
	s_lshr_b32 s3, s3, 27
	s_add_i32 s9, s2, s3
	s_delay_alu instid0(SALU_CYCLE_1)
	s_and_b32 s3, s9, 0xffffffe0
	s_ashr_i32 s10, s9, 5
	s_sub_i32 s3, s2, s3
	s_mul_i32 s10, s10, 3
	s_cmp_lt_i32 s3, 21
	s_cbranch_scc1 .LBB13_229
; %bb.226:
	s_cmp_eq_u32 s3, 21
	s_cbranch_scc0 .LBB13_230
; %bb.227:
	s_add_i32 s2, s10, 1
	s_mov_b32 s11, 0
	s_mov_b32 s9, 24
	s_branch .LBB13_231
.LBB13_228:
	v_mov_b32_e32 v12, 0
	s_waitcnt vmcnt(0)
	s_delay_alu instid0(VALU_DEP_1) | instskip(NEXT) | instid1(VALU_DEP_1)
	v_lshrrev_b64 v[9:10], s9, v[11:12]
	v_and_b32_e32 v9, 7, v9
	s_cbranch_execz .LBB13_224
	s_branch .LBB13_225
.LBB13_229:
	s_mov_b32 s11, 0
                                        ; implicit-def: $sgpr9
                                        ; implicit-def: $sgpr2
	s_cbranch_execnz .LBB13_232
	s_branch .LBB13_233
.LBB13_230:
	s_mov_b32 s11, -1
                                        ; implicit-def: $sgpr9
                                        ; implicit-def: $sgpr2
.LBB13_231:
	s_branch .LBB13_233
.LBB13_232:
	s_cmp_lg_u32 s3, 10
	s_mov_b32 s9, 24
	s_cselect_b32 s11, -1, 0
	s_mov_b32 s2, s10
.LBB13_233:
	s_and_not1_b32 vcc_lo, exec_lo, s11
	s_cbranch_vccnz .LBB13_240
; %bb.234:
	s_cmp_gt_i32 s3, 21
	s_mul_i32 s11, s3, 3
	s_cbranch_scc1 .LBB13_238
; %bb.235:
	s_cmp_lt_i32 s3, 11
	s_mov_b32 s9, s11
	s_mov_b32 s2, s10
	s_cbranch_scc1 .LBB13_237
; %bb.236:
	s_sub_i32 s9, s11, 32
	s_add_i32 s2, s10, 1
.LBB13_237:
	s_cbranch_execz .LBB13_239
	s_branch .LBB13_240
.LBB13_238:
                                        ; implicit-def: $sgpr9
                                        ; implicit-def: $sgpr2
.LBB13_239:
	s_sub_i32 s9, s11, 64
	s_add_i32 s2, s10, 2
.LBB13_240:
	s_waitcnt vmcnt(0)
	v_mad_u64_u32 v[10:11], null, s2, s8, v[0:1]
	v_mov_b32_e32 v11, 0
	s_cmp_lt_i32 s3, 21
	s_mov_b32 s10, 0
	s_delay_alu instid0(VALU_DEP_1) | instskip(NEXT) | instid1(VALU_DEP_1)
	v_lshlrev_b64 v[10:11], 2, v[10:11]
	v_add_co_u32 v10, vcc_lo, s4, v10
	s_delay_alu instid0(VALU_DEP_2)
	v_add_co_ci_u32_e32 v11, vcc_lo, s5, v11, vcc_lo
	global_load_b32 v12, v[10:11], off
	s_cbranch_scc1 .LBB13_243
; %bb.241:
	s_cmp_eq_u32 s3, 21
	s_cbranch_scc0 .LBB13_244
; %bb.242:
	s_add_i32 s11, s2, 1
	s_delay_alu instid0(SALU_CYCLE_1) | instskip(SKIP_2) | instid1(VALU_DEP_1)
	v_mad_u64_u32 v[10:11], null, s11, s8, v[0:1]
	v_mov_b32_e32 v11, 0
	s_mov_b32 s11, 0
	v_lshlrev_b64 v[10:11], 2, v[10:11]
	s_delay_alu instid0(VALU_DEP_1) | instskip(NEXT) | instid1(VALU_DEP_2)
	v_add_co_u32 v10, vcc_lo, s4, v10
	v_add_co_ci_u32_e32 v11, vcc_lo, s5, v11, vcc_lo
	global_load_b32 v10, v[10:11], off
	s_waitcnt vmcnt(0)
	v_alignbit_b32 v10, v10, v12, 31
	s_delay_alu instid0(VALU_DEP_1)
	v_and_b32_e32 v10, 7, v10
	s_branch .LBB13_245
.LBB13_243:
	s_mov_b32 s11, 0
                                        ; implicit-def: $vgpr10_vgpr11
	s_cbranch_execnz .LBB13_246
	s_branch .LBB13_247
.LBB13_244:
	s_mov_b32 s11, -1
                                        ; implicit-def: $vgpr10_vgpr11
.LBB13_245:
	s_branch .LBB13_247
.LBB13_246:
	s_cmp_lg_u32 s3, 10
	s_mov_b32 s10, -1
	s_cselect_b32 s11, -1, 0
                                        ; implicit-def: $vgpr10_vgpr11
.LBB13_247:
	s_delay_alu instid0(SALU_CYCLE_1)
	s_and_not1_b32 vcc_lo, exec_lo, s11
	s_cbranch_vccz .LBB13_253
; %bb.248:
	s_and_not1_b32 vcc_lo, exec_lo, s10
	s_cbranch_vccnz .LBB13_250
.LBB13_249:
	s_add_i32 s2, s2, 1
	s_delay_alu instid0(SALU_CYCLE_1) | instskip(SKIP_1) | instid1(VALU_DEP_1)
	v_mad_u64_u32 v[10:11], null, s2, s8, v[0:1]
	v_mov_b32_e32 v11, 0
	v_lshlrev_b64 v[10:11], 2, v[10:11]
	s_delay_alu instid0(VALU_DEP_1) | instskip(NEXT) | instid1(VALU_DEP_2)
	v_add_co_u32 v10, vcc_lo, s4, v10
	v_add_co_ci_u32_e32 v11, vcc_lo, s5, v11, vcc_lo
	global_load_b32 v10, v[10:11], off
	s_waitcnt vmcnt(0)
	v_alignbit_b32 v10, v10, v12, 30
	s_delay_alu instid0(VALU_DEP_1)
	v_and_b32_e32 v10, 7, v10
.LBB13_250:
	s_load_b32 s2, s[0:1], 0x28
	s_waitcnt lgkmcnt(0)
	s_ashr_i32 s3, s2, 31
	s_delay_alu instid0(SALU_CYCLE_1) | instskip(NEXT) | instid1(SALU_CYCLE_1)
	s_lshr_b32 s3, s3, 27
	s_add_i32 s3, s2, s3
	s_delay_alu instid0(SALU_CYCLE_1)
	s_and_b32 s9, s3, 0xffffffe0
	s_ashr_i32 s10, s3, 5
	s_sub_i32 s9, s2, s9
	s_mul_i32 s10, s10, 3
	s_cmp_lt_i32 s9, 21
	s_cbranch_scc1 .LBB13_254
; %bb.251:
	s_cmp_eq_u32 s9, 21
	s_cbranch_scc0 .LBB13_255
; %bb.252:
	s_add_i32 s3, s10, 1
	s_mov_b32 s11, 0
	s_mov_b32 s2, 27
	s_branch .LBB13_256
.LBB13_253:
	v_mov_b32_e32 v13, 0
	s_waitcnt vmcnt(0)
	s_delay_alu instid0(VALU_DEP_1) | instskip(NEXT) | instid1(VALU_DEP_1)
	v_lshrrev_b64 v[10:11], s9, v[12:13]
	v_and_b32_e32 v10, 7, v10
	s_cbranch_execz .LBB13_249
	s_branch .LBB13_250
.LBB13_254:
	s_mov_b32 s11, 0
                                        ; implicit-def: $sgpr2
                                        ; implicit-def: $sgpr3
	s_cbranch_execnz .LBB13_257
	s_branch .LBB13_258
.LBB13_255:
	s_mov_b32 s11, -1
                                        ; implicit-def: $sgpr2
                                        ; implicit-def: $sgpr3
.LBB13_256:
	s_branch .LBB13_258
.LBB13_257:
	s_cmp_lg_u32 s9, 10
	s_mov_b32 s2, 27
	s_cselect_b32 s11, -1, 0
	s_mov_b32 s3, s10
.LBB13_258:
	s_and_not1_b32 vcc_lo, exec_lo, s11
	s_cbranch_vccnz .LBB13_265
; %bb.259:
	s_cmp_gt_i32 s9, 21
	s_mul_i32 s11, s9, 3
	s_cbranch_scc1 .LBB13_263
; %bb.260:
	s_cmp_lt_i32 s9, 11
	s_mov_b32 s2, s11
	s_mov_b32 s3, s10
	s_cbranch_scc1 .LBB13_262
; %bb.261:
	s_sub_i32 s2, s11, 32
	s_add_i32 s3, s10, 1
.LBB13_262:
	s_cbranch_execz .LBB13_264
	s_branch .LBB13_265
.LBB13_263:
                                        ; implicit-def: $sgpr2
                                        ; implicit-def: $sgpr3
.LBB13_264:
	s_sub_i32 s2, s11, 64
	s_add_i32 s3, s10, 2
.LBB13_265:
	s_waitcnt vmcnt(0)
	v_mad_u64_u32 v[11:12], null, s3, s8, v[0:1]
	v_mov_b32_e32 v12, 0
	s_cmp_lt_i32 s9, 21
	s_mov_b32 s10, 0
	s_delay_alu instid0(VALU_DEP_1) | instskip(NEXT) | instid1(VALU_DEP_1)
	v_lshlrev_b64 v[11:12], 2, v[11:12]
	v_add_co_u32 v11, vcc_lo, s4, v11
	s_delay_alu instid0(VALU_DEP_2)
	v_add_co_ci_u32_e32 v12, vcc_lo, s5, v12, vcc_lo
	global_load_b32 v13, v[11:12], off
	s_cbranch_scc1 .LBB13_268
; %bb.266:
	s_cmp_eq_u32 s9, 21
	s_cbranch_scc0 .LBB13_269
; %bb.267:
	s_add_i32 s11, s3, 1
	s_delay_alu instid0(SALU_CYCLE_1) | instskip(SKIP_2) | instid1(VALU_DEP_1)
	v_mad_u64_u32 v[11:12], null, s11, s8, v[0:1]
	v_mov_b32_e32 v12, 0
	s_mov_b32 s11, 0
	v_lshlrev_b64 v[11:12], 2, v[11:12]
	s_delay_alu instid0(VALU_DEP_1) | instskip(NEXT) | instid1(VALU_DEP_2)
	v_add_co_u32 v11, vcc_lo, s4, v11
	v_add_co_ci_u32_e32 v12, vcc_lo, s5, v12, vcc_lo
	global_load_b32 v11, v[11:12], off
	s_waitcnt vmcnt(0)
	v_alignbit_b32 v11, v11, v13, 31
	s_delay_alu instid0(VALU_DEP_1)
	v_and_b32_e32 v11, 7, v11
	s_branch .LBB13_270
.LBB13_268:
	s_mov_b32 s11, 0
                                        ; implicit-def: $vgpr11_vgpr12
	s_cbranch_execnz .LBB13_271
	s_branch .LBB13_272
.LBB13_269:
	s_mov_b32 s11, -1
                                        ; implicit-def: $vgpr11_vgpr12
.LBB13_270:
	s_branch .LBB13_272
.LBB13_271:
	s_cmp_lg_u32 s9, 10
	s_mov_b32 s10, -1
	s_cselect_b32 s11, -1, 0
                                        ; implicit-def: $vgpr11_vgpr12
.LBB13_272:
	s_delay_alu instid0(SALU_CYCLE_1)
	s_and_not1_b32 vcc_lo, exec_lo, s11
	s_cbranch_vccz .LBB13_278
; %bb.273:
	s_and_not1_b32 vcc_lo, exec_lo, s10
	s_cbranch_vccnz .LBB13_275
.LBB13_274:
	s_add_i32 s3, s3, 1
	s_delay_alu instid0(SALU_CYCLE_1) | instskip(SKIP_1) | instid1(VALU_DEP_1)
	v_mad_u64_u32 v[11:12], null, s3, s8, v[0:1]
	v_mov_b32_e32 v12, 0
	v_lshlrev_b64 v[11:12], 2, v[11:12]
	s_delay_alu instid0(VALU_DEP_1) | instskip(NEXT) | instid1(VALU_DEP_2)
	v_add_co_u32 v11, vcc_lo, s4, v11
	v_add_co_ci_u32_e32 v12, vcc_lo, s5, v12, vcc_lo
	global_load_b32 v11, v[11:12], off
	s_waitcnt vmcnt(0)
	v_alignbit_b32 v11, v11, v13, 30
	s_delay_alu instid0(VALU_DEP_1)
	v_and_b32_e32 v11, 7, v11
.LBB13_275:
	s_load_b32 s3, s[0:1], 0x2c
	s_waitcnt lgkmcnt(0)
	s_ashr_i32 s9, s3, 31
	s_delay_alu instid0(SALU_CYCLE_1) | instskip(NEXT) | instid1(SALU_CYCLE_1)
	s_lshr_b32 s9, s9, 27
	s_add_i32 s10, s3, s9
	s_delay_alu instid0(SALU_CYCLE_1)
	s_and_b32 s9, s10, 0xffffffe0
	s_ashr_i32 s10, s10, 5
	s_sub_i32 s9, s3, s9
	s_mul_i32 s10, s10, 3
	s_cmp_lt_i32 s9, 21
	s_cbranch_scc1 .LBB13_279
; %bb.276:
	s_cmp_eq_u32 s9, 21
	s_cbranch_scc0 .LBB13_280
; %bb.277:
	s_add_i32 s3, s10, 1
	s_mov_b32 s11, 0
	s_branch .LBB13_281
.LBB13_278:
	v_mov_b32_e32 v14, 0
	s_waitcnt vmcnt(0)
	s_delay_alu instid0(VALU_DEP_1) | instskip(NEXT) | instid1(VALU_DEP_1)
	v_lshrrev_b64 v[11:12], s2, v[13:14]
	v_and_b32_e32 v11, 7, v11
	s_cbranch_execz .LBB13_274
	s_branch .LBB13_275
.LBB13_279:
	s_mov_b32 s11, 0
                                        ; implicit-def: $sgpr3
	s_cbranch_execnz .LBB13_282
	s_branch .LBB13_283
.LBB13_280:
	s_mov_b32 s11, -1
                                        ; implicit-def: $sgpr3
.LBB13_281:
	s_branch .LBB13_283
.LBB13_282:
	s_cmp_lg_u32 s9, 10
	s_mov_b32 s3, s10
	s_cselect_b32 s11, -1, 0
.LBB13_283:
	s_delay_alu instid0(SALU_CYCLE_1)
	s_and_not1_b32 vcc_lo, exec_lo, s11
	s_cbranch_vccnz .LBB13_290
; %bb.284:
	s_cmp_gt_i32 s9, 21
	s_mul_i32 s11, s9, 3
	s_cbranch_scc1 .LBB13_288
; %bb.285:
	s_cmp_lt_i32 s9, 11
	s_mov_b32 s2, s11
	s_mov_b32 s3, s10
	s_cbranch_scc1 .LBB13_287
; %bb.286:
	s_sub_i32 s2, s11, 32
	s_add_i32 s3, s10, 1
.LBB13_287:
	s_cbranch_execz .LBB13_289
	s_branch .LBB13_290
.LBB13_288:
                                        ; implicit-def: $sgpr2
                                        ; implicit-def: $sgpr3
.LBB13_289:
	s_sub_i32 s2, s11, 64
	s_add_i32 s3, s10, 2
.LBB13_290:
	s_waitcnt vmcnt(0)
	v_mad_u64_u32 v[12:13], null, s3, s8, v[0:1]
	v_mov_b32_e32 v13, 0
	s_cmp_lt_i32 s9, 21
	s_mov_b32 s10, 0
	s_delay_alu instid0(VALU_DEP_1) | instskip(NEXT) | instid1(VALU_DEP_1)
	v_lshlrev_b64 v[12:13], 2, v[12:13]
	v_add_co_u32 v12, vcc_lo, s4, v12
	s_delay_alu instid0(VALU_DEP_2)
	v_add_co_ci_u32_e32 v13, vcc_lo, s5, v13, vcc_lo
	global_load_b32 v14, v[12:13], off
	s_cbranch_scc1 .LBB13_293
; %bb.291:
	s_cmp_eq_u32 s9, 21
	s_cbranch_scc0 .LBB13_294
; %bb.292:
	s_add_i32 s11, s3, 1
	s_delay_alu instid0(SALU_CYCLE_1) | instskip(SKIP_2) | instid1(VALU_DEP_1)
	v_mad_u64_u32 v[12:13], null, s11, s8, v[0:1]
	v_mov_b32_e32 v13, 0
	s_mov_b32 s11, 0
	v_lshlrev_b64 v[12:13], 2, v[12:13]
	s_delay_alu instid0(VALU_DEP_1) | instskip(NEXT) | instid1(VALU_DEP_2)
	v_add_co_u32 v12, vcc_lo, s4, v12
	v_add_co_ci_u32_e32 v13, vcc_lo, s5, v13, vcc_lo
	global_load_b32 v12, v[12:13], off
	s_waitcnt vmcnt(0)
	v_alignbit_b32 v12, v12, v14, 31
	s_delay_alu instid0(VALU_DEP_1)
	v_and_b32_e32 v12, 7, v12
	s_branch .LBB13_295
.LBB13_293:
	s_mov_b32 s11, 0
                                        ; implicit-def: $vgpr12_vgpr13
	s_cbranch_execnz .LBB13_296
	s_branch .LBB13_297
.LBB13_294:
	s_mov_b32 s11, -1
                                        ; implicit-def: $vgpr12_vgpr13
.LBB13_295:
	s_branch .LBB13_297
.LBB13_296:
	s_cmp_lg_u32 s9, 10
	s_mov_b32 s10, -1
	s_cselect_b32 s11, -1, 0
                                        ; implicit-def: $vgpr12_vgpr13
.LBB13_297:
	s_delay_alu instid0(SALU_CYCLE_1)
	s_and_not1_b32 vcc_lo, exec_lo, s11
	s_cbranch_vccz .LBB13_303
; %bb.298:
	s_and_not1_b32 vcc_lo, exec_lo, s10
	s_cbranch_vccnz .LBB13_300
.LBB13_299:
	s_add_i32 s2, s3, 1
	s_delay_alu instid0(SALU_CYCLE_1) | instskip(SKIP_1) | instid1(VALU_DEP_1)
	v_mad_u64_u32 v[12:13], null, s2, s8, v[0:1]
	v_mov_b32_e32 v13, 0
	v_lshlrev_b64 v[12:13], 2, v[12:13]
	s_delay_alu instid0(VALU_DEP_1) | instskip(NEXT) | instid1(VALU_DEP_2)
	v_add_co_u32 v12, vcc_lo, s4, v12
	v_add_co_ci_u32_e32 v13, vcc_lo, s5, v13, vcc_lo
	global_load_b32 v12, v[12:13], off
	s_waitcnt vmcnt(0)
	v_alignbit_b32 v12, v12, v14, 30
	s_delay_alu instid0(VALU_DEP_1)
	v_and_b32_e32 v12, 7, v12
.LBB13_300:
	s_load_b32 s2, s[0:1], 0x30
	s_waitcnt lgkmcnt(0)
	s_ashr_i32 s3, s2, 31
	s_delay_alu instid0(SALU_CYCLE_1) | instskip(NEXT) | instid1(SALU_CYCLE_1)
	s_lshr_b32 s3, s3, 27
	s_add_i32 s9, s2, s3
	s_delay_alu instid0(SALU_CYCLE_1)
	s_and_b32 s3, s9, 0xffffffe0
	s_ashr_i32 s10, s9, 5
	s_sub_i32 s3, s2, s3
	s_mul_i32 s10, s10, 3
	s_cmp_lt_i32 s3, 21
	s_cbranch_scc1 .LBB13_304
; %bb.301:
	s_cmp_eq_u32 s3, 21
	s_cbranch_scc0 .LBB13_305
; %bb.302:
	s_mov_b32 s9, 1
	s_add_i32 s2, s10, 1
	s_mov_b32 s11, 0
	s_branch .LBB13_306
.LBB13_303:
	v_mov_b32_e32 v15, 0
	s_waitcnt vmcnt(0)
	s_delay_alu instid0(VALU_DEP_1) | instskip(NEXT) | instid1(VALU_DEP_1)
	v_lshrrev_b64 v[12:13], s2, v[14:15]
	v_and_b32_e32 v12, 7, v12
	s_cbranch_execz .LBB13_299
	s_branch .LBB13_300
.LBB13_304:
	s_mov_b32 s11, 0
                                        ; implicit-def: $sgpr9
                                        ; implicit-def: $sgpr2
	s_cbranch_execnz .LBB13_307
	s_branch .LBB13_308
.LBB13_305:
	s_mov_b32 s11, -1
                                        ; implicit-def: $sgpr9
                                        ; implicit-def: $sgpr2
.LBB13_306:
	s_branch .LBB13_308
.LBB13_307:
	s_cmp_lg_u32 s3, 10
	s_mov_b32 s9, 1
	s_cselect_b32 s11, -1, 0
	s_mov_b32 s2, s10
.LBB13_308:
	s_and_not1_b32 vcc_lo, exec_lo, s11
	s_cbranch_vccnz .LBB13_315
; %bb.309:
	s_cmp_gt_i32 s3, 21
	s_mul_i32 s11, s3, 3
	s_cbranch_scc1 .LBB13_313
; %bb.310:
	s_cmp_lt_i32 s3, 11
	s_mov_b32 s9, s11
	s_mov_b32 s2, s10
	s_cbranch_scc1 .LBB13_312
; %bb.311:
	s_sub_i32 s9, s11, 32
	s_add_i32 s2, s10, 1
.LBB13_312:
	s_cbranch_execz .LBB13_314
	s_branch .LBB13_315
.LBB13_313:
                                        ; implicit-def: $sgpr9
                                        ; implicit-def: $sgpr2
.LBB13_314:
	s_sub_i32 s9, s11, 64
	s_add_i32 s2, s10, 2
.LBB13_315:
	s_waitcnt vmcnt(0)
	v_mad_u64_u32 v[13:14], null, s2, s8, v[0:1]
	v_mov_b32_e32 v14, 0
	s_cmp_lt_i32 s3, 21
	s_mov_b32 s10, 0
	s_delay_alu instid0(VALU_DEP_1) | instskip(NEXT) | instid1(VALU_DEP_1)
	v_lshlrev_b64 v[13:14], 2, v[13:14]
	v_add_co_u32 v13, vcc_lo, s4, v13
	s_delay_alu instid0(VALU_DEP_2)
	v_add_co_ci_u32_e32 v14, vcc_lo, s5, v14, vcc_lo
	global_load_b32 v15, v[13:14], off
	s_cbranch_scc1 .LBB13_318
; %bb.316:
	s_cmp_eq_u32 s3, 21
	s_cbranch_scc0 .LBB13_319
; %bb.317:
	s_add_i32 s11, s2, 1
	s_delay_alu instid0(SALU_CYCLE_1) | instskip(SKIP_2) | instid1(VALU_DEP_1)
	v_mad_u64_u32 v[13:14], null, s11, s8, v[0:1]
	v_mov_b32_e32 v14, 0
	s_mov_b32 s11, 0
	v_lshlrev_b64 v[13:14], 2, v[13:14]
	s_delay_alu instid0(VALU_DEP_1) | instskip(NEXT) | instid1(VALU_DEP_2)
	v_add_co_u32 v13, vcc_lo, s4, v13
	v_add_co_ci_u32_e32 v14, vcc_lo, s5, v14, vcc_lo
	global_load_b32 v13, v[13:14], off
	s_waitcnt vmcnt(0)
	v_alignbit_b32 v13, v13, v15, 31
	s_delay_alu instid0(VALU_DEP_1)
	v_and_b32_e32 v13, 7, v13
	s_branch .LBB13_320
.LBB13_318:
	s_mov_b32 s11, 0
                                        ; implicit-def: $vgpr13_vgpr14
	s_cbranch_execnz .LBB13_321
	s_branch .LBB13_322
.LBB13_319:
	s_mov_b32 s11, -1
                                        ; implicit-def: $vgpr13_vgpr14
.LBB13_320:
	s_branch .LBB13_322
.LBB13_321:
	s_cmp_lg_u32 s3, 10
	s_mov_b32 s10, -1
	s_cselect_b32 s11, -1, 0
                                        ; implicit-def: $vgpr13_vgpr14
.LBB13_322:
	s_delay_alu instid0(SALU_CYCLE_1)
	s_and_not1_b32 vcc_lo, exec_lo, s11
	s_cbranch_vccz .LBB13_328
; %bb.323:
	s_and_not1_b32 vcc_lo, exec_lo, s10
	s_cbranch_vccnz .LBB13_325
.LBB13_324:
	s_add_i32 s2, s2, 1
	s_delay_alu instid0(SALU_CYCLE_1) | instskip(SKIP_1) | instid1(VALU_DEP_1)
	v_mad_u64_u32 v[13:14], null, s2, s8, v[0:1]
	v_mov_b32_e32 v14, 0
	v_lshlrev_b64 v[13:14], 2, v[13:14]
	s_delay_alu instid0(VALU_DEP_1) | instskip(NEXT) | instid1(VALU_DEP_2)
	v_add_co_u32 v13, vcc_lo, s4, v13
	v_add_co_ci_u32_e32 v14, vcc_lo, s5, v14, vcc_lo
	global_load_b32 v13, v[13:14], off
	s_waitcnt vmcnt(0)
	v_alignbit_b32 v13, v13, v15, 30
	s_delay_alu instid0(VALU_DEP_1)
	v_and_b32_e32 v13, 7, v13
.LBB13_325:
	s_load_b32 s2, s[0:1], 0x34
	s_waitcnt lgkmcnt(0)
	s_ashr_i32 s3, s2, 31
	s_delay_alu instid0(SALU_CYCLE_1) | instskip(NEXT) | instid1(SALU_CYCLE_1)
	s_lshr_b32 s3, s3, 27
	s_add_i32 s9, s2, s3
	s_delay_alu instid0(SALU_CYCLE_1)
	s_and_b32 s3, s9, 0xffffffe0
	s_ashr_i32 s10, s9, 5
	s_sub_i32 s3, s2, s3
	s_mul_i32 s10, s10, 3
	s_cmp_lt_i32 s3, 21
	s_cbranch_scc1 .LBB13_329
; %bb.326:
	s_cmp_eq_u32 s3, 21
	s_cbranch_scc0 .LBB13_330
; %bb.327:
	s_add_i32 s2, s10, 1
	s_mov_b32 s11, 0
	s_mov_b32 s9, 4
	s_branch .LBB13_331
.LBB13_328:
	v_mov_b32_e32 v16, 0
	s_waitcnt vmcnt(0)
	s_delay_alu instid0(VALU_DEP_1) | instskip(NEXT) | instid1(VALU_DEP_1)
	v_lshrrev_b64 v[13:14], s9, v[15:16]
	v_and_b32_e32 v13, 7, v13
	s_cbranch_execz .LBB13_324
	s_branch .LBB13_325
.LBB13_329:
	s_mov_b32 s11, 0
                                        ; implicit-def: $sgpr9
                                        ; implicit-def: $sgpr2
	s_cbranch_execnz .LBB13_332
	s_branch .LBB13_333
.LBB13_330:
	s_mov_b32 s11, -1
                                        ; implicit-def: $sgpr9
                                        ; implicit-def: $sgpr2
.LBB13_331:
	s_branch .LBB13_333
.LBB13_332:
	s_cmp_lg_u32 s3, 10
	s_mov_b32 s9, 4
	s_cselect_b32 s11, -1, 0
	s_mov_b32 s2, s10
.LBB13_333:
	s_and_not1_b32 vcc_lo, exec_lo, s11
	s_cbranch_vccnz .LBB13_340
; %bb.334:
	s_cmp_gt_i32 s3, 21
	s_mul_i32 s11, s3, 3
	s_cbranch_scc1 .LBB13_338
; %bb.335:
	s_cmp_lt_i32 s3, 11
	s_mov_b32 s9, s11
	s_mov_b32 s2, s10
	s_cbranch_scc1 .LBB13_337
; %bb.336:
	s_sub_i32 s9, s11, 32
	s_add_i32 s2, s10, 1
.LBB13_337:
	s_cbranch_execz .LBB13_339
	s_branch .LBB13_340
.LBB13_338:
                                        ; implicit-def: $sgpr9
                                        ; implicit-def: $sgpr2
.LBB13_339:
	s_sub_i32 s9, s11, 64
	s_add_i32 s2, s10, 2
.LBB13_340:
	s_waitcnt vmcnt(0)
	v_mad_u64_u32 v[14:15], null, s2, s8, v[0:1]
	v_mov_b32_e32 v15, 0
	s_cmp_lt_i32 s3, 21
	s_mov_b32 s10, 0
	s_delay_alu instid0(VALU_DEP_1) | instskip(NEXT) | instid1(VALU_DEP_1)
	v_lshlrev_b64 v[14:15], 2, v[14:15]
	v_add_co_u32 v14, vcc_lo, s4, v14
	s_delay_alu instid0(VALU_DEP_2)
	v_add_co_ci_u32_e32 v15, vcc_lo, s5, v15, vcc_lo
	global_load_b32 v16, v[14:15], off
	s_cbranch_scc1 .LBB13_343
; %bb.341:
	s_cmp_eq_u32 s3, 21
	s_cbranch_scc0 .LBB13_344
; %bb.342:
	s_add_i32 s11, s2, 1
	s_delay_alu instid0(SALU_CYCLE_1) | instskip(SKIP_2) | instid1(VALU_DEP_1)
	v_mad_u64_u32 v[14:15], null, s11, s8, v[0:1]
	v_mov_b32_e32 v15, 0
	s_mov_b32 s11, 0
	v_lshlrev_b64 v[14:15], 2, v[14:15]
	s_delay_alu instid0(VALU_DEP_1) | instskip(NEXT) | instid1(VALU_DEP_2)
	v_add_co_u32 v14, vcc_lo, s4, v14
	v_add_co_ci_u32_e32 v15, vcc_lo, s5, v15, vcc_lo
	global_load_b32 v14, v[14:15], off
	s_waitcnt vmcnt(0)
	v_alignbit_b32 v14, v14, v16, 31
	s_delay_alu instid0(VALU_DEP_1)
	v_and_b32_e32 v14, 7, v14
	s_branch .LBB13_345
.LBB13_343:
	s_mov_b32 s11, 0
                                        ; implicit-def: $vgpr14_vgpr15
	s_cbranch_execnz .LBB13_346
	s_branch .LBB13_347
.LBB13_344:
	s_mov_b32 s11, -1
                                        ; implicit-def: $vgpr14_vgpr15
.LBB13_345:
	s_branch .LBB13_347
.LBB13_346:
	s_cmp_lg_u32 s3, 10
	s_mov_b32 s10, -1
	s_cselect_b32 s11, -1, 0
                                        ; implicit-def: $vgpr14_vgpr15
.LBB13_347:
	s_delay_alu instid0(SALU_CYCLE_1)
	s_and_not1_b32 vcc_lo, exec_lo, s11
	s_cbranch_vccz .LBB13_353
; %bb.348:
	s_and_not1_b32 vcc_lo, exec_lo, s10
	s_cbranch_vccnz .LBB13_350
.LBB13_349:
	s_add_i32 s2, s2, 1
	s_delay_alu instid0(SALU_CYCLE_1) | instskip(SKIP_1) | instid1(VALU_DEP_1)
	v_mad_u64_u32 v[14:15], null, s2, s8, v[0:1]
	v_mov_b32_e32 v15, 0
	v_lshlrev_b64 v[14:15], 2, v[14:15]
	s_delay_alu instid0(VALU_DEP_1) | instskip(NEXT) | instid1(VALU_DEP_2)
	v_add_co_u32 v14, vcc_lo, s4, v14
	v_add_co_ci_u32_e32 v15, vcc_lo, s5, v15, vcc_lo
	global_load_b32 v14, v[14:15], off
	s_waitcnt vmcnt(0)
	v_alignbit_b32 v14, v14, v16, 30
	s_delay_alu instid0(VALU_DEP_1)
	v_and_b32_e32 v14, 7, v14
.LBB13_350:
	s_load_b32 s2, s[0:1], 0x38
	s_waitcnt lgkmcnt(0)
	s_ashr_i32 s3, s2, 31
	s_delay_alu instid0(SALU_CYCLE_1) | instskip(NEXT) | instid1(SALU_CYCLE_1)
	s_lshr_b32 s3, s3, 27
	s_add_i32 s9, s2, s3
	s_delay_alu instid0(SALU_CYCLE_1)
	s_and_b32 s3, s9, 0xffffffe0
	s_ashr_i32 s10, s9, 5
	s_sub_i32 s3, s2, s3
	s_mul_i32 s10, s10, 3
	s_cmp_lt_i32 s3, 21
	s_cbranch_scc1 .LBB13_354
; %bb.351:
	s_cmp_eq_u32 s3, 21
	s_cbranch_scc0 .LBB13_355
; %bb.352:
	s_add_i32 s2, s10, 1
	s_mov_b32 s11, 0
	s_mov_b32 s9, 7
	s_branch .LBB13_356
.LBB13_353:
	v_mov_b32_e32 v17, 0
	s_waitcnt vmcnt(0)
	s_delay_alu instid0(VALU_DEP_1) | instskip(NEXT) | instid1(VALU_DEP_1)
	v_lshrrev_b64 v[14:15], s9, v[16:17]
	v_and_b32_e32 v14, 7, v14
	s_cbranch_execz .LBB13_349
	s_branch .LBB13_350
.LBB13_354:
	s_mov_b32 s11, 0
                                        ; implicit-def: $sgpr9
                                        ; implicit-def: $sgpr2
	s_cbranch_execnz .LBB13_357
	s_branch .LBB13_358
.LBB13_355:
	s_mov_b32 s11, -1
                                        ; implicit-def: $sgpr9
                                        ; implicit-def: $sgpr2
.LBB13_356:
	s_branch .LBB13_358
.LBB13_357:
	s_cmp_lg_u32 s3, 10
	s_mov_b32 s9, 7
	s_cselect_b32 s11, -1, 0
	s_mov_b32 s2, s10
.LBB13_358:
	s_and_not1_b32 vcc_lo, exec_lo, s11
	s_cbranch_vccnz .LBB13_365
; %bb.359:
	s_cmp_gt_i32 s3, 21
	s_mul_i32 s11, s3, 3
	s_cbranch_scc1 .LBB13_363
; %bb.360:
	s_cmp_lt_i32 s3, 11
	s_mov_b32 s9, s11
	s_mov_b32 s2, s10
	s_cbranch_scc1 .LBB13_362
; %bb.361:
	s_sub_i32 s9, s11, 32
	s_add_i32 s2, s10, 1
.LBB13_362:
	s_cbranch_execz .LBB13_364
	s_branch .LBB13_365
.LBB13_363:
                                        ; implicit-def: $sgpr9
                                        ; implicit-def: $sgpr2
.LBB13_364:
	s_sub_i32 s9, s11, 64
	s_add_i32 s2, s10, 2
.LBB13_365:
	s_waitcnt vmcnt(0)
	v_mad_u64_u32 v[15:16], null, s2, s8, v[0:1]
	v_mov_b32_e32 v16, 0
	s_cmp_lt_i32 s3, 21
	s_mov_b32 s10, 0
	s_delay_alu instid0(VALU_DEP_1) | instskip(NEXT) | instid1(VALU_DEP_1)
	v_lshlrev_b64 v[15:16], 2, v[15:16]
	v_add_co_u32 v15, vcc_lo, s4, v15
	s_delay_alu instid0(VALU_DEP_2)
	v_add_co_ci_u32_e32 v16, vcc_lo, s5, v16, vcc_lo
	global_load_b32 v17, v[15:16], off
	s_cbranch_scc1 .LBB13_368
; %bb.366:
	s_cmp_eq_u32 s3, 21
	s_cbranch_scc0 .LBB13_369
; %bb.367:
	s_add_i32 s11, s2, 1
	s_delay_alu instid0(SALU_CYCLE_1) | instskip(SKIP_2) | instid1(VALU_DEP_1)
	v_mad_u64_u32 v[15:16], null, s11, s8, v[0:1]
	v_mov_b32_e32 v16, 0
	s_mov_b32 s11, 0
	v_lshlrev_b64 v[15:16], 2, v[15:16]
	s_delay_alu instid0(VALU_DEP_1) | instskip(NEXT) | instid1(VALU_DEP_2)
	v_add_co_u32 v15, vcc_lo, s4, v15
	v_add_co_ci_u32_e32 v16, vcc_lo, s5, v16, vcc_lo
	global_load_b32 v15, v[15:16], off
	s_waitcnt vmcnt(0)
	v_alignbit_b32 v15, v15, v17, 31
	s_delay_alu instid0(VALU_DEP_1)
	v_and_b32_e32 v15, 7, v15
	s_branch .LBB13_370
.LBB13_368:
	s_mov_b32 s11, 0
                                        ; implicit-def: $vgpr15_vgpr16
	s_cbranch_execnz .LBB13_371
	s_branch .LBB13_372
.LBB13_369:
	s_mov_b32 s11, -1
                                        ; implicit-def: $vgpr15_vgpr16
.LBB13_370:
	s_branch .LBB13_372
.LBB13_371:
	s_cmp_lg_u32 s3, 10
	s_mov_b32 s10, -1
	s_cselect_b32 s11, -1, 0
                                        ; implicit-def: $vgpr15_vgpr16
.LBB13_372:
	s_delay_alu instid0(SALU_CYCLE_1)
	s_and_not1_b32 vcc_lo, exec_lo, s11
	s_cbranch_vccz .LBB13_378
; %bb.373:
	s_and_not1_b32 vcc_lo, exec_lo, s10
	s_cbranch_vccnz .LBB13_375
.LBB13_374:
	s_add_i32 s2, s2, 1
	s_delay_alu instid0(SALU_CYCLE_1) | instskip(SKIP_1) | instid1(VALU_DEP_1)
	v_mad_u64_u32 v[15:16], null, s2, s8, v[0:1]
	v_mov_b32_e32 v16, 0
	v_lshlrev_b64 v[15:16], 2, v[15:16]
	s_delay_alu instid0(VALU_DEP_1) | instskip(NEXT) | instid1(VALU_DEP_2)
	v_add_co_u32 v15, vcc_lo, s4, v15
	v_add_co_ci_u32_e32 v16, vcc_lo, s5, v16, vcc_lo
	global_load_b32 v15, v[15:16], off
	s_waitcnt vmcnt(0)
	v_alignbit_b32 v15, v15, v17, 30
	s_delay_alu instid0(VALU_DEP_1)
	v_and_b32_e32 v15, 7, v15
.LBB13_375:
	s_load_b32 s2, s[0:1], 0x3c
	s_waitcnt lgkmcnt(0)
	s_ashr_i32 s3, s2, 31
	s_delay_alu instid0(SALU_CYCLE_1) | instskip(NEXT) | instid1(SALU_CYCLE_1)
	s_lshr_b32 s3, s3, 27
	s_add_i32 s9, s2, s3
	s_delay_alu instid0(SALU_CYCLE_1)
	s_and_b32 s3, s9, 0xffffffe0
	s_ashr_i32 s10, s9, 5
	s_sub_i32 s3, s2, s3
	s_mul_i32 s10, s10, 3
	s_cmp_lt_i32 s3, 21
	s_cbranch_scc1 .LBB13_379
; %bb.376:
	s_cmp_eq_u32 s3, 21
	s_cbranch_scc0 .LBB13_380
; %bb.377:
	s_add_i32 s2, s10, 1
	s_mov_b32 s11, 0
	s_mov_b32 s9, 10
	s_branch .LBB13_381
.LBB13_378:
	v_mov_b32_e32 v18, 0
	s_waitcnt vmcnt(0)
	s_delay_alu instid0(VALU_DEP_1) | instskip(NEXT) | instid1(VALU_DEP_1)
	v_lshrrev_b64 v[15:16], s9, v[17:18]
	v_and_b32_e32 v15, 7, v15
	s_cbranch_execz .LBB13_374
	s_branch .LBB13_375
.LBB13_379:
	s_mov_b32 s11, 0
                                        ; implicit-def: $sgpr9
                                        ; implicit-def: $sgpr2
	s_cbranch_execnz .LBB13_382
	s_branch .LBB13_383
.LBB13_380:
	s_mov_b32 s11, -1
                                        ; implicit-def: $sgpr9
                                        ; implicit-def: $sgpr2
.LBB13_381:
	s_branch .LBB13_383
.LBB13_382:
	s_cmp_lg_u32 s3, 10
	s_mov_b32 s9, s3
	s_cselect_b32 s11, -1, 0
	s_mov_b32 s2, s10
.LBB13_383:
	s_and_not1_b32 vcc_lo, exec_lo, s11
	s_cbranch_vccnz .LBB13_390
; %bb.384:
	s_cmp_gt_i32 s3, 21
	s_mul_i32 s11, s3, 3
	s_cbranch_scc1 .LBB13_388
; %bb.385:
	s_cmp_lt_i32 s3, 11
	s_mov_b32 s9, s11
	s_mov_b32 s2, s10
	s_cbranch_scc1 .LBB13_387
; %bb.386:
	s_sub_i32 s9, s11, 32
	s_add_i32 s2, s10, 1
.LBB13_387:
	s_cbranch_execz .LBB13_389
	s_branch .LBB13_390
.LBB13_388:
                                        ; implicit-def: $sgpr9
                                        ; implicit-def: $sgpr2
.LBB13_389:
	s_sub_i32 s9, s11, 64
	s_add_i32 s2, s10, 2
.LBB13_390:
	s_waitcnt vmcnt(0)
	v_mad_u64_u32 v[16:17], null, s2, s8, v[0:1]
	v_mov_b32_e32 v17, 0
	s_cmp_lt_i32 s3, 21
	s_mov_b32 s10, 0
	s_delay_alu instid0(VALU_DEP_1) | instskip(NEXT) | instid1(VALU_DEP_1)
	v_lshlrev_b64 v[16:17], 2, v[16:17]
	v_add_co_u32 v16, vcc_lo, s4, v16
	s_delay_alu instid0(VALU_DEP_2)
	v_add_co_ci_u32_e32 v17, vcc_lo, s5, v17, vcc_lo
	global_load_b32 v18, v[16:17], off
	s_cbranch_scc1 .LBB13_393
; %bb.391:
	s_cmp_eq_u32 s3, 21
	s_cbranch_scc0 .LBB13_394
; %bb.392:
	s_add_i32 s11, s2, 1
	s_delay_alu instid0(SALU_CYCLE_1) | instskip(SKIP_2) | instid1(VALU_DEP_1)
	v_mad_u64_u32 v[16:17], null, s11, s8, v[0:1]
	v_mov_b32_e32 v17, 0
	s_mov_b32 s11, 0
	v_lshlrev_b64 v[16:17], 2, v[16:17]
	s_delay_alu instid0(VALU_DEP_1) | instskip(NEXT) | instid1(VALU_DEP_2)
	v_add_co_u32 v16, vcc_lo, s4, v16
	v_add_co_ci_u32_e32 v17, vcc_lo, s5, v17, vcc_lo
	global_load_b32 v16, v[16:17], off
	s_waitcnt vmcnt(0)
	v_alignbit_b32 v16, v16, v18, 31
	s_delay_alu instid0(VALU_DEP_1)
	v_and_b32_e32 v16, 7, v16
	s_branch .LBB13_395
.LBB13_393:
	s_mov_b32 s11, 0
                                        ; implicit-def: $vgpr16_vgpr17
	s_cbranch_execnz .LBB13_396
	s_branch .LBB13_397
.LBB13_394:
	s_mov_b32 s11, -1
                                        ; implicit-def: $vgpr16_vgpr17
.LBB13_395:
	s_branch .LBB13_397
.LBB13_396:
	s_cmp_lg_u32 s3, 10
	s_mov_b32 s10, -1
	s_cselect_b32 s11, -1, 0
                                        ; implicit-def: $vgpr16_vgpr17
.LBB13_397:
	s_delay_alu instid0(SALU_CYCLE_1)
	s_and_not1_b32 vcc_lo, exec_lo, s11
	s_cbranch_vccz .LBB13_403
; %bb.398:
	s_and_not1_b32 vcc_lo, exec_lo, s10
	s_cbranch_vccnz .LBB13_400
.LBB13_399:
	s_add_i32 s2, s2, 1
	s_delay_alu instid0(SALU_CYCLE_1) | instskip(SKIP_1) | instid1(VALU_DEP_1)
	v_mad_u64_u32 v[16:17], null, s2, s8, v[0:1]
	v_mov_b32_e32 v17, 0
	v_lshlrev_b64 v[16:17], 2, v[16:17]
	s_delay_alu instid0(VALU_DEP_1) | instskip(NEXT) | instid1(VALU_DEP_2)
	v_add_co_u32 v16, vcc_lo, s4, v16
	v_add_co_ci_u32_e32 v17, vcc_lo, s5, v17, vcc_lo
	global_load_b32 v16, v[16:17], off
	s_waitcnt vmcnt(0)
	v_alignbit_b32 v16, v16, v18, 30
	s_delay_alu instid0(VALU_DEP_1)
	v_and_b32_e32 v16, 7, v16
.LBB13_400:
	s_load_b32 s2, s[0:1], 0x40
	s_waitcnt lgkmcnt(0)
	s_ashr_i32 s3, s2, 31
	s_delay_alu instid0(SALU_CYCLE_1) | instskip(NEXT) | instid1(SALU_CYCLE_1)
	s_lshr_b32 s3, s3, 27
	s_add_i32 s9, s2, s3
	s_delay_alu instid0(SALU_CYCLE_1)
	s_and_b32 s3, s9, 0xffffffe0
	s_ashr_i32 s10, s9, 5
	s_sub_i32 s3, s2, s3
	s_mul_i32 s10, s10, 3
	s_cmp_lt_i32 s3, 21
	s_cbranch_scc1 .LBB13_404
; %bb.401:
	s_cmp_eq_u32 s3, 21
	s_cbranch_scc0 .LBB13_405
; %bb.402:
	s_add_i32 s2, s10, 1
	s_mov_b32 s11, 0
	s_mov_b32 s9, 13
	s_branch .LBB13_406
.LBB13_403:
	v_mov_b32_e32 v19, 0
	s_waitcnt vmcnt(0)
	s_delay_alu instid0(VALU_DEP_1) | instskip(NEXT) | instid1(VALU_DEP_1)
	v_lshrrev_b64 v[16:17], s9, v[18:19]
	v_and_b32_e32 v16, 7, v16
	s_cbranch_execz .LBB13_399
	s_branch .LBB13_400
.LBB13_404:
	s_mov_b32 s11, 0
                                        ; implicit-def: $sgpr9
                                        ; implicit-def: $sgpr2
	s_cbranch_execnz .LBB13_407
	s_branch .LBB13_408
.LBB13_405:
	s_mov_b32 s11, -1
                                        ; implicit-def: $sgpr9
                                        ; implicit-def: $sgpr2
.LBB13_406:
	s_branch .LBB13_408
.LBB13_407:
	s_cmp_lg_u32 s3, 10
	s_mov_b32 s9, 13
	s_cselect_b32 s11, -1, 0
	s_mov_b32 s2, s10
.LBB13_408:
	s_and_not1_b32 vcc_lo, exec_lo, s11
	s_cbranch_vccnz .LBB13_415
; %bb.409:
	s_cmp_gt_i32 s3, 21
	s_mul_i32 s11, s3, 3
	s_cbranch_scc1 .LBB13_413
; %bb.410:
	s_cmp_lt_i32 s3, 11
	s_mov_b32 s9, s11
	s_mov_b32 s2, s10
	s_cbranch_scc1 .LBB13_412
; %bb.411:
	s_sub_i32 s9, s11, 32
	s_add_i32 s2, s10, 1
.LBB13_412:
	s_cbranch_execz .LBB13_414
	s_branch .LBB13_415
.LBB13_413:
                                        ; implicit-def: $sgpr9
                                        ; implicit-def: $sgpr2
.LBB13_414:
	s_sub_i32 s9, s11, 64
	s_add_i32 s2, s10, 2
.LBB13_415:
	s_waitcnt vmcnt(0)
	v_mad_u64_u32 v[17:18], null, s2, s8, v[0:1]
	v_mov_b32_e32 v18, 0
	s_cmp_lt_i32 s3, 21
	s_mov_b32 s10, 0
	s_delay_alu instid0(VALU_DEP_1) | instskip(NEXT) | instid1(VALU_DEP_1)
	v_lshlrev_b64 v[17:18], 2, v[17:18]
	v_add_co_u32 v17, vcc_lo, s4, v17
	s_delay_alu instid0(VALU_DEP_2)
	v_add_co_ci_u32_e32 v18, vcc_lo, s5, v18, vcc_lo
	global_load_b32 v19, v[17:18], off
	s_cbranch_scc1 .LBB13_418
; %bb.416:
	s_cmp_eq_u32 s3, 21
	s_cbranch_scc0 .LBB13_419
; %bb.417:
	s_add_i32 s11, s2, 1
	s_delay_alu instid0(SALU_CYCLE_1) | instskip(SKIP_2) | instid1(VALU_DEP_1)
	v_mad_u64_u32 v[17:18], null, s11, s8, v[0:1]
	v_mov_b32_e32 v18, 0
	s_mov_b32 s11, 0
	v_lshlrev_b64 v[17:18], 2, v[17:18]
	s_delay_alu instid0(VALU_DEP_1) | instskip(NEXT) | instid1(VALU_DEP_2)
	v_add_co_u32 v17, vcc_lo, s4, v17
	v_add_co_ci_u32_e32 v18, vcc_lo, s5, v18, vcc_lo
	global_load_b32 v17, v[17:18], off
	s_waitcnt vmcnt(0)
	v_alignbit_b32 v17, v17, v19, 31
	s_delay_alu instid0(VALU_DEP_1)
	v_and_b32_e32 v17, 7, v17
	s_branch .LBB13_420
.LBB13_418:
	s_mov_b32 s11, 0
                                        ; implicit-def: $vgpr17_vgpr18
	s_cbranch_execnz .LBB13_421
	s_branch .LBB13_422
.LBB13_419:
	s_mov_b32 s11, -1
                                        ; implicit-def: $vgpr17_vgpr18
.LBB13_420:
	s_branch .LBB13_422
.LBB13_421:
	s_cmp_lg_u32 s3, 10
	s_mov_b32 s10, -1
	s_cselect_b32 s11, -1, 0
                                        ; implicit-def: $vgpr17_vgpr18
.LBB13_422:
	s_delay_alu instid0(SALU_CYCLE_1)
	s_and_not1_b32 vcc_lo, exec_lo, s11
	s_cbranch_vccz .LBB13_428
; %bb.423:
	s_and_not1_b32 vcc_lo, exec_lo, s10
	s_cbranch_vccnz .LBB13_425
.LBB13_424:
	s_add_i32 s2, s2, 1
	s_delay_alu instid0(SALU_CYCLE_1) | instskip(SKIP_1) | instid1(VALU_DEP_1)
	v_mad_u64_u32 v[17:18], null, s2, s8, v[0:1]
	v_mov_b32_e32 v18, 0
	v_lshlrev_b64 v[17:18], 2, v[17:18]
	s_delay_alu instid0(VALU_DEP_1) | instskip(NEXT) | instid1(VALU_DEP_2)
	v_add_co_u32 v17, vcc_lo, s4, v17
	v_add_co_ci_u32_e32 v18, vcc_lo, s5, v18, vcc_lo
	global_load_b32 v17, v[17:18], off
	s_waitcnt vmcnt(0)
	v_alignbit_b32 v17, v17, v19, 30
	s_delay_alu instid0(VALU_DEP_1)
	v_and_b32_e32 v17, 7, v17
.LBB13_425:
	s_load_b32 s2, s[0:1], 0x44
	s_waitcnt lgkmcnt(0)
	s_ashr_i32 s3, s2, 31
	s_delay_alu instid0(SALU_CYCLE_1) | instskip(NEXT) | instid1(SALU_CYCLE_1)
	s_lshr_b32 s3, s3, 27
	s_add_i32 s9, s2, s3
	s_delay_alu instid0(SALU_CYCLE_1)
	s_and_b32 s3, s9, 0xffffffe0
	s_ashr_i32 s10, s9, 5
	s_sub_i32 s3, s2, s3
	s_mul_i32 s10, s10, 3
	s_cmp_lt_i32 s3, 21
	s_cbranch_scc1 .LBB13_429
; %bb.426:
	s_cmp_eq_u32 s3, 21
	s_cbranch_scc0 .LBB13_430
; %bb.427:
	s_add_i32 s2, s10, 1
	s_mov_b32 s11, 0
	s_mov_b32 s9, 16
	s_branch .LBB13_431
.LBB13_428:
	v_mov_b32_e32 v20, 0
	s_waitcnt vmcnt(0)
	s_delay_alu instid0(VALU_DEP_1) | instskip(NEXT) | instid1(VALU_DEP_1)
	v_lshrrev_b64 v[17:18], s9, v[19:20]
	v_and_b32_e32 v17, 7, v17
	s_cbranch_execz .LBB13_424
	s_branch .LBB13_425
.LBB13_429:
	s_mov_b32 s11, 0
                                        ; implicit-def: $sgpr9
                                        ; implicit-def: $sgpr2
	s_cbranch_execnz .LBB13_432
	s_branch .LBB13_433
.LBB13_430:
	s_mov_b32 s11, -1
                                        ; implicit-def: $sgpr9
                                        ; implicit-def: $sgpr2
.LBB13_431:
	s_branch .LBB13_433
.LBB13_432:
	s_cmp_lg_u32 s3, 10
	s_mov_b32 s9, 16
	s_cselect_b32 s11, -1, 0
	s_mov_b32 s2, s10
.LBB13_433:
	s_and_not1_b32 vcc_lo, exec_lo, s11
	s_cbranch_vccnz .LBB13_440
; %bb.434:
	s_cmp_gt_i32 s3, 21
	s_mul_i32 s11, s3, 3
	s_cbranch_scc1 .LBB13_438
; %bb.435:
	s_cmp_lt_i32 s3, 11
	s_mov_b32 s9, s11
	s_mov_b32 s2, s10
	s_cbranch_scc1 .LBB13_437
; %bb.436:
	s_sub_i32 s9, s11, 32
	s_add_i32 s2, s10, 1
.LBB13_437:
	s_cbranch_execz .LBB13_439
	s_branch .LBB13_440
.LBB13_438:
                                        ; implicit-def: $sgpr9
                                        ; implicit-def: $sgpr2
.LBB13_439:
	s_sub_i32 s9, s11, 64
	s_add_i32 s2, s10, 2
.LBB13_440:
	s_waitcnt vmcnt(0)
	v_mad_u64_u32 v[18:19], null, s2, s8, v[0:1]
	v_mov_b32_e32 v19, 0
	s_cmp_lt_i32 s3, 21
	s_mov_b32 s10, 0
	s_delay_alu instid0(VALU_DEP_1) | instskip(NEXT) | instid1(VALU_DEP_1)
	v_lshlrev_b64 v[18:19], 2, v[18:19]
	v_add_co_u32 v18, vcc_lo, s4, v18
	s_delay_alu instid0(VALU_DEP_2)
	v_add_co_ci_u32_e32 v19, vcc_lo, s5, v19, vcc_lo
	global_load_b32 v20, v[18:19], off
	s_cbranch_scc1 .LBB13_443
; %bb.441:
	s_cmp_eq_u32 s3, 21
	s_cbranch_scc0 .LBB13_444
; %bb.442:
	s_add_i32 s11, s2, 1
	s_delay_alu instid0(SALU_CYCLE_1) | instskip(SKIP_2) | instid1(VALU_DEP_1)
	v_mad_u64_u32 v[18:19], null, s11, s8, v[0:1]
	v_mov_b32_e32 v19, 0
	s_mov_b32 s11, 0
	v_lshlrev_b64 v[18:19], 2, v[18:19]
	s_delay_alu instid0(VALU_DEP_1) | instskip(NEXT) | instid1(VALU_DEP_2)
	v_add_co_u32 v18, vcc_lo, s4, v18
	v_add_co_ci_u32_e32 v19, vcc_lo, s5, v19, vcc_lo
	global_load_b32 v18, v[18:19], off
	s_waitcnt vmcnt(0)
	v_alignbit_b32 v18, v18, v20, 31
	s_delay_alu instid0(VALU_DEP_1)
	v_and_b32_e32 v18, 7, v18
	s_branch .LBB13_445
.LBB13_443:
	s_mov_b32 s11, 0
                                        ; implicit-def: $vgpr18_vgpr19
	s_cbranch_execnz .LBB13_446
	s_branch .LBB13_447
.LBB13_444:
	s_mov_b32 s11, -1
                                        ; implicit-def: $vgpr18_vgpr19
.LBB13_445:
	s_branch .LBB13_447
.LBB13_446:
	s_cmp_lg_u32 s3, 10
	s_mov_b32 s10, -1
	s_cselect_b32 s11, -1, 0
                                        ; implicit-def: $vgpr18_vgpr19
.LBB13_447:
	s_delay_alu instid0(SALU_CYCLE_1)
	s_and_not1_b32 vcc_lo, exec_lo, s11
	s_cbranch_vccz .LBB13_453
; %bb.448:
	s_and_not1_b32 vcc_lo, exec_lo, s10
	s_cbranch_vccnz .LBB13_450
.LBB13_449:
	s_add_i32 s2, s2, 1
	s_delay_alu instid0(SALU_CYCLE_1) | instskip(SKIP_1) | instid1(VALU_DEP_1)
	v_mad_u64_u32 v[18:19], null, s2, s8, v[0:1]
	v_mov_b32_e32 v19, 0
	v_lshlrev_b64 v[18:19], 2, v[18:19]
	s_delay_alu instid0(VALU_DEP_1) | instskip(NEXT) | instid1(VALU_DEP_2)
	v_add_co_u32 v18, vcc_lo, s4, v18
	v_add_co_ci_u32_e32 v19, vcc_lo, s5, v19, vcc_lo
	global_load_b32 v18, v[18:19], off
	s_waitcnt vmcnt(0)
	v_alignbit_b32 v18, v18, v20, 30
	s_delay_alu instid0(VALU_DEP_1)
	v_and_b32_e32 v18, 7, v18
.LBB13_450:
	s_load_b32 s2, s[0:1], 0x48
	s_waitcnt lgkmcnt(0)
	s_ashr_i32 s3, s2, 31
	s_delay_alu instid0(SALU_CYCLE_1) | instskip(NEXT) | instid1(SALU_CYCLE_1)
	s_lshr_b32 s3, s3, 27
	s_add_i32 s9, s2, s3
	s_delay_alu instid0(SALU_CYCLE_1)
	s_and_b32 s3, s9, 0xffffffe0
	s_ashr_i32 s10, s9, 5
	s_sub_i32 s3, s2, s3
	s_mul_i32 s10, s10, 3
	s_cmp_lt_i32 s3, 21
	s_cbranch_scc1 .LBB13_454
; %bb.451:
	s_cmp_eq_u32 s3, 21
	s_cbranch_scc0 .LBB13_455
; %bb.452:
	s_add_i32 s2, s10, 1
	s_mov_b32 s11, 0
	s_mov_b32 s9, 19
	s_branch .LBB13_456
.LBB13_453:
	v_mov_b32_e32 v21, 0
	s_waitcnt vmcnt(0)
	s_delay_alu instid0(VALU_DEP_1) | instskip(NEXT) | instid1(VALU_DEP_1)
	v_lshrrev_b64 v[18:19], s9, v[20:21]
	v_and_b32_e32 v18, 7, v18
	s_cbranch_execz .LBB13_449
	s_branch .LBB13_450
.LBB13_454:
	s_mov_b32 s11, 0
                                        ; implicit-def: $sgpr9
                                        ; implicit-def: $sgpr2
	s_cbranch_execnz .LBB13_457
	s_branch .LBB13_458
.LBB13_455:
	s_mov_b32 s11, -1
                                        ; implicit-def: $sgpr9
                                        ; implicit-def: $sgpr2
.LBB13_456:
	s_branch .LBB13_458
.LBB13_457:
	s_cmp_lg_u32 s3, 10
	s_mov_b32 s9, 19
	s_cselect_b32 s11, -1, 0
	s_mov_b32 s2, s10
.LBB13_458:
	s_and_not1_b32 vcc_lo, exec_lo, s11
	s_cbranch_vccnz .LBB13_465
; %bb.459:
	s_cmp_gt_i32 s3, 21
	s_mul_i32 s11, s3, 3
	s_cbranch_scc1 .LBB13_463
; %bb.460:
	s_cmp_lt_i32 s3, 11
	s_mov_b32 s9, s11
	s_mov_b32 s2, s10
	s_cbranch_scc1 .LBB13_462
; %bb.461:
	s_sub_i32 s9, s11, 32
	s_add_i32 s2, s10, 1
.LBB13_462:
	s_cbranch_execz .LBB13_464
	s_branch .LBB13_465
.LBB13_463:
                                        ; implicit-def: $sgpr9
                                        ; implicit-def: $sgpr2
.LBB13_464:
	s_sub_i32 s9, s11, 64
	s_add_i32 s2, s10, 2
.LBB13_465:
	s_waitcnt vmcnt(0)
	v_mad_u64_u32 v[19:20], null, s2, s8, v[0:1]
	v_mov_b32_e32 v20, 0
	s_cmp_lt_i32 s3, 21
	s_mov_b32 s10, 0
	s_delay_alu instid0(VALU_DEP_1) | instskip(NEXT) | instid1(VALU_DEP_1)
	v_lshlrev_b64 v[19:20], 2, v[19:20]
	v_add_co_u32 v19, vcc_lo, s4, v19
	s_delay_alu instid0(VALU_DEP_2)
	v_add_co_ci_u32_e32 v20, vcc_lo, s5, v20, vcc_lo
	global_load_b32 v21, v[19:20], off
	s_cbranch_scc1 .LBB13_468
; %bb.466:
	s_cmp_eq_u32 s3, 21
	s_cbranch_scc0 .LBB13_469
; %bb.467:
	s_add_i32 s11, s2, 1
	s_delay_alu instid0(SALU_CYCLE_1) | instskip(SKIP_2) | instid1(VALU_DEP_1)
	v_mad_u64_u32 v[19:20], null, s11, s8, v[0:1]
	v_mov_b32_e32 v20, 0
	s_mov_b32 s11, 0
	v_lshlrev_b64 v[19:20], 2, v[19:20]
	s_delay_alu instid0(VALU_DEP_1) | instskip(NEXT) | instid1(VALU_DEP_2)
	v_add_co_u32 v19, vcc_lo, s4, v19
	v_add_co_ci_u32_e32 v20, vcc_lo, s5, v20, vcc_lo
	global_load_b32 v19, v[19:20], off
	s_waitcnt vmcnt(0)
	v_alignbit_b32 v19, v19, v21, 31
	s_delay_alu instid0(VALU_DEP_1)
	v_and_b32_e32 v19, 7, v19
	s_branch .LBB13_470
.LBB13_468:
	s_mov_b32 s11, 0
                                        ; implicit-def: $vgpr19_vgpr20
	s_cbranch_execnz .LBB13_471
	s_branch .LBB13_472
.LBB13_469:
	s_mov_b32 s11, -1
                                        ; implicit-def: $vgpr19_vgpr20
.LBB13_470:
	s_branch .LBB13_472
.LBB13_471:
	s_cmp_lg_u32 s3, 10
	s_mov_b32 s10, -1
	s_cselect_b32 s11, -1, 0
                                        ; implicit-def: $vgpr19_vgpr20
.LBB13_472:
	s_delay_alu instid0(SALU_CYCLE_1)
	s_and_not1_b32 vcc_lo, exec_lo, s11
	s_cbranch_vccz .LBB13_478
; %bb.473:
	s_and_not1_b32 vcc_lo, exec_lo, s10
	s_cbranch_vccnz .LBB13_475
.LBB13_474:
	s_add_i32 s2, s2, 1
	s_delay_alu instid0(SALU_CYCLE_1) | instskip(SKIP_1) | instid1(VALU_DEP_1)
	v_mad_u64_u32 v[19:20], null, s2, s8, v[0:1]
	v_mov_b32_e32 v20, 0
	v_lshlrev_b64 v[19:20], 2, v[19:20]
	s_delay_alu instid0(VALU_DEP_1) | instskip(NEXT) | instid1(VALU_DEP_2)
	v_add_co_u32 v19, vcc_lo, s4, v19
	v_add_co_ci_u32_e32 v20, vcc_lo, s5, v20, vcc_lo
	global_load_b32 v19, v[19:20], off
	s_waitcnt vmcnt(0)
	v_alignbit_b32 v19, v19, v21, 30
	s_delay_alu instid0(VALU_DEP_1)
	v_and_b32_e32 v19, 7, v19
.LBB13_475:
	s_load_b32 s2, s[0:1], 0x4c
	s_waitcnt lgkmcnt(0)
	s_ashr_i32 s3, s2, 31
	s_delay_alu instid0(SALU_CYCLE_1) | instskip(NEXT) | instid1(SALU_CYCLE_1)
	s_lshr_b32 s3, s3, 27
	s_add_i32 s9, s2, s3
	s_delay_alu instid0(SALU_CYCLE_1)
	s_and_b32 s3, s9, 0xffffffe0
	s_ashr_i32 s10, s9, 5
	s_sub_i32 s3, s2, s3
	s_mul_i32 s10, s10, 3
	s_cmp_lt_i32 s3, 21
	s_cbranch_scc1 .LBB13_479
; %bb.476:
	s_cmp_eq_u32 s3, 21
	s_cbranch_scc0 .LBB13_480
; %bb.477:
	s_add_i32 s2, s10, 1
	s_mov_b32 s11, 0
	s_mov_b32 s9, 22
	s_branch .LBB13_481
.LBB13_478:
	v_mov_b32_e32 v22, 0
	s_waitcnt vmcnt(0)
	s_delay_alu instid0(VALU_DEP_1) | instskip(NEXT) | instid1(VALU_DEP_1)
	v_lshrrev_b64 v[19:20], s9, v[21:22]
	v_and_b32_e32 v19, 7, v19
	s_cbranch_execz .LBB13_474
	s_branch .LBB13_475
.LBB13_479:
	s_mov_b32 s11, 0
                                        ; implicit-def: $sgpr9
                                        ; implicit-def: $sgpr2
	s_cbranch_execnz .LBB13_482
	s_branch .LBB13_483
.LBB13_480:
	s_mov_b32 s11, -1
                                        ; implicit-def: $sgpr9
                                        ; implicit-def: $sgpr2
.LBB13_481:
	s_branch .LBB13_483
.LBB13_482:
	s_cmp_lg_u32 s3, 10
	s_mov_b32 s9, 22
	s_cselect_b32 s11, -1, 0
	s_mov_b32 s2, s10
.LBB13_483:
	s_and_not1_b32 vcc_lo, exec_lo, s11
	s_cbranch_vccnz .LBB13_490
; %bb.484:
	s_cmp_gt_i32 s3, 21
	s_mul_i32 s11, s3, 3
	s_cbranch_scc1 .LBB13_488
; %bb.485:
	s_cmp_lt_i32 s3, 11
	s_mov_b32 s9, s11
	s_mov_b32 s2, s10
	s_cbranch_scc1 .LBB13_487
; %bb.486:
	s_sub_i32 s9, s11, 32
	s_add_i32 s2, s10, 1
.LBB13_487:
	s_cbranch_execz .LBB13_489
	s_branch .LBB13_490
.LBB13_488:
                                        ; implicit-def: $sgpr9
                                        ; implicit-def: $sgpr2
.LBB13_489:
	s_sub_i32 s9, s11, 64
	s_add_i32 s2, s10, 2
.LBB13_490:
	s_waitcnt vmcnt(0)
	v_mad_u64_u32 v[20:21], null, s2, s8, v[0:1]
	v_mov_b32_e32 v21, 0
	s_cmp_lt_i32 s3, 21
	s_mov_b32 s10, 0
	s_delay_alu instid0(VALU_DEP_1) | instskip(NEXT) | instid1(VALU_DEP_1)
	v_lshlrev_b64 v[20:21], 2, v[20:21]
	v_add_co_u32 v20, vcc_lo, s4, v20
	s_delay_alu instid0(VALU_DEP_2)
	v_add_co_ci_u32_e32 v21, vcc_lo, s5, v21, vcc_lo
	global_load_b32 v22, v[20:21], off
	s_cbranch_scc1 .LBB13_493
; %bb.491:
	s_cmp_eq_u32 s3, 21
	s_cbranch_scc0 .LBB13_494
; %bb.492:
	s_add_i32 s11, s2, 1
	s_delay_alu instid0(SALU_CYCLE_1) | instskip(SKIP_2) | instid1(VALU_DEP_1)
	v_mad_u64_u32 v[20:21], null, s11, s8, v[0:1]
	v_mov_b32_e32 v21, 0
	s_mov_b32 s11, 0
	v_lshlrev_b64 v[20:21], 2, v[20:21]
	s_delay_alu instid0(VALU_DEP_1) | instskip(NEXT) | instid1(VALU_DEP_2)
	v_add_co_u32 v20, vcc_lo, s4, v20
	v_add_co_ci_u32_e32 v21, vcc_lo, s5, v21, vcc_lo
	global_load_b32 v20, v[20:21], off
	s_waitcnt vmcnt(0)
	v_alignbit_b32 v20, v20, v22, 31
	s_delay_alu instid0(VALU_DEP_1)
	v_and_b32_e32 v20, 7, v20
	s_branch .LBB13_495
.LBB13_493:
	s_mov_b32 s11, 0
                                        ; implicit-def: $vgpr20_vgpr21
	s_cbranch_execnz .LBB13_496
	s_branch .LBB13_497
.LBB13_494:
	s_mov_b32 s11, -1
                                        ; implicit-def: $vgpr20_vgpr21
.LBB13_495:
	s_branch .LBB13_497
.LBB13_496:
	s_cmp_lg_u32 s3, 10
	s_mov_b32 s10, -1
	s_cselect_b32 s11, -1, 0
                                        ; implicit-def: $vgpr20_vgpr21
.LBB13_497:
	s_delay_alu instid0(SALU_CYCLE_1)
	s_and_not1_b32 vcc_lo, exec_lo, s11
	s_cbranch_vccz .LBB13_503
; %bb.498:
	s_and_not1_b32 vcc_lo, exec_lo, s10
	s_cbranch_vccnz .LBB13_500
.LBB13_499:
	s_add_i32 s2, s2, 1
	s_delay_alu instid0(SALU_CYCLE_1) | instskip(SKIP_1) | instid1(VALU_DEP_1)
	v_mad_u64_u32 v[20:21], null, s2, s8, v[0:1]
	v_mov_b32_e32 v21, 0
	v_lshlrev_b64 v[20:21], 2, v[20:21]
	s_delay_alu instid0(VALU_DEP_1) | instskip(NEXT) | instid1(VALU_DEP_2)
	v_add_co_u32 v20, vcc_lo, s4, v20
	v_add_co_ci_u32_e32 v21, vcc_lo, s5, v21, vcc_lo
	global_load_b32 v20, v[20:21], off
	s_waitcnt vmcnt(0)
	v_alignbit_b32 v20, v20, v22, 30
	s_delay_alu instid0(VALU_DEP_1)
	v_and_b32_e32 v20, 7, v20
.LBB13_500:
	s_load_b32 s2, s[0:1], 0x50
	s_waitcnt lgkmcnt(0)
	s_ashr_i32 s3, s2, 31
	s_delay_alu instid0(SALU_CYCLE_1) | instskip(NEXT) | instid1(SALU_CYCLE_1)
	s_lshr_b32 s3, s3, 27
	s_add_i32 s9, s2, s3
	s_delay_alu instid0(SALU_CYCLE_1)
	s_and_b32 s3, s9, 0xffffffe0
	s_ashr_i32 s10, s9, 5
	s_sub_i32 s3, s2, s3
	s_mul_i32 s10, s10, 3
	s_cmp_lt_i32 s3, 21
	s_cbranch_scc1 .LBB13_504
; %bb.501:
	s_cmp_eq_u32 s3, 21
	s_cbranch_scc0 .LBB13_505
; %bb.502:
	s_add_i32 s2, s10, 1
	s_mov_b32 s11, 0
	s_mov_b32 s9, 25
	s_branch .LBB13_506
.LBB13_503:
	v_mov_b32_e32 v23, 0
	s_waitcnt vmcnt(0)
	s_delay_alu instid0(VALU_DEP_1) | instskip(NEXT) | instid1(VALU_DEP_1)
	v_lshrrev_b64 v[20:21], s9, v[22:23]
	v_and_b32_e32 v20, 7, v20
	s_cbranch_execz .LBB13_499
	s_branch .LBB13_500
.LBB13_504:
	s_mov_b32 s11, 0
                                        ; implicit-def: $sgpr9
                                        ; implicit-def: $sgpr2
	s_cbranch_execnz .LBB13_507
	s_branch .LBB13_508
.LBB13_505:
	s_mov_b32 s11, -1
                                        ; implicit-def: $sgpr9
                                        ; implicit-def: $sgpr2
.LBB13_506:
	s_branch .LBB13_508
.LBB13_507:
	s_cmp_lg_u32 s3, 10
	s_mov_b32 s9, 25
	s_cselect_b32 s11, -1, 0
	s_mov_b32 s2, s10
.LBB13_508:
	s_and_not1_b32 vcc_lo, exec_lo, s11
	s_cbranch_vccnz .LBB13_515
; %bb.509:
	s_cmp_gt_i32 s3, 21
	s_mul_i32 s11, s3, 3
	s_cbranch_scc1 .LBB13_513
; %bb.510:
	s_cmp_lt_i32 s3, 11
	s_mov_b32 s9, s11
	s_mov_b32 s2, s10
	s_cbranch_scc1 .LBB13_512
; %bb.511:
	s_sub_i32 s9, s11, 32
	s_add_i32 s2, s10, 1
.LBB13_512:
	s_cbranch_execz .LBB13_514
	s_branch .LBB13_515
.LBB13_513:
                                        ; implicit-def: $sgpr9
                                        ; implicit-def: $sgpr2
.LBB13_514:
	s_sub_i32 s9, s11, 64
	s_add_i32 s2, s10, 2
.LBB13_515:
	s_waitcnt vmcnt(0)
	v_mad_u64_u32 v[21:22], null, s2, s8, v[0:1]
	v_mov_b32_e32 v22, 0
	s_cmp_lt_i32 s3, 21
	s_mov_b32 s10, 0
	s_delay_alu instid0(VALU_DEP_1) | instskip(NEXT) | instid1(VALU_DEP_1)
	v_lshlrev_b64 v[21:22], 2, v[21:22]
	v_add_co_u32 v21, vcc_lo, s4, v21
	s_delay_alu instid0(VALU_DEP_2)
	v_add_co_ci_u32_e32 v22, vcc_lo, s5, v22, vcc_lo
	global_load_b32 v23, v[21:22], off
	s_cbranch_scc1 .LBB13_518
; %bb.516:
	s_cmp_eq_u32 s3, 21
	s_cbranch_scc0 .LBB13_519
; %bb.517:
	s_add_i32 s11, s2, 1
	s_delay_alu instid0(SALU_CYCLE_1) | instskip(SKIP_2) | instid1(VALU_DEP_1)
	v_mad_u64_u32 v[21:22], null, s11, s8, v[0:1]
	v_mov_b32_e32 v22, 0
	s_mov_b32 s11, 0
	v_lshlrev_b64 v[21:22], 2, v[21:22]
	s_delay_alu instid0(VALU_DEP_1) | instskip(NEXT) | instid1(VALU_DEP_2)
	v_add_co_u32 v21, vcc_lo, s4, v21
	v_add_co_ci_u32_e32 v22, vcc_lo, s5, v22, vcc_lo
	global_load_b32 v21, v[21:22], off
	s_waitcnt vmcnt(0)
	v_alignbit_b32 v21, v21, v23, 31
	s_delay_alu instid0(VALU_DEP_1)
	v_and_b32_e32 v21, 7, v21
	s_branch .LBB13_520
.LBB13_518:
	s_mov_b32 s11, 0
                                        ; implicit-def: $vgpr21_vgpr22
	s_cbranch_execnz .LBB13_521
	s_branch .LBB13_522
.LBB13_519:
	s_mov_b32 s11, -1
                                        ; implicit-def: $vgpr21_vgpr22
.LBB13_520:
	s_branch .LBB13_522
.LBB13_521:
	s_cmp_lg_u32 s3, 10
	s_mov_b32 s10, -1
	s_cselect_b32 s11, -1, 0
                                        ; implicit-def: $vgpr21_vgpr22
.LBB13_522:
	s_delay_alu instid0(SALU_CYCLE_1)
	s_and_not1_b32 vcc_lo, exec_lo, s11
	s_cbranch_vccz .LBB13_528
; %bb.523:
	s_and_not1_b32 vcc_lo, exec_lo, s10
	s_cbranch_vccnz .LBB13_525
.LBB13_524:
	s_add_i32 s2, s2, 1
	s_delay_alu instid0(SALU_CYCLE_1) | instskip(SKIP_1) | instid1(VALU_DEP_1)
	v_mad_u64_u32 v[21:22], null, s2, s8, v[0:1]
	v_mov_b32_e32 v22, 0
	v_lshlrev_b64 v[21:22], 2, v[21:22]
	s_delay_alu instid0(VALU_DEP_1) | instskip(NEXT) | instid1(VALU_DEP_2)
	v_add_co_u32 v21, vcc_lo, s4, v21
	v_add_co_ci_u32_e32 v22, vcc_lo, s5, v22, vcc_lo
	global_load_b32 v21, v[21:22], off
	s_waitcnt vmcnt(0)
	v_alignbit_b32 v21, v21, v23, 30
	s_delay_alu instid0(VALU_DEP_1)
	v_and_b32_e32 v21, 7, v21
.LBB13_525:
	s_load_b32 s2, s[0:1], 0x54
	s_waitcnt lgkmcnt(0)
	s_ashr_i32 s3, s2, 31
	s_delay_alu instid0(SALU_CYCLE_1) | instskip(NEXT) | instid1(SALU_CYCLE_1)
	s_lshr_b32 s3, s3, 27
	s_add_i32 s3, s2, s3
	s_delay_alu instid0(SALU_CYCLE_1)
	s_and_b32 s9, s3, 0xffffffe0
	s_ashr_i32 s10, s3, 5
	s_sub_i32 s9, s2, s9
	s_mul_i32 s10, s10, 3
	s_cmp_lt_i32 s9, 21
	s_cbranch_scc1 .LBB13_529
; %bb.526:
	s_cmp_eq_u32 s9, 21
	s_cbranch_scc0 .LBB13_530
; %bb.527:
	s_add_i32 s3, s10, 1
	s_mov_b32 s11, 0
	s_mov_b32 s2, 28
	s_branch .LBB13_531
.LBB13_528:
	v_mov_b32_e32 v24, 0
	s_waitcnt vmcnt(0)
	s_delay_alu instid0(VALU_DEP_1) | instskip(NEXT) | instid1(VALU_DEP_1)
	v_lshrrev_b64 v[21:22], s9, v[23:24]
	v_and_b32_e32 v21, 7, v21
	s_cbranch_execz .LBB13_524
	s_branch .LBB13_525
.LBB13_529:
	s_mov_b32 s11, 0
                                        ; implicit-def: $sgpr2
                                        ; implicit-def: $sgpr3
	s_cbranch_execnz .LBB13_532
	s_branch .LBB13_533
.LBB13_530:
	s_mov_b32 s11, -1
                                        ; implicit-def: $sgpr2
                                        ; implicit-def: $sgpr3
.LBB13_531:
	s_branch .LBB13_533
.LBB13_532:
	s_cmp_lg_u32 s9, 10
	s_mov_b32 s2, 28
	s_cselect_b32 s11, -1, 0
	s_mov_b32 s3, s10
.LBB13_533:
	s_and_not1_b32 vcc_lo, exec_lo, s11
	s_cbranch_vccnz .LBB13_540
; %bb.534:
	s_cmp_gt_i32 s9, 21
	s_mul_i32 s11, s9, 3
	s_cbranch_scc1 .LBB13_538
; %bb.535:
	s_cmp_lt_i32 s9, 11
	s_mov_b32 s2, s11
	s_mov_b32 s3, s10
	s_cbranch_scc1 .LBB13_537
; %bb.536:
	s_sub_i32 s2, s11, 32
	s_add_i32 s3, s10, 1
.LBB13_537:
	s_cbranch_execz .LBB13_539
	s_branch .LBB13_540
.LBB13_538:
                                        ; implicit-def: $sgpr2
                                        ; implicit-def: $sgpr3
.LBB13_539:
	s_sub_i32 s2, s11, 64
	s_add_i32 s3, s10, 2
.LBB13_540:
	s_waitcnt vmcnt(0)
	v_mad_u64_u32 v[22:23], null, s3, s8, v[0:1]
	v_mov_b32_e32 v23, 0
	s_cmp_lt_i32 s9, 21
	s_mov_b32 s10, 0
	s_delay_alu instid0(VALU_DEP_1) | instskip(NEXT) | instid1(VALU_DEP_1)
	v_lshlrev_b64 v[22:23], 2, v[22:23]
	v_add_co_u32 v22, vcc_lo, s4, v22
	s_delay_alu instid0(VALU_DEP_2)
	v_add_co_ci_u32_e32 v23, vcc_lo, s5, v23, vcc_lo
	global_load_b32 v24, v[22:23], off
	s_cbranch_scc1 .LBB13_543
; %bb.541:
	s_cmp_eq_u32 s9, 21
	s_cbranch_scc0 .LBB13_544
; %bb.542:
	s_add_i32 s11, s3, 1
	s_delay_alu instid0(SALU_CYCLE_1) | instskip(SKIP_2) | instid1(VALU_DEP_1)
	v_mad_u64_u32 v[22:23], null, s11, s8, v[0:1]
	v_mov_b32_e32 v23, 0
	s_mov_b32 s11, 0
	v_lshlrev_b64 v[22:23], 2, v[22:23]
	s_delay_alu instid0(VALU_DEP_1) | instskip(NEXT) | instid1(VALU_DEP_2)
	v_add_co_u32 v22, vcc_lo, s4, v22
	v_add_co_ci_u32_e32 v23, vcc_lo, s5, v23, vcc_lo
	global_load_b32 v22, v[22:23], off
	s_waitcnt vmcnt(0)
	v_alignbit_b32 v22, v22, v24, 31
	s_delay_alu instid0(VALU_DEP_1)
	v_and_b32_e32 v22, 7, v22
	s_branch .LBB13_545
.LBB13_543:
	s_mov_b32 s11, 0
                                        ; implicit-def: $vgpr22_vgpr23
	s_cbranch_execnz .LBB13_546
	s_branch .LBB13_547
.LBB13_544:
	s_mov_b32 s11, -1
                                        ; implicit-def: $vgpr22_vgpr23
.LBB13_545:
	s_branch .LBB13_547
.LBB13_546:
	s_cmp_lg_u32 s9, 10
	s_mov_b32 s10, -1
	s_cselect_b32 s11, -1, 0
                                        ; implicit-def: $vgpr22_vgpr23
.LBB13_547:
	s_delay_alu instid0(SALU_CYCLE_1)
	s_and_not1_b32 vcc_lo, exec_lo, s11
	s_cbranch_vccz .LBB13_553
; %bb.548:
	s_and_not1_b32 vcc_lo, exec_lo, s10
	s_cbranch_vccnz .LBB13_550
.LBB13_549:
	s_add_i32 s3, s3, 1
	s_delay_alu instid0(SALU_CYCLE_1) | instskip(SKIP_1) | instid1(VALU_DEP_1)
	v_mad_u64_u32 v[22:23], null, s3, s8, v[0:1]
	v_mov_b32_e32 v23, 0
	v_lshlrev_b64 v[22:23], 2, v[22:23]
	s_delay_alu instid0(VALU_DEP_1) | instskip(NEXT) | instid1(VALU_DEP_2)
	v_add_co_u32 v22, vcc_lo, s4, v22
	v_add_co_ci_u32_e32 v23, vcc_lo, s5, v23, vcc_lo
	global_load_b32 v22, v[22:23], off
	s_waitcnt vmcnt(0)
	v_alignbit_b32 v22, v22, v24, 30
	s_delay_alu instid0(VALU_DEP_1)
	v_and_b32_e32 v22, 7, v22
.LBB13_550:
	s_load_b32 s3, s[0:1], 0x58
	s_waitcnt lgkmcnt(0)
	s_ashr_i32 s9, s3, 31
	s_delay_alu instid0(SALU_CYCLE_1) | instskip(NEXT) | instid1(SALU_CYCLE_1)
	s_lshr_b32 s9, s9, 27
	s_add_i32 s10, s3, s9
	s_delay_alu instid0(SALU_CYCLE_1)
	s_and_b32 s9, s10, 0xffffffe0
	s_ashr_i32 s10, s10, 5
	s_sub_i32 s9, s3, s9
	s_mul_i32 s10, s10, 3
	s_cmp_lt_i32 s9, 21
	s_cbranch_scc1 .LBB13_554
; %bb.551:
	s_cmp_eq_u32 s9, 21
	s_cbranch_scc0 .LBB13_555
; %bb.552:
	s_add_i32 s3, s10, 1
	s_mov_b32 s11, 0
	s_branch .LBB13_556
.LBB13_553:
	v_mov_b32_e32 v25, 0
	s_waitcnt vmcnt(0)
	s_delay_alu instid0(VALU_DEP_1) | instskip(NEXT) | instid1(VALU_DEP_1)
	v_lshrrev_b64 v[22:23], s2, v[24:25]
	v_and_b32_e32 v22, 7, v22
	s_cbranch_execz .LBB13_549
	s_branch .LBB13_550
.LBB13_554:
	s_mov_b32 s11, 0
                                        ; implicit-def: $sgpr3
	s_cbranch_execnz .LBB13_557
	s_branch .LBB13_558
.LBB13_555:
	s_mov_b32 s11, -1
                                        ; implicit-def: $sgpr3
.LBB13_556:
	s_branch .LBB13_558
.LBB13_557:
	s_cmp_lg_u32 s9, 10
	s_mov_b32 s3, s10
	s_cselect_b32 s11, -1, 0
.LBB13_558:
	s_delay_alu instid0(SALU_CYCLE_1)
	s_and_not1_b32 vcc_lo, exec_lo, s11
	s_cbranch_vccnz .LBB13_565
; %bb.559:
	s_cmp_gt_i32 s9, 21
	s_mul_i32 s11, s9, 3
	s_cbranch_scc1 .LBB13_563
; %bb.560:
	s_cmp_lt_i32 s9, 11
	s_mov_b32 s2, s11
	s_mov_b32 s3, s10
	s_cbranch_scc1 .LBB13_562
; %bb.561:
	s_sub_i32 s2, s11, 32
	s_add_i32 s3, s10, 1
.LBB13_562:
	s_cbranch_execz .LBB13_564
	s_branch .LBB13_565
.LBB13_563:
                                        ; implicit-def: $sgpr2
                                        ; implicit-def: $sgpr3
.LBB13_564:
	s_sub_i32 s2, s11, 64
	s_add_i32 s3, s10, 2
.LBB13_565:
	s_waitcnt vmcnt(0)
	v_mad_u64_u32 v[23:24], null, s3, s8, v[0:1]
	v_mov_b32_e32 v24, 0
	s_cmp_lt_i32 s9, 21
	s_mov_b32 s10, 0
	s_delay_alu instid0(VALU_DEP_1) | instskip(NEXT) | instid1(VALU_DEP_1)
	v_lshlrev_b64 v[23:24], 2, v[23:24]
	v_add_co_u32 v23, vcc_lo, s4, v23
	s_delay_alu instid0(VALU_DEP_2)
	v_add_co_ci_u32_e32 v24, vcc_lo, s5, v24, vcc_lo
	global_load_b32 v25, v[23:24], off
	s_cbranch_scc1 .LBB13_568
; %bb.566:
	s_cmp_eq_u32 s9, 21
	s_cbranch_scc0 .LBB13_569
; %bb.567:
	s_add_i32 s11, s3, 1
	s_delay_alu instid0(SALU_CYCLE_1) | instskip(SKIP_2) | instid1(VALU_DEP_1)
	v_mad_u64_u32 v[23:24], null, s11, s8, v[0:1]
	v_mov_b32_e32 v24, 0
	s_mov_b32 s11, 0
	v_lshlrev_b64 v[23:24], 2, v[23:24]
	s_delay_alu instid0(VALU_DEP_1) | instskip(NEXT) | instid1(VALU_DEP_2)
	v_add_co_u32 v23, vcc_lo, s4, v23
	v_add_co_ci_u32_e32 v24, vcc_lo, s5, v24, vcc_lo
	global_load_b32 v23, v[23:24], off
	s_waitcnt vmcnt(0)
	v_alignbit_b32 v23, v23, v25, 31
	s_delay_alu instid0(VALU_DEP_1)
	v_and_b32_e32 v23, 7, v23
	s_branch .LBB13_570
.LBB13_568:
	s_mov_b32 s11, 0
                                        ; implicit-def: $vgpr23_vgpr24
	s_cbranch_execnz .LBB13_571
	s_branch .LBB13_572
.LBB13_569:
	s_mov_b32 s11, -1
                                        ; implicit-def: $vgpr23_vgpr24
.LBB13_570:
	s_branch .LBB13_572
.LBB13_571:
	s_cmp_lg_u32 s9, 10
	s_mov_b32 s10, -1
	s_cselect_b32 s11, -1, 0
                                        ; implicit-def: $vgpr23_vgpr24
.LBB13_572:
	s_delay_alu instid0(SALU_CYCLE_1)
	s_and_not1_b32 vcc_lo, exec_lo, s11
	s_cbranch_vccz .LBB13_578
; %bb.573:
	s_and_not1_b32 vcc_lo, exec_lo, s10
	s_cbranch_vccnz .LBB13_575
.LBB13_574:
	s_add_i32 s2, s3, 1
	s_delay_alu instid0(SALU_CYCLE_1) | instskip(SKIP_1) | instid1(VALU_DEP_1)
	v_mad_u64_u32 v[23:24], null, s2, s8, v[0:1]
	v_mov_b32_e32 v24, 0
	v_lshlrev_b64 v[23:24], 2, v[23:24]
	s_delay_alu instid0(VALU_DEP_1) | instskip(NEXT) | instid1(VALU_DEP_2)
	v_add_co_u32 v23, vcc_lo, s4, v23
	v_add_co_ci_u32_e32 v24, vcc_lo, s5, v24, vcc_lo
	global_load_b32 v23, v[23:24], off
	s_waitcnt vmcnt(0)
	v_alignbit_b32 v23, v23, v25, 30
	s_delay_alu instid0(VALU_DEP_1)
	v_and_b32_e32 v23, 7, v23
.LBB13_575:
	s_load_b32 s2, s[0:1], 0x5c
	s_waitcnt lgkmcnt(0)
	s_ashr_i32 s3, s2, 31
	s_delay_alu instid0(SALU_CYCLE_1) | instskip(NEXT) | instid1(SALU_CYCLE_1)
	s_lshr_b32 s3, s3, 27
	s_add_i32 s9, s2, s3
	s_delay_alu instid0(SALU_CYCLE_1)
	s_and_b32 s3, s9, 0xffffffe0
	s_ashr_i32 s10, s9, 5
	s_sub_i32 s3, s2, s3
	s_mul_i32 s10, s10, 3
	s_cmp_lt_i32 s3, 21
	s_cbranch_scc1 .LBB13_579
; %bb.576:
	s_cmp_eq_u32 s3, 21
	s_cbranch_scc0 .LBB13_580
; %bb.577:
	s_add_i32 s2, s10, 1
	s_mov_b32 s11, 0
	s_mov_b32 s9, 2
	s_branch .LBB13_581
.LBB13_578:
	v_mov_b32_e32 v26, 0
	s_waitcnt vmcnt(0)
	s_delay_alu instid0(VALU_DEP_1) | instskip(NEXT) | instid1(VALU_DEP_1)
	v_lshrrev_b64 v[23:24], s2, v[25:26]
	v_and_b32_e32 v23, 7, v23
	s_cbranch_execz .LBB13_574
	s_branch .LBB13_575
.LBB13_579:
	s_mov_b32 s11, 0
                                        ; implicit-def: $sgpr9
                                        ; implicit-def: $sgpr2
	s_cbranch_execnz .LBB13_582
	s_branch .LBB13_583
.LBB13_580:
	s_mov_b32 s11, -1
                                        ; implicit-def: $sgpr9
                                        ; implicit-def: $sgpr2
.LBB13_581:
	s_branch .LBB13_583
.LBB13_582:
	s_cmp_lg_u32 s3, 10
	s_mov_b32 s9, 2
	s_cselect_b32 s11, -1, 0
	s_mov_b32 s2, s10
.LBB13_583:
	s_and_not1_b32 vcc_lo, exec_lo, s11
	s_cbranch_vccnz .LBB13_590
; %bb.584:
	s_cmp_gt_i32 s3, 21
	s_mul_i32 s11, s3, 3
	s_cbranch_scc1 .LBB13_588
; %bb.585:
	s_cmp_lt_i32 s3, 11
	s_mov_b32 s9, s11
	s_mov_b32 s2, s10
	s_cbranch_scc1 .LBB13_587
; %bb.586:
	s_sub_i32 s9, s11, 32
	s_add_i32 s2, s10, 1
.LBB13_587:
	s_cbranch_execz .LBB13_589
	s_branch .LBB13_590
.LBB13_588:
                                        ; implicit-def: $sgpr9
                                        ; implicit-def: $sgpr2
.LBB13_589:
	s_sub_i32 s9, s11, 64
	s_add_i32 s2, s10, 2
.LBB13_590:
	s_waitcnt vmcnt(0)
	v_mad_u64_u32 v[24:25], null, s2, s8, v[0:1]
	v_mov_b32_e32 v25, 0
	s_cmp_lt_i32 s3, 21
	s_mov_b32 s10, 0
	s_delay_alu instid0(VALU_DEP_1) | instskip(NEXT) | instid1(VALU_DEP_1)
	v_lshlrev_b64 v[24:25], 2, v[24:25]
	v_add_co_u32 v24, vcc_lo, s4, v24
	s_delay_alu instid0(VALU_DEP_2)
	v_add_co_ci_u32_e32 v25, vcc_lo, s5, v25, vcc_lo
	global_load_b32 v26, v[24:25], off
	s_cbranch_scc1 .LBB13_593
; %bb.591:
	s_cmp_eq_u32 s3, 21
	s_cbranch_scc0 .LBB13_594
; %bb.592:
	s_add_i32 s11, s2, 1
	s_delay_alu instid0(SALU_CYCLE_1) | instskip(SKIP_2) | instid1(VALU_DEP_1)
	v_mad_u64_u32 v[24:25], null, s11, s8, v[0:1]
	v_mov_b32_e32 v25, 0
	s_mov_b32 s11, 0
	v_lshlrev_b64 v[24:25], 2, v[24:25]
	s_delay_alu instid0(VALU_DEP_1) | instskip(NEXT) | instid1(VALU_DEP_2)
	v_add_co_u32 v24, vcc_lo, s4, v24
	v_add_co_ci_u32_e32 v25, vcc_lo, s5, v25, vcc_lo
	global_load_b32 v24, v[24:25], off
	s_waitcnt vmcnt(0)
	v_alignbit_b32 v24, v24, v26, 31
	s_delay_alu instid0(VALU_DEP_1)
	v_and_b32_e32 v24, 7, v24
	s_branch .LBB13_595
.LBB13_593:
	s_mov_b32 s11, 0
                                        ; implicit-def: $vgpr24_vgpr25
	s_cbranch_execnz .LBB13_596
	s_branch .LBB13_597
.LBB13_594:
	s_mov_b32 s11, -1
                                        ; implicit-def: $vgpr24_vgpr25
.LBB13_595:
	s_branch .LBB13_597
.LBB13_596:
	s_cmp_lg_u32 s3, 10
	s_mov_b32 s10, -1
	s_cselect_b32 s11, -1, 0
                                        ; implicit-def: $vgpr24_vgpr25
.LBB13_597:
	s_delay_alu instid0(SALU_CYCLE_1)
	s_and_not1_b32 vcc_lo, exec_lo, s11
	s_cbranch_vccz .LBB13_603
; %bb.598:
	s_and_not1_b32 vcc_lo, exec_lo, s10
	s_cbranch_vccnz .LBB13_600
.LBB13_599:
	s_add_i32 s2, s2, 1
	s_delay_alu instid0(SALU_CYCLE_1) | instskip(SKIP_1) | instid1(VALU_DEP_1)
	v_mad_u64_u32 v[24:25], null, s2, s8, v[0:1]
	v_mov_b32_e32 v25, 0
	v_lshlrev_b64 v[24:25], 2, v[24:25]
	s_delay_alu instid0(VALU_DEP_1) | instskip(NEXT) | instid1(VALU_DEP_2)
	v_add_co_u32 v24, vcc_lo, s4, v24
	v_add_co_ci_u32_e32 v25, vcc_lo, s5, v25, vcc_lo
	global_load_b32 v24, v[24:25], off
	s_waitcnt vmcnt(0)
	v_alignbit_b32 v24, v24, v26, 30
	s_delay_alu instid0(VALU_DEP_1)
	v_and_b32_e32 v24, 7, v24
.LBB13_600:
	s_load_b32 s2, s[0:1], 0x60
	s_waitcnt lgkmcnt(0)
	s_ashr_i32 s3, s2, 31
	s_delay_alu instid0(SALU_CYCLE_1) | instskip(NEXT) | instid1(SALU_CYCLE_1)
	s_lshr_b32 s3, s3, 27
	s_add_i32 s9, s2, s3
	s_delay_alu instid0(SALU_CYCLE_1)
	s_and_b32 s3, s9, 0xffffffe0
	s_ashr_i32 s10, s9, 5
	s_sub_i32 s3, s2, s3
	s_mul_i32 s10, s10, 3
	s_cmp_lt_i32 s3, 21
	s_cbranch_scc1 .LBB13_604
; %bb.601:
	s_cmp_eq_u32 s3, 21
	s_cbranch_scc0 .LBB13_605
; %bb.602:
	s_add_i32 s2, s10, 1
	s_mov_b32 s11, 0
	s_mov_b32 s9, 5
	s_branch .LBB13_606
.LBB13_603:
	v_mov_b32_e32 v27, 0
	s_waitcnt vmcnt(0)
	s_delay_alu instid0(VALU_DEP_1) | instskip(NEXT) | instid1(VALU_DEP_1)
	v_lshrrev_b64 v[24:25], s9, v[26:27]
	v_and_b32_e32 v24, 7, v24
	s_cbranch_execz .LBB13_599
	s_branch .LBB13_600
.LBB13_604:
	s_mov_b32 s11, 0
                                        ; implicit-def: $sgpr9
                                        ; implicit-def: $sgpr2
	s_cbranch_execnz .LBB13_607
	s_branch .LBB13_608
.LBB13_605:
	s_mov_b32 s11, -1
                                        ; implicit-def: $sgpr9
                                        ; implicit-def: $sgpr2
.LBB13_606:
	s_branch .LBB13_608
.LBB13_607:
	s_cmp_lg_u32 s3, 10
	s_mov_b32 s9, 5
	s_cselect_b32 s11, -1, 0
	s_mov_b32 s2, s10
.LBB13_608:
	s_and_not1_b32 vcc_lo, exec_lo, s11
	s_cbranch_vccnz .LBB13_615
; %bb.609:
	s_cmp_gt_i32 s3, 21
	s_mul_i32 s11, s3, 3
	s_cbranch_scc1 .LBB13_613
; %bb.610:
	s_cmp_lt_i32 s3, 11
	s_mov_b32 s9, s11
	s_mov_b32 s2, s10
	s_cbranch_scc1 .LBB13_612
; %bb.611:
	s_sub_i32 s9, s11, 32
	s_add_i32 s2, s10, 1
.LBB13_612:
	s_cbranch_execz .LBB13_614
	s_branch .LBB13_615
.LBB13_613:
                                        ; implicit-def: $sgpr9
                                        ; implicit-def: $sgpr2
.LBB13_614:
	s_sub_i32 s9, s11, 64
	s_add_i32 s2, s10, 2
.LBB13_615:
	s_waitcnt vmcnt(0)
	v_mad_u64_u32 v[25:26], null, s2, s8, v[0:1]
	v_mov_b32_e32 v26, 0
	s_cmp_lt_i32 s3, 21
	s_mov_b32 s10, 0
	s_delay_alu instid0(VALU_DEP_1) | instskip(NEXT) | instid1(VALU_DEP_1)
	v_lshlrev_b64 v[25:26], 2, v[25:26]
	v_add_co_u32 v25, vcc_lo, s4, v25
	s_delay_alu instid0(VALU_DEP_2)
	v_add_co_ci_u32_e32 v26, vcc_lo, s5, v26, vcc_lo
	global_load_b32 v27, v[25:26], off
	s_cbranch_scc1 .LBB13_618
; %bb.616:
	s_cmp_eq_u32 s3, 21
	s_cbranch_scc0 .LBB13_619
; %bb.617:
	s_add_i32 s11, s2, 1
	s_delay_alu instid0(SALU_CYCLE_1) | instskip(SKIP_2) | instid1(VALU_DEP_1)
	v_mad_u64_u32 v[25:26], null, s11, s8, v[0:1]
	v_mov_b32_e32 v26, 0
	s_mov_b32 s11, 0
	v_lshlrev_b64 v[25:26], 2, v[25:26]
	s_delay_alu instid0(VALU_DEP_1) | instskip(NEXT) | instid1(VALU_DEP_2)
	v_add_co_u32 v25, vcc_lo, s4, v25
	v_add_co_ci_u32_e32 v26, vcc_lo, s5, v26, vcc_lo
	global_load_b32 v25, v[25:26], off
	s_waitcnt vmcnt(0)
	v_alignbit_b32 v25, v25, v27, 31
	s_delay_alu instid0(VALU_DEP_1)
	v_and_b32_e32 v25, 7, v25
	s_branch .LBB13_620
.LBB13_618:
	s_mov_b32 s11, 0
                                        ; implicit-def: $vgpr25_vgpr26
	s_cbranch_execnz .LBB13_621
	s_branch .LBB13_622
.LBB13_619:
	s_mov_b32 s11, -1
                                        ; implicit-def: $vgpr25_vgpr26
.LBB13_620:
	s_branch .LBB13_622
.LBB13_621:
	s_cmp_lg_u32 s3, 10
	s_mov_b32 s10, -1
	s_cselect_b32 s11, -1, 0
                                        ; implicit-def: $vgpr25_vgpr26
.LBB13_622:
	s_delay_alu instid0(SALU_CYCLE_1)
	s_and_not1_b32 vcc_lo, exec_lo, s11
	s_cbranch_vccz .LBB13_628
; %bb.623:
	s_and_not1_b32 vcc_lo, exec_lo, s10
	s_cbranch_vccnz .LBB13_625
.LBB13_624:
	s_add_i32 s2, s2, 1
	s_delay_alu instid0(SALU_CYCLE_1) | instskip(SKIP_1) | instid1(VALU_DEP_1)
	v_mad_u64_u32 v[25:26], null, s2, s8, v[0:1]
	v_mov_b32_e32 v26, 0
	v_lshlrev_b64 v[25:26], 2, v[25:26]
	s_delay_alu instid0(VALU_DEP_1) | instskip(NEXT) | instid1(VALU_DEP_2)
	v_add_co_u32 v25, vcc_lo, s4, v25
	v_add_co_ci_u32_e32 v26, vcc_lo, s5, v26, vcc_lo
	global_load_b32 v25, v[25:26], off
	s_waitcnt vmcnt(0)
	v_alignbit_b32 v25, v25, v27, 30
	s_delay_alu instid0(VALU_DEP_1)
	v_and_b32_e32 v25, 7, v25
.LBB13_625:
	s_load_b32 s2, s[0:1], 0x64
	s_waitcnt lgkmcnt(0)
	s_ashr_i32 s3, s2, 31
	s_delay_alu instid0(SALU_CYCLE_1) | instskip(NEXT) | instid1(SALU_CYCLE_1)
	s_lshr_b32 s3, s3, 27
	s_add_i32 s9, s2, s3
	s_delay_alu instid0(SALU_CYCLE_1)
	s_and_b32 s3, s9, 0xffffffe0
	s_ashr_i32 s10, s9, 5
	s_sub_i32 s3, s2, s3
	s_mul_i32 s10, s10, 3
	s_cmp_lt_i32 s3, 21
	s_cbranch_scc1 .LBB13_629
; %bb.626:
	s_cmp_eq_u32 s3, 21
	s_cbranch_scc0 .LBB13_630
; %bb.627:
	s_add_i32 s2, s10, 1
	s_mov_b32 s11, 0
	s_mov_b32 s9, 8
	s_branch .LBB13_631
.LBB13_628:
	v_mov_b32_e32 v28, 0
	s_waitcnt vmcnt(0)
	s_delay_alu instid0(VALU_DEP_1) | instskip(NEXT) | instid1(VALU_DEP_1)
	v_lshrrev_b64 v[25:26], s9, v[27:28]
	v_and_b32_e32 v25, 7, v25
	s_cbranch_execz .LBB13_624
	s_branch .LBB13_625
.LBB13_629:
	s_mov_b32 s11, 0
                                        ; implicit-def: $sgpr9
                                        ; implicit-def: $sgpr2
	s_cbranch_execnz .LBB13_632
	s_branch .LBB13_633
.LBB13_630:
	s_mov_b32 s11, -1
                                        ; implicit-def: $sgpr9
                                        ; implicit-def: $sgpr2
.LBB13_631:
	s_branch .LBB13_633
.LBB13_632:
	s_cmp_lg_u32 s3, 10
	s_mov_b32 s9, 8
	s_cselect_b32 s11, -1, 0
	s_mov_b32 s2, s10
.LBB13_633:
	s_and_not1_b32 vcc_lo, exec_lo, s11
	s_cbranch_vccnz .LBB13_640
; %bb.634:
	s_cmp_gt_i32 s3, 21
	s_mul_i32 s11, s3, 3
	s_cbranch_scc1 .LBB13_638
; %bb.635:
	s_cmp_lt_i32 s3, 11
	s_mov_b32 s9, s11
	s_mov_b32 s2, s10
	s_cbranch_scc1 .LBB13_637
; %bb.636:
	s_sub_i32 s9, s11, 32
	s_add_i32 s2, s10, 1
.LBB13_637:
	s_cbranch_execz .LBB13_639
	s_branch .LBB13_640
.LBB13_638:
                                        ; implicit-def: $sgpr9
                                        ; implicit-def: $sgpr2
.LBB13_639:
	s_sub_i32 s9, s11, 64
	s_add_i32 s2, s10, 2
.LBB13_640:
	s_waitcnt vmcnt(0)
	v_mad_u64_u32 v[26:27], null, s2, s8, v[0:1]
	v_mov_b32_e32 v27, 0
	s_cmp_lt_i32 s3, 21
	s_mov_b32 s10, 0
	s_delay_alu instid0(VALU_DEP_1) | instskip(NEXT) | instid1(VALU_DEP_1)
	v_lshlrev_b64 v[26:27], 2, v[26:27]
	v_add_co_u32 v26, vcc_lo, s4, v26
	s_delay_alu instid0(VALU_DEP_2)
	v_add_co_ci_u32_e32 v27, vcc_lo, s5, v27, vcc_lo
	global_load_b32 v28, v[26:27], off
	s_cbranch_scc1 .LBB13_643
; %bb.641:
	s_cmp_eq_u32 s3, 21
	s_cbranch_scc0 .LBB13_644
; %bb.642:
	s_add_i32 s11, s2, 1
	s_delay_alu instid0(SALU_CYCLE_1) | instskip(SKIP_2) | instid1(VALU_DEP_1)
	v_mad_u64_u32 v[26:27], null, s11, s8, v[0:1]
	v_mov_b32_e32 v27, 0
	s_mov_b32 s11, 0
	v_lshlrev_b64 v[26:27], 2, v[26:27]
	s_delay_alu instid0(VALU_DEP_1) | instskip(NEXT) | instid1(VALU_DEP_2)
	v_add_co_u32 v26, vcc_lo, s4, v26
	v_add_co_ci_u32_e32 v27, vcc_lo, s5, v27, vcc_lo
	global_load_b32 v26, v[26:27], off
	s_waitcnt vmcnt(0)
	v_alignbit_b32 v26, v26, v28, 31
	s_delay_alu instid0(VALU_DEP_1)
	v_and_b32_e32 v26, 7, v26
	s_branch .LBB13_645
.LBB13_643:
	s_mov_b32 s11, 0
                                        ; implicit-def: $vgpr26_vgpr27
	s_cbranch_execnz .LBB13_646
	s_branch .LBB13_647
.LBB13_644:
	s_mov_b32 s11, -1
                                        ; implicit-def: $vgpr26_vgpr27
.LBB13_645:
	s_branch .LBB13_647
.LBB13_646:
	s_cmp_lg_u32 s3, 10
	s_mov_b32 s10, -1
	s_cselect_b32 s11, -1, 0
                                        ; implicit-def: $vgpr26_vgpr27
.LBB13_647:
	s_delay_alu instid0(SALU_CYCLE_1)
	s_and_not1_b32 vcc_lo, exec_lo, s11
	s_cbranch_vccz .LBB13_653
; %bb.648:
	s_and_not1_b32 vcc_lo, exec_lo, s10
	s_cbranch_vccnz .LBB13_650
.LBB13_649:
	s_add_i32 s2, s2, 1
	s_delay_alu instid0(SALU_CYCLE_1) | instskip(SKIP_1) | instid1(VALU_DEP_1)
	v_mad_u64_u32 v[26:27], null, s2, s8, v[0:1]
	v_mov_b32_e32 v27, 0
	v_lshlrev_b64 v[26:27], 2, v[26:27]
	s_delay_alu instid0(VALU_DEP_1) | instskip(NEXT) | instid1(VALU_DEP_2)
	v_add_co_u32 v26, vcc_lo, s4, v26
	v_add_co_ci_u32_e32 v27, vcc_lo, s5, v27, vcc_lo
	global_load_b32 v26, v[26:27], off
	s_waitcnt vmcnt(0)
	v_alignbit_b32 v26, v26, v28, 30
	s_delay_alu instid0(VALU_DEP_1)
	v_and_b32_e32 v26, 7, v26
.LBB13_650:
	s_load_b32 s2, s[0:1], 0x68
	s_waitcnt lgkmcnt(0)
	s_ashr_i32 s3, s2, 31
	s_delay_alu instid0(SALU_CYCLE_1) | instskip(NEXT) | instid1(SALU_CYCLE_1)
	s_lshr_b32 s3, s3, 27
	s_add_i32 s9, s2, s3
	s_delay_alu instid0(SALU_CYCLE_1)
	s_and_b32 s3, s9, 0xffffffe0
	s_ashr_i32 s10, s9, 5
	s_sub_i32 s3, s2, s3
	s_mul_i32 s10, s10, 3
	s_cmp_lt_i32 s3, 21
	s_cbranch_scc1 .LBB13_654
; %bb.651:
	s_cmp_eq_u32 s3, 21
	s_cbranch_scc0 .LBB13_655
; %bb.652:
	s_add_i32 s2, s10, 1
	s_mov_b32 s11, 0
	s_mov_b32 s9, 11
	s_branch .LBB13_656
.LBB13_653:
	v_mov_b32_e32 v29, 0
	s_waitcnt vmcnt(0)
	s_delay_alu instid0(VALU_DEP_1) | instskip(NEXT) | instid1(VALU_DEP_1)
	v_lshrrev_b64 v[26:27], s9, v[28:29]
	v_and_b32_e32 v26, 7, v26
	s_cbranch_execz .LBB13_649
	s_branch .LBB13_650
.LBB13_654:
	s_mov_b32 s11, 0
                                        ; implicit-def: $sgpr9
                                        ; implicit-def: $sgpr2
	s_cbranch_execnz .LBB13_657
	s_branch .LBB13_658
.LBB13_655:
	s_mov_b32 s11, -1
                                        ; implicit-def: $sgpr9
                                        ; implicit-def: $sgpr2
.LBB13_656:
	s_branch .LBB13_658
.LBB13_657:
	s_cmp_lg_u32 s3, 10
	s_mov_b32 s9, 11
	s_cselect_b32 s11, -1, 0
	s_mov_b32 s2, s10
.LBB13_658:
	s_and_not1_b32 vcc_lo, exec_lo, s11
	s_cbranch_vccnz .LBB13_665
; %bb.659:
	s_cmp_gt_i32 s3, 21
	s_mul_i32 s11, s3, 3
	s_cbranch_scc1 .LBB13_663
; %bb.660:
	s_cmp_lt_i32 s3, 11
	s_mov_b32 s9, s11
	s_mov_b32 s2, s10
	s_cbranch_scc1 .LBB13_662
; %bb.661:
	s_sub_i32 s9, s11, 32
	s_add_i32 s2, s10, 1
.LBB13_662:
	s_cbranch_execz .LBB13_664
	s_branch .LBB13_665
.LBB13_663:
                                        ; implicit-def: $sgpr9
                                        ; implicit-def: $sgpr2
.LBB13_664:
	s_sub_i32 s9, s11, 64
	s_add_i32 s2, s10, 2
.LBB13_665:
	s_waitcnt vmcnt(0)
	v_mad_u64_u32 v[27:28], null, s2, s8, v[0:1]
	v_mov_b32_e32 v28, 0
	s_cmp_lt_i32 s3, 21
	s_mov_b32 s10, 0
	s_delay_alu instid0(VALU_DEP_1) | instskip(NEXT) | instid1(VALU_DEP_1)
	v_lshlrev_b64 v[27:28], 2, v[27:28]
	v_add_co_u32 v27, vcc_lo, s4, v27
	s_delay_alu instid0(VALU_DEP_2)
	v_add_co_ci_u32_e32 v28, vcc_lo, s5, v28, vcc_lo
	global_load_b32 v29, v[27:28], off
	s_cbranch_scc1 .LBB13_668
; %bb.666:
	s_cmp_eq_u32 s3, 21
	s_cbranch_scc0 .LBB13_669
; %bb.667:
	s_add_i32 s11, s2, 1
	s_delay_alu instid0(SALU_CYCLE_1) | instskip(SKIP_2) | instid1(VALU_DEP_1)
	v_mad_u64_u32 v[27:28], null, s11, s8, v[0:1]
	v_mov_b32_e32 v28, 0
	s_mov_b32 s11, 0
	v_lshlrev_b64 v[27:28], 2, v[27:28]
	s_delay_alu instid0(VALU_DEP_1) | instskip(NEXT) | instid1(VALU_DEP_2)
	v_add_co_u32 v27, vcc_lo, s4, v27
	v_add_co_ci_u32_e32 v28, vcc_lo, s5, v28, vcc_lo
	global_load_b32 v27, v[27:28], off
	s_waitcnt vmcnt(0)
	v_alignbit_b32 v27, v27, v29, 31
	s_delay_alu instid0(VALU_DEP_1)
	v_and_b32_e32 v27, 7, v27
	s_branch .LBB13_670
.LBB13_668:
	s_mov_b32 s11, 0
                                        ; implicit-def: $vgpr27_vgpr28
	s_cbranch_execnz .LBB13_671
	s_branch .LBB13_672
.LBB13_669:
	s_mov_b32 s11, -1
                                        ; implicit-def: $vgpr27_vgpr28
.LBB13_670:
	s_branch .LBB13_672
.LBB13_671:
	s_cmp_lg_u32 s3, 10
	s_mov_b32 s10, -1
	s_cselect_b32 s11, -1, 0
                                        ; implicit-def: $vgpr27_vgpr28
.LBB13_672:
	s_delay_alu instid0(SALU_CYCLE_1)
	s_and_not1_b32 vcc_lo, exec_lo, s11
	s_cbranch_vccz .LBB13_678
; %bb.673:
	s_and_not1_b32 vcc_lo, exec_lo, s10
	s_cbranch_vccnz .LBB13_675
.LBB13_674:
	s_add_i32 s2, s2, 1
	s_delay_alu instid0(SALU_CYCLE_1) | instskip(SKIP_1) | instid1(VALU_DEP_1)
	v_mad_u64_u32 v[27:28], null, s2, s8, v[0:1]
	v_mov_b32_e32 v28, 0
	v_lshlrev_b64 v[27:28], 2, v[27:28]
	s_delay_alu instid0(VALU_DEP_1) | instskip(NEXT) | instid1(VALU_DEP_2)
	v_add_co_u32 v27, vcc_lo, s4, v27
	v_add_co_ci_u32_e32 v28, vcc_lo, s5, v28, vcc_lo
	global_load_b32 v27, v[27:28], off
	s_waitcnt vmcnt(0)
	v_alignbit_b32 v27, v27, v29, 30
	s_delay_alu instid0(VALU_DEP_1)
	v_and_b32_e32 v27, 7, v27
.LBB13_675:
	s_load_b32 s2, s[0:1], 0x6c
	s_waitcnt lgkmcnt(0)
	s_ashr_i32 s3, s2, 31
	s_delay_alu instid0(SALU_CYCLE_1) | instskip(NEXT) | instid1(SALU_CYCLE_1)
	s_lshr_b32 s3, s3, 27
	s_add_i32 s9, s2, s3
	s_delay_alu instid0(SALU_CYCLE_1)
	s_and_b32 s3, s9, 0xffffffe0
	s_ashr_i32 s10, s9, 5
	s_sub_i32 s3, s2, s3
	s_mul_i32 s10, s10, 3
	s_cmp_lt_i32 s3, 21
	s_cbranch_scc1 .LBB13_679
; %bb.676:
	s_cmp_eq_u32 s3, 21
	s_cbranch_scc0 .LBB13_680
; %bb.677:
	s_add_i32 s2, s10, 1
	s_mov_b32 s11, 0
	s_mov_b32 s9, 14
	s_branch .LBB13_681
.LBB13_678:
	v_mov_b32_e32 v30, 0
	s_waitcnt vmcnt(0)
	s_delay_alu instid0(VALU_DEP_1) | instskip(NEXT) | instid1(VALU_DEP_1)
	v_lshrrev_b64 v[27:28], s9, v[29:30]
	v_and_b32_e32 v27, 7, v27
	s_cbranch_execz .LBB13_674
	s_branch .LBB13_675
.LBB13_679:
	s_mov_b32 s11, 0
                                        ; implicit-def: $sgpr9
                                        ; implicit-def: $sgpr2
	s_cbranch_execnz .LBB13_682
	s_branch .LBB13_683
.LBB13_680:
	s_mov_b32 s11, -1
                                        ; implicit-def: $sgpr9
                                        ; implicit-def: $sgpr2
.LBB13_681:
	s_branch .LBB13_683
.LBB13_682:
	s_cmp_lg_u32 s3, 10
	s_mov_b32 s9, 14
	s_cselect_b32 s11, -1, 0
	s_mov_b32 s2, s10
.LBB13_683:
	s_and_not1_b32 vcc_lo, exec_lo, s11
	s_cbranch_vccnz .LBB13_690
; %bb.684:
	s_cmp_gt_i32 s3, 21
	s_mul_i32 s11, s3, 3
	s_cbranch_scc1 .LBB13_688
; %bb.685:
	s_cmp_lt_i32 s3, 11
	s_mov_b32 s9, s11
	s_mov_b32 s2, s10
	s_cbranch_scc1 .LBB13_687
; %bb.686:
	s_sub_i32 s9, s11, 32
	s_add_i32 s2, s10, 1
.LBB13_687:
	s_cbranch_execz .LBB13_689
	s_branch .LBB13_690
.LBB13_688:
                                        ; implicit-def: $sgpr9
                                        ; implicit-def: $sgpr2
.LBB13_689:
	s_sub_i32 s9, s11, 64
	s_add_i32 s2, s10, 2
.LBB13_690:
	s_waitcnt vmcnt(0)
	v_mad_u64_u32 v[28:29], null, s2, s8, v[0:1]
	v_mov_b32_e32 v29, 0
	s_cmp_lt_i32 s3, 21
	s_mov_b32 s10, 0
	s_delay_alu instid0(VALU_DEP_1) | instskip(NEXT) | instid1(VALU_DEP_1)
	v_lshlrev_b64 v[28:29], 2, v[28:29]
	v_add_co_u32 v28, vcc_lo, s4, v28
	s_delay_alu instid0(VALU_DEP_2)
	v_add_co_ci_u32_e32 v29, vcc_lo, s5, v29, vcc_lo
	global_load_b32 v30, v[28:29], off
	s_cbranch_scc1 .LBB13_693
; %bb.691:
	s_cmp_eq_u32 s3, 21
	s_cbranch_scc0 .LBB13_694
; %bb.692:
	s_add_i32 s11, s2, 1
	s_delay_alu instid0(SALU_CYCLE_1) | instskip(SKIP_2) | instid1(VALU_DEP_1)
	v_mad_u64_u32 v[28:29], null, s11, s8, v[0:1]
	v_mov_b32_e32 v29, 0
	s_mov_b32 s11, 0
	v_lshlrev_b64 v[28:29], 2, v[28:29]
	s_delay_alu instid0(VALU_DEP_1) | instskip(NEXT) | instid1(VALU_DEP_2)
	v_add_co_u32 v28, vcc_lo, s4, v28
	v_add_co_ci_u32_e32 v29, vcc_lo, s5, v29, vcc_lo
	global_load_b32 v28, v[28:29], off
	s_waitcnt vmcnt(0)
	v_alignbit_b32 v28, v28, v30, 31
	s_delay_alu instid0(VALU_DEP_1)
	v_and_b32_e32 v28, 7, v28
	s_branch .LBB13_695
.LBB13_693:
	s_mov_b32 s11, 0
                                        ; implicit-def: $vgpr28_vgpr29
	s_cbranch_execnz .LBB13_696
	s_branch .LBB13_697
.LBB13_694:
	s_mov_b32 s11, -1
                                        ; implicit-def: $vgpr28_vgpr29
.LBB13_695:
	s_branch .LBB13_697
.LBB13_696:
	s_cmp_lg_u32 s3, 10
	s_mov_b32 s10, -1
	s_cselect_b32 s11, -1, 0
                                        ; implicit-def: $vgpr28_vgpr29
.LBB13_697:
	s_delay_alu instid0(SALU_CYCLE_1)
	s_and_not1_b32 vcc_lo, exec_lo, s11
	s_cbranch_vccz .LBB13_703
; %bb.698:
	s_and_not1_b32 vcc_lo, exec_lo, s10
	s_cbranch_vccnz .LBB13_700
.LBB13_699:
	s_add_i32 s2, s2, 1
	s_delay_alu instid0(SALU_CYCLE_1) | instskip(SKIP_1) | instid1(VALU_DEP_1)
	v_mad_u64_u32 v[28:29], null, s2, s8, v[0:1]
	v_mov_b32_e32 v29, 0
	v_lshlrev_b64 v[28:29], 2, v[28:29]
	s_delay_alu instid0(VALU_DEP_1) | instskip(NEXT) | instid1(VALU_DEP_2)
	v_add_co_u32 v28, vcc_lo, s4, v28
	v_add_co_ci_u32_e32 v29, vcc_lo, s5, v29, vcc_lo
	global_load_b32 v28, v[28:29], off
	s_waitcnt vmcnt(0)
	v_alignbit_b32 v28, v28, v30, 30
	s_delay_alu instid0(VALU_DEP_1)
	v_and_b32_e32 v28, 7, v28
.LBB13_700:
	s_load_b32 s2, s[0:1], 0x70
	s_waitcnt lgkmcnt(0)
	s_ashr_i32 s3, s2, 31
	s_delay_alu instid0(SALU_CYCLE_1) | instskip(NEXT) | instid1(SALU_CYCLE_1)
	s_lshr_b32 s3, s3, 27
	s_add_i32 s9, s2, s3
	s_delay_alu instid0(SALU_CYCLE_1)
	s_and_b32 s3, s9, 0xffffffe0
	s_ashr_i32 s10, s9, 5
	s_sub_i32 s3, s2, s3
	s_mul_i32 s10, s10, 3
	s_cmp_lt_i32 s3, 21
	s_cbranch_scc1 .LBB13_704
; %bb.701:
	s_cmp_eq_u32 s3, 21
	s_cbranch_scc0 .LBB13_705
; %bb.702:
	s_add_i32 s2, s10, 1
	s_mov_b32 s11, 0
	s_mov_b32 s9, 17
	s_branch .LBB13_706
.LBB13_703:
	v_mov_b32_e32 v31, 0
	s_waitcnt vmcnt(0)
	s_delay_alu instid0(VALU_DEP_1) | instskip(NEXT) | instid1(VALU_DEP_1)
	v_lshrrev_b64 v[28:29], s9, v[30:31]
	v_and_b32_e32 v28, 7, v28
	s_cbranch_execz .LBB13_699
	s_branch .LBB13_700
.LBB13_704:
	s_mov_b32 s11, 0
                                        ; implicit-def: $sgpr9
                                        ; implicit-def: $sgpr2
	s_cbranch_execnz .LBB13_707
	s_branch .LBB13_708
.LBB13_705:
	s_mov_b32 s11, -1
                                        ; implicit-def: $sgpr9
                                        ; implicit-def: $sgpr2
.LBB13_706:
	s_branch .LBB13_708
.LBB13_707:
	s_cmp_lg_u32 s3, 10
	s_mov_b32 s9, 17
	s_cselect_b32 s11, -1, 0
	s_mov_b32 s2, s10
.LBB13_708:
	s_and_not1_b32 vcc_lo, exec_lo, s11
	s_cbranch_vccnz .LBB13_715
; %bb.709:
	s_cmp_gt_i32 s3, 21
	s_mul_i32 s11, s3, 3
	s_cbranch_scc1 .LBB13_713
; %bb.710:
	s_cmp_lt_i32 s3, 11
	s_mov_b32 s9, s11
	s_mov_b32 s2, s10
	s_cbranch_scc1 .LBB13_712
; %bb.711:
	s_sub_i32 s9, s11, 32
	s_add_i32 s2, s10, 1
.LBB13_712:
	s_cbranch_execz .LBB13_714
	s_branch .LBB13_715
.LBB13_713:
                                        ; implicit-def: $sgpr9
                                        ; implicit-def: $sgpr2
.LBB13_714:
	s_sub_i32 s9, s11, 64
	s_add_i32 s2, s10, 2
.LBB13_715:
	s_waitcnt vmcnt(0)
	v_mad_u64_u32 v[29:30], null, s2, s8, v[0:1]
	v_mov_b32_e32 v30, 0
	s_cmp_lt_i32 s3, 21
	s_mov_b32 s10, 0
	s_delay_alu instid0(VALU_DEP_1) | instskip(NEXT) | instid1(VALU_DEP_1)
	v_lshlrev_b64 v[29:30], 2, v[29:30]
	v_add_co_u32 v29, vcc_lo, s4, v29
	s_delay_alu instid0(VALU_DEP_2)
	v_add_co_ci_u32_e32 v30, vcc_lo, s5, v30, vcc_lo
	global_load_b32 v31, v[29:30], off
	s_cbranch_scc1 .LBB13_718
; %bb.716:
	s_cmp_eq_u32 s3, 21
	s_cbranch_scc0 .LBB13_719
; %bb.717:
	s_add_i32 s11, s2, 1
	s_delay_alu instid0(SALU_CYCLE_1) | instskip(SKIP_2) | instid1(VALU_DEP_1)
	v_mad_u64_u32 v[29:30], null, s11, s8, v[0:1]
	v_mov_b32_e32 v30, 0
	s_mov_b32 s11, 0
	v_lshlrev_b64 v[29:30], 2, v[29:30]
	s_delay_alu instid0(VALU_DEP_1) | instskip(NEXT) | instid1(VALU_DEP_2)
	v_add_co_u32 v29, vcc_lo, s4, v29
	v_add_co_ci_u32_e32 v30, vcc_lo, s5, v30, vcc_lo
	global_load_b32 v29, v[29:30], off
	s_waitcnt vmcnt(0)
	v_alignbit_b32 v29, v29, v31, 31
	s_delay_alu instid0(VALU_DEP_1)
	v_and_b32_e32 v29, 7, v29
	s_branch .LBB13_720
.LBB13_718:
	s_mov_b32 s11, 0
                                        ; implicit-def: $vgpr29_vgpr30
	s_cbranch_execnz .LBB13_721
	s_branch .LBB13_722
.LBB13_719:
	s_mov_b32 s11, -1
                                        ; implicit-def: $vgpr29_vgpr30
.LBB13_720:
	s_branch .LBB13_722
.LBB13_721:
	s_cmp_lg_u32 s3, 10
	s_mov_b32 s10, -1
	s_cselect_b32 s11, -1, 0
                                        ; implicit-def: $vgpr29_vgpr30
.LBB13_722:
	s_delay_alu instid0(SALU_CYCLE_1)
	s_and_not1_b32 vcc_lo, exec_lo, s11
	s_cbranch_vccz .LBB13_728
; %bb.723:
	s_and_not1_b32 vcc_lo, exec_lo, s10
	s_cbranch_vccnz .LBB13_725
.LBB13_724:
	s_add_i32 s2, s2, 1
	s_delay_alu instid0(SALU_CYCLE_1) | instskip(SKIP_1) | instid1(VALU_DEP_1)
	v_mad_u64_u32 v[29:30], null, s2, s8, v[0:1]
	v_mov_b32_e32 v30, 0
	v_lshlrev_b64 v[29:30], 2, v[29:30]
	s_delay_alu instid0(VALU_DEP_1) | instskip(NEXT) | instid1(VALU_DEP_2)
	v_add_co_u32 v29, vcc_lo, s4, v29
	v_add_co_ci_u32_e32 v30, vcc_lo, s5, v30, vcc_lo
	global_load_b32 v29, v[29:30], off
	s_waitcnt vmcnt(0)
	v_alignbit_b32 v29, v29, v31, 30
	s_delay_alu instid0(VALU_DEP_1)
	v_and_b32_e32 v29, 7, v29
.LBB13_725:
	s_load_b32 s2, s[0:1], 0x74
	s_waitcnt lgkmcnt(0)
	s_ashr_i32 s3, s2, 31
	s_delay_alu instid0(SALU_CYCLE_1) | instskip(NEXT) | instid1(SALU_CYCLE_1)
	s_lshr_b32 s3, s3, 27
	s_add_i32 s9, s2, s3
	s_delay_alu instid0(SALU_CYCLE_1)
	s_and_b32 s3, s9, 0xffffffe0
	s_ashr_i32 s10, s9, 5
	s_sub_i32 s3, s2, s3
	s_mul_i32 s10, s10, 3
	s_cmp_lt_i32 s3, 21
	s_cbranch_scc1 .LBB13_729
; %bb.726:
	s_cmp_eq_u32 s3, 21
	s_cbranch_scc0 .LBB13_730
; %bb.727:
	s_add_i32 s2, s10, 1
	s_mov_b32 s11, 0
	s_mov_b32 s9, 20
	s_branch .LBB13_731
.LBB13_728:
	v_mov_b32_e32 v32, 0
	s_waitcnt vmcnt(0)
	s_delay_alu instid0(VALU_DEP_1) | instskip(NEXT) | instid1(VALU_DEP_1)
	v_lshrrev_b64 v[29:30], s9, v[31:32]
	v_and_b32_e32 v29, 7, v29
	s_cbranch_execz .LBB13_724
	s_branch .LBB13_725
.LBB13_729:
	s_mov_b32 s11, 0
                                        ; implicit-def: $sgpr9
                                        ; implicit-def: $sgpr2
	s_cbranch_execnz .LBB13_732
	s_branch .LBB13_733
.LBB13_730:
	s_mov_b32 s11, -1
                                        ; implicit-def: $sgpr9
                                        ; implicit-def: $sgpr2
.LBB13_731:
	s_branch .LBB13_733
.LBB13_732:
	s_cmp_lg_u32 s3, 10
	s_mov_b32 s9, 20
	s_cselect_b32 s11, -1, 0
	s_mov_b32 s2, s10
.LBB13_733:
	s_and_not1_b32 vcc_lo, exec_lo, s11
	s_cbranch_vccnz .LBB13_740
; %bb.734:
	s_cmp_gt_i32 s3, 21
	s_mul_i32 s11, s3, 3
	s_cbranch_scc1 .LBB13_738
; %bb.735:
	s_cmp_lt_i32 s3, 11
	s_mov_b32 s9, s11
	s_mov_b32 s2, s10
	s_cbranch_scc1 .LBB13_737
; %bb.736:
	s_sub_i32 s9, s11, 32
	s_add_i32 s2, s10, 1
.LBB13_737:
	s_cbranch_execz .LBB13_739
	s_branch .LBB13_740
.LBB13_738:
                                        ; implicit-def: $sgpr9
                                        ; implicit-def: $sgpr2
.LBB13_739:
	s_sub_i32 s9, s11, 64
	s_add_i32 s2, s10, 2
.LBB13_740:
	s_waitcnt vmcnt(0)
	v_mad_u64_u32 v[30:31], null, s2, s8, v[0:1]
	v_mov_b32_e32 v31, 0
	s_cmp_lt_i32 s3, 21
	s_mov_b32 s10, 0
	s_delay_alu instid0(VALU_DEP_1) | instskip(NEXT) | instid1(VALU_DEP_1)
	v_lshlrev_b64 v[30:31], 2, v[30:31]
	v_add_co_u32 v30, vcc_lo, s4, v30
	s_delay_alu instid0(VALU_DEP_2)
	v_add_co_ci_u32_e32 v31, vcc_lo, s5, v31, vcc_lo
	global_load_b32 v30, v[30:31], off
	s_cbranch_scc1 .LBB13_743
; %bb.741:
	s_cmp_eq_u32 s3, 21
	s_cbranch_scc0 .LBB13_744
; %bb.742:
	s_add_i32 s11, s2, 1
	s_delay_alu instid0(SALU_CYCLE_1) | instskip(SKIP_2) | instid1(VALU_DEP_1)
	v_mad_u64_u32 v[31:32], null, s11, s8, v[0:1]
	v_mov_b32_e32 v32, 0
	s_mov_b32 s11, 0
	v_lshlrev_b64 v[31:32], 2, v[31:32]
	s_delay_alu instid0(VALU_DEP_1) | instskip(NEXT) | instid1(VALU_DEP_2)
	v_add_co_u32 v31, vcc_lo, s4, v31
	v_add_co_ci_u32_e32 v32, vcc_lo, s5, v32, vcc_lo
	global_load_b32 v31, v[31:32], off
	s_waitcnt vmcnt(0)
	v_alignbit_b32 v31, v31, v30, 31
	s_delay_alu instid0(VALU_DEP_1)
	v_and_b32_e32 v33, 7, v31
	s_branch .LBB13_745
.LBB13_743:
	s_mov_b32 s11, 0
                                        ; implicit-def: $vgpr33
	s_cbranch_execnz .LBB13_746
	s_branch .LBB13_747
.LBB13_744:
	s_mov_b32 s11, -1
                                        ; implicit-def: $vgpr33
.LBB13_745:
	s_branch .LBB13_747
.LBB13_746:
	s_cmp_lg_u32 s3, 10
	s_mov_b32 s10, -1
	s_cselect_b32 s11, -1, 0
                                        ; implicit-def: $vgpr33
.LBB13_747:
	s_delay_alu instid0(SALU_CYCLE_1)
	s_and_not1_b32 vcc_lo, exec_lo, s11
	s_cbranch_vccz .LBB13_753
; %bb.748:
	s_and_not1_b32 vcc_lo, exec_lo, s10
	s_cbranch_vccnz .LBB13_750
.LBB13_749:
	s_add_i32 s2, s2, 1
	s_delay_alu instid0(SALU_CYCLE_1) | instskip(SKIP_1) | instid1(VALU_DEP_1)
	v_mad_u64_u32 v[31:32], null, s2, s8, v[0:1]
	v_mov_b32_e32 v32, 0
	v_lshlrev_b64 v[31:32], 2, v[31:32]
	s_delay_alu instid0(VALU_DEP_1) | instskip(NEXT) | instid1(VALU_DEP_2)
	v_add_co_u32 v31, vcc_lo, s4, v31
	v_add_co_ci_u32_e32 v32, vcc_lo, s5, v32, vcc_lo
	global_load_b32 v31, v[31:32], off
	s_waitcnt vmcnt(0)
	v_alignbit_b32 v30, v31, v30, 30
	s_delay_alu instid0(VALU_DEP_1)
	v_and_b32_e32 v33, 7, v30
.LBB13_750:
	s_load_b32 s2, s[0:1], 0x78
	s_waitcnt lgkmcnt(0)
	s_ashr_i32 s3, s2, 31
	s_delay_alu instid0(SALU_CYCLE_1) | instskip(NEXT) | instid1(SALU_CYCLE_1)
	s_lshr_b32 s3, s3, 27
	s_add_i32 s9, s2, s3
	s_delay_alu instid0(SALU_CYCLE_1)
	s_and_b32 s3, s9, 0xffffffe0
	s_ashr_i32 s10, s9, 5
	s_sub_i32 s3, s2, s3
	s_mul_i32 s10, s10, 3
	s_cmp_lt_i32 s3, 21
	s_cbranch_scc1 .LBB13_754
; %bb.751:
	s_cmp_eq_u32 s3, 21
	s_cbranch_scc0 .LBB13_755
; %bb.752:
	s_add_i32 s2, s10, 1
	s_mov_b32 s11, 0
	s_mov_b32 s9, 23
	s_branch .LBB13_756
.LBB13_753:
	v_mov_b32_e32 v31, 0
	s_waitcnt vmcnt(0)
	s_delay_alu instid0(VALU_DEP_1) | instskip(NEXT) | instid1(VALU_DEP_1)
	v_lshrrev_b64 v[31:32], s9, v[30:31]
	v_and_b32_e32 v33, 7, v31
	s_cbranch_execz .LBB13_749
	s_branch .LBB13_750
.LBB13_754:
	s_mov_b32 s11, 0
                                        ; implicit-def: $sgpr9
                                        ; implicit-def: $sgpr2
	s_cbranch_execnz .LBB13_757
	s_branch .LBB13_758
.LBB13_755:
	s_mov_b32 s11, -1
                                        ; implicit-def: $sgpr9
                                        ; implicit-def: $sgpr2
.LBB13_756:
	s_branch .LBB13_758
.LBB13_757:
	s_cmp_lg_u32 s3, 10
	s_mov_b32 s9, 23
	s_cselect_b32 s11, -1, 0
	s_mov_b32 s2, s10
.LBB13_758:
	s_and_not1_b32 vcc_lo, exec_lo, s11
	s_cbranch_vccnz .LBB13_765
; %bb.759:
	s_cmp_gt_i32 s3, 21
	s_mul_i32 s11, s3, 3
	s_cbranch_scc1 .LBB13_763
; %bb.760:
	s_cmp_lt_i32 s3, 11
	s_mov_b32 s9, s11
	s_mov_b32 s2, s10
	s_cbranch_scc1 .LBB13_762
; %bb.761:
	s_sub_i32 s9, s11, 32
	s_add_i32 s2, s10, 1
.LBB13_762:
	s_cbranch_execz .LBB13_764
	s_branch .LBB13_765
.LBB13_763:
                                        ; implicit-def: $sgpr9
                                        ; implicit-def: $sgpr2
.LBB13_764:
	s_sub_i32 s9, s11, 64
	s_add_i32 s2, s10, 2
.LBB13_765:
	s_waitcnt vmcnt(0)
	v_mad_u64_u32 v[30:31], null, s2, s8, v[0:1]
	v_mov_b32_e32 v31, 0
	s_cmp_lt_i32 s3, 21
	s_mov_b32 s10, 0
	s_delay_alu instid0(VALU_DEP_1) | instskip(NEXT) | instid1(VALU_DEP_1)
	v_lshlrev_b64 v[30:31], 2, v[30:31]
	v_add_co_u32 v30, vcc_lo, s4, v30
	s_delay_alu instid0(VALU_DEP_2)
	v_add_co_ci_u32_e32 v31, vcc_lo, s5, v31, vcc_lo
	global_load_b32 v30, v[30:31], off
	s_cbranch_scc1 .LBB13_768
; %bb.766:
	s_cmp_eq_u32 s3, 21
	s_cbranch_scc0 .LBB13_769
; %bb.767:
	s_add_i32 s11, s2, 1
	s_delay_alu instid0(SALU_CYCLE_1) | instskip(SKIP_2) | instid1(VALU_DEP_1)
	v_mad_u64_u32 v[31:32], null, s11, s8, v[0:1]
	v_mov_b32_e32 v32, 0
	s_mov_b32 s11, 0
	v_lshlrev_b64 v[31:32], 2, v[31:32]
	s_delay_alu instid0(VALU_DEP_1) | instskip(NEXT) | instid1(VALU_DEP_2)
	v_add_co_u32 v31, vcc_lo, s4, v31
	v_add_co_ci_u32_e32 v32, vcc_lo, s5, v32, vcc_lo
	global_load_b32 v31, v[31:32], off
	s_waitcnt vmcnt(0)
	v_alignbit_b32 v31, v31, v30, 31
	s_delay_alu instid0(VALU_DEP_1)
	v_and_b32_e32 v34, 7, v31
	s_branch .LBB13_770
.LBB13_768:
	s_mov_b32 s11, 0
                                        ; implicit-def: $vgpr34
	s_cbranch_execnz .LBB13_771
	s_branch .LBB13_772
.LBB13_769:
	s_mov_b32 s11, -1
                                        ; implicit-def: $vgpr34
.LBB13_770:
	s_branch .LBB13_772
.LBB13_771:
	s_cmp_lg_u32 s3, 10
	s_mov_b32 s10, -1
	s_cselect_b32 s11, -1, 0
                                        ; implicit-def: $vgpr34
.LBB13_772:
	s_delay_alu instid0(SALU_CYCLE_1)
	s_and_not1_b32 vcc_lo, exec_lo, s11
	s_cbranch_vccz .LBB13_778
; %bb.773:
	s_and_not1_b32 vcc_lo, exec_lo, s10
	s_cbranch_vccnz .LBB13_775
.LBB13_774:
	s_add_i32 s2, s2, 1
	s_delay_alu instid0(SALU_CYCLE_1) | instskip(SKIP_1) | instid1(VALU_DEP_1)
	v_mad_u64_u32 v[31:32], null, s2, s8, v[0:1]
	v_mov_b32_e32 v32, 0
	v_lshlrev_b64 v[31:32], 2, v[31:32]
	s_delay_alu instid0(VALU_DEP_1) | instskip(NEXT) | instid1(VALU_DEP_2)
	v_add_co_u32 v31, vcc_lo, s4, v31
	v_add_co_ci_u32_e32 v32, vcc_lo, s5, v32, vcc_lo
	global_load_b32 v31, v[31:32], off
	s_waitcnt vmcnt(0)
	v_alignbit_b32 v30, v31, v30, 30
	s_delay_alu instid0(VALU_DEP_1)
	v_and_b32_e32 v34, 7, v30
.LBB13_775:
	s_load_b32 s0, s[0:1], 0x7c
	s_waitcnt lgkmcnt(0)
	s_ashr_i32 s1, s0, 31
	s_delay_alu instid0(SALU_CYCLE_1) | instskip(NEXT) | instid1(SALU_CYCLE_1)
	s_lshr_b32 s1, s1, 27
	s_add_i32 s1, s0, s1
	s_delay_alu instid0(SALU_CYCLE_1) | instskip(NEXT) | instid1(SALU_CYCLE_1)
	s_and_b32 s2, s1, 0xffffffe0
	s_sub_i32 s0, s0, s2
	s_ashr_i32 s2, s1, 5
	s_cmp_lt_i32 s0, 21
	s_mul_i32 s2, s2, 3
	s_cbranch_scc1 .LBB13_779
; %bb.776:
	s_cmp_eq_u32 s0, 21
	s_cbranch_scc0 .LBB13_780
; %bb.777:
	s_add_i32 s3, s2, 1
	s_mov_b32 s9, 0
	s_mov_b32 s1, 26
	s_branch .LBB13_781
.LBB13_778:
	v_mov_b32_e32 v31, 0
	s_waitcnt vmcnt(0)
	s_delay_alu instid0(VALU_DEP_1) | instskip(NEXT) | instid1(VALU_DEP_1)
	v_lshrrev_b64 v[31:32], s9, v[30:31]
	v_and_b32_e32 v34, 7, v31
	s_cbranch_execz .LBB13_774
	s_branch .LBB13_775
.LBB13_779:
	s_mov_b32 s9, 0
                                        ; implicit-def: $sgpr1
                                        ; implicit-def: $sgpr3
	s_cbranch_execnz .LBB13_782
	s_branch .LBB13_783
.LBB13_780:
	s_mov_b32 s9, -1
                                        ; implicit-def: $sgpr1
                                        ; implicit-def: $sgpr3
.LBB13_781:
	s_branch .LBB13_783
.LBB13_782:
	s_cmp_lg_u32 s0, 10
	s_mov_b32 s1, 26
	s_cselect_b32 s9, -1, 0
	s_mov_b32 s3, s2
.LBB13_783:
	s_and_not1_b32 vcc_lo, exec_lo, s9
	s_cbranch_vccnz .LBB13_790
; %bb.784:
	s_cmp_gt_i32 s0, 21
	s_mul_i32 s9, s0, 3
	s_cbranch_scc1 .LBB13_788
; %bb.785:
	s_cmp_lt_i32 s0, 11
	s_mov_b32 s1, s9
	s_mov_b32 s3, s2
	s_cbranch_scc1 .LBB13_787
; %bb.786:
	s_sub_i32 s1, s9, 32
	s_add_i32 s3, s2, 1
.LBB13_787:
	s_cbranch_execz .LBB13_789
	s_branch .LBB13_790
.LBB13_788:
                                        ; implicit-def: $sgpr1
                                        ; implicit-def: $sgpr3
.LBB13_789:
	s_sub_i32 s1, s9, 64
	s_add_i32 s3, s2, 2
.LBB13_790:
	s_waitcnt vmcnt(0)
	v_mad_u64_u32 v[30:31], null, s3, s8, v[0:1]
	v_mov_b32_e32 v31, 0
	s_cmp_lt_i32 s0, 21
	s_mov_b32 s2, 0
	s_delay_alu instid0(VALU_DEP_1) | instskip(NEXT) | instid1(VALU_DEP_1)
	v_lshlrev_b64 v[31:32], 2, v[30:31]
	v_add_co_u32 v31, vcc_lo, s4, v31
	s_delay_alu instid0(VALU_DEP_2)
	v_add_co_ci_u32_e32 v32, vcc_lo, s5, v32, vcc_lo
	global_load_b32 v31, v[31:32], off
	s_cbranch_scc1 .LBB13_793
; %bb.791:
	s_cmp_eq_u32 s0, 21
	s_cbranch_scc0 .LBB13_794
; %bb.792:
	v_dual_mov_b32 v36, 0 :: v_dual_add_nc_u32 v35, s8, v30
	s_mov_b32 s3, 0
	s_delay_alu instid0(VALU_DEP_1) | instskip(NEXT) | instid1(VALU_DEP_1)
	v_lshlrev_b64 v[35:36], 2, v[35:36]
	v_add_co_u32 v35, vcc_lo, s4, v35
	s_delay_alu instid0(VALU_DEP_2) | instskip(SKIP_3) | instid1(VALU_DEP_1)
	v_add_co_ci_u32_e32 v36, vcc_lo, s5, v36, vcc_lo
	global_load_b32 v32, v[35:36], off
	s_waitcnt vmcnt(0)
	v_alignbit_b32 v32, v32, v31, 31
	v_and_b32_e32 v32, 7, v32
	s_branch .LBB13_795
.LBB13_793:
	s_mov_b32 s3, 0
                                        ; implicit-def: $vgpr32
	s_cbranch_execnz .LBB13_796
	s_branch .LBB13_797
.LBB13_794:
	s_mov_b32 s3, -1
                                        ; implicit-def: $vgpr32
.LBB13_795:
	s_branch .LBB13_797
.LBB13_796:
	s_cmp_lg_u32 s0, 10
	s_mov_b32 s2, -1
	s_cselect_b32 s3, -1, 0
                                        ; implicit-def: $vgpr32
.LBB13_797:
	s_delay_alu instid0(SALU_CYCLE_1)
	s_and_not1_b32 vcc_lo, exec_lo, s3
	s_cbranch_vccz .LBB13_802
; %bb.798:
	s_and_not1_b32 vcc_lo, exec_lo, s2
	s_cbranch_vccnz .LBB13_800
.LBB13_799:
	v_dual_mov_b32 v36, 0 :: v_dual_add_nc_u32 v35, s8, v30
	s_delay_alu instid0(VALU_DEP_1) | instskip(NEXT) | instid1(VALU_DEP_1)
	v_lshlrev_b64 v[35:36], 2, v[35:36]
	v_add_co_u32 v35, vcc_lo, s4, v35
	s_delay_alu instid0(VALU_DEP_2) | instskip(SKIP_3) | instid1(VALU_DEP_1)
	v_add_co_ci_u32_e32 v36, vcc_lo, s5, v36, vcc_lo
	global_load_b32 v30, v[35:36], off
	s_waitcnt vmcnt(0)
	v_alignbit_b32 v30, v30, v31, 30
	v_and_b32_e32 v32, 7, v30
.LBB13_800:
	v_lshlrev_b32_e32 v2, 3, v2
	v_lshlrev_b32_e32 v3, 6, v3
	v_lshrrev_b32_e32 v30, 1, v22
	v_lshlrev_b32_e32 v23, 2, v23
	v_lshlrev_b32_e32 v24, 5, v24
	s_waitcnt vmcnt(0)
	v_lshrrev_b32_e32 v31, 2, v11
	v_or3_b32 v1, v2, v1, v3
	v_lshlrev_b32_e32 v2, 9, v4
	v_lshlrev_b32_e32 v3, 12, v5
	s_mul_i32 s15, s15, s8
	v_lshlrev_b32_e32 v25, 8, v25
	v_lshlrev_b32_e32 v26, 11, v26
	;; [unrolled: 1-line block ×3, first 2 shown]
	v_or3_b32 v1, v1, v2, v3
	v_lshlrev_b32_e32 v2, 15, v6
	v_lshlrev_b32_e32 v3, 18, v7
	;; [unrolled: 1-line block ×3, first 2 shown]
	v_lshl_or_b32 v12, v12, 1, v31
	v_lshlrev_b32_e32 v4, 23, v33
	v_lshlrev_b32_e32 v7, 26, v34
	v_or3_b32 v3, v1, v2, v3
	v_mad_u64_u32 v[1:2], null, s15, 3, v[0:1]
	v_mov_b32_e32 v2, 0
	v_or3_b32 v23, v30, v23, v24
	v_lshlrev_b32_e32 v24, 14, v27
	v_or3_b32 v12, v12, v13, v14
	v_lshlrev_b32_e32 v13, 10, v15
	v_lshlrev_b32_e32 v14, 13, v16
	v_or3_b32 v23, v23, v25, v26
	v_lshlrev_b32_e32 v25, 17, v28
	v_lshlrev_b32_e32 v16, 20, v29
	v_lshlrev_b32_e32 v0, 28, v21
	v_or3_b32 v12, v12, v13, v14
	v_lshlrev_b32_e32 v13, 16, v17
	v_or3_b32 v15, v23, v24, v25
	v_lshlrev_b32_e32 v14, 19, v18
	v_lshlrev_b32_e32 v10, 27, v10
	;; [unrolled: 1-line block ×3, first 2 shown]
	s_delay_alu instid0(VALU_DEP_4) | instskip(NEXT) | instid1(VALU_DEP_4)
	v_or3_b32 v6, v15, v16, v4
	v_or3_b32 v5, v12, v13, v14
	v_lshlrev_b32_e32 v12, 22, v19
	v_lshlrev_b32_e32 v13, 25, v20
	;; [unrolled: 1-line block ×5, first 2 shown]
	s_delay_alu instid0(VALU_DEP_4) | instskip(SKIP_1) | instid1(VALU_DEP_4)
	v_or3_b32 v5, v5, v12, v13
	v_lshlrev_b32_e32 v12, 29, v32
	v_or3_b32 v8, v3, v4, v8
	v_lshlrev_b64 v[3:4], 2, v[1:2]
	v_add_nc_u32_e32 v1, s8, v1
	v_or3_b32 v9, v5, v0, v9
	v_or3_b32 v7, v6, v7, v12
	;; [unrolled: 1-line block ×3, first 2 shown]
	s_delay_alu instid0(VALU_DEP_4) | instskip(SKIP_3) | instid1(VALU_DEP_3)
	v_lshlrev_b64 v[5:6], 2, v[1:2]
	v_add_nc_u32_e32 v1, s8, v1
	v_add_co_u32 v3, vcc_lo, s6, v3
	v_add_co_ci_u32_e32 v4, vcc_lo, s7, v4, vcc_lo
	v_lshlrev_b64 v[0:1], 2, v[1:2]
	v_add_co_u32 v5, vcc_lo, s6, v5
	v_add_co_ci_u32_e32 v6, vcc_lo, s7, v6, vcc_lo
	s_delay_alu instid0(VALU_DEP_3) | instskip(NEXT) | instid1(VALU_DEP_4)
	v_add_co_u32 v0, vcc_lo, s6, v0
	v_add_co_ci_u32_e32 v1, vcc_lo, s7, v1, vcc_lo
	s_clause 0x2
	global_store_b32 v[3:4], v8, off
	global_store_b32 v[5:6], v9, off
	;; [unrolled: 1-line block ×3, first 2 shown]
.LBB13_801:
	s_nop 0
	s_sendmsg sendmsg(MSG_DEALLOC_VGPRS)
	s_endpgm
.LBB13_802:
	v_mov_b32_e32 v32, 0
	s_waitcnt vmcnt(0)
	s_delay_alu instid0(VALU_DEP_1) | instskip(NEXT) | instid1(VALU_DEP_1)
	v_lshrrev_b64 v[35:36], s1, v[31:32]
	v_and_b32_e32 v32, 7, v35
	s_cbranch_execz .LBB13_799
	s_branch .LBB13_800
	.section	.rodata,"a",@progbits
	.p2align	6, 0x0
	.amdhsa_kernel _ZN4vllm4gptq27make_sequential_3bit_kernelEPKjPjPKii
		.amdhsa_group_segment_fixed_size 0
		.amdhsa_private_segment_fixed_size 0
		.amdhsa_kernarg_size 28
		.amdhsa_user_sgpr_count 14
		.amdhsa_user_sgpr_dispatch_ptr 0
		.amdhsa_user_sgpr_queue_ptr 0
		.amdhsa_user_sgpr_kernarg_segment_ptr 1
		.amdhsa_user_sgpr_dispatch_id 0
		.amdhsa_user_sgpr_private_segment_size 0
		.amdhsa_wavefront_size32 1
		.amdhsa_uses_dynamic_stack 0
		.amdhsa_enable_private_segment 0
		.amdhsa_system_sgpr_workgroup_id_x 1
		.amdhsa_system_sgpr_workgroup_id_y 1
		.amdhsa_system_sgpr_workgroup_id_z 0
		.amdhsa_system_sgpr_workgroup_info 0
		.amdhsa_system_vgpr_workitem_id 0
		.amdhsa_next_free_vgpr 37
		.amdhsa_next_free_sgpr 16
		.amdhsa_reserve_vcc 1
		.amdhsa_float_round_mode_32 0
		.amdhsa_float_round_mode_16_64 0
		.amdhsa_float_denorm_mode_32 3
		.amdhsa_float_denorm_mode_16_64 3
		.amdhsa_dx10_clamp 1
		.amdhsa_ieee_mode 1
		.amdhsa_fp16_overflow 0
		.amdhsa_workgroup_processor_mode 1
		.amdhsa_memory_ordered 1
		.amdhsa_forward_progress 0
		.amdhsa_shared_vgpr_count 0
		.amdhsa_exception_fp_ieee_invalid_op 0
		.amdhsa_exception_fp_denorm_src 0
		.amdhsa_exception_fp_ieee_div_zero 0
		.amdhsa_exception_fp_ieee_overflow 0
		.amdhsa_exception_fp_ieee_underflow 0
		.amdhsa_exception_fp_ieee_inexact 0
		.amdhsa_exception_int_div_zero 0
	.end_amdhsa_kernel
	.text
.Lfunc_end13:
	.size	_ZN4vllm4gptq27make_sequential_3bit_kernelEPKjPjPKii, .Lfunc_end13-_ZN4vllm4gptq27make_sequential_3bit_kernelEPKjPjPKii
                                        ; -- End function
	.section	.AMDGPU.csdata,"",@progbits
; Kernel info:
; codeLenInByte = 16056
; NumSgprs: 18
; NumVgprs: 37
; ScratchSize: 0
; MemoryBound: 0
; FloatMode: 240
; IeeeMode: 1
; LDSByteSize: 0 bytes/workgroup (compile time only)
; SGPRBlocks: 2
; VGPRBlocks: 4
; NumSGPRsForWavesPerEU: 18
; NumVGPRsForWavesPerEU: 37
; Occupancy: 16
; WaveLimiterHint : 0
; COMPUTE_PGM_RSRC2:SCRATCH_EN: 0
; COMPUTE_PGM_RSRC2:USER_SGPR: 14
; COMPUTE_PGM_RSRC2:TRAP_HANDLER: 0
; COMPUTE_PGM_RSRC2:TGID_X_EN: 1
; COMPUTE_PGM_RSRC2:TGID_Y_EN: 1
; COMPUTE_PGM_RSRC2:TGID_Z_EN: 0
; COMPUTE_PGM_RSRC2:TIDIG_COMP_CNT: 0
	.text
	.protected	_ZN4vllm4gptq27make_sequential_8bit_kernelEPKjPjPKii ; -- Begin function _ZN4vllm4gptq27make_sequential_8bit_kernelEPKjPjPKii
	.globl	_ZN4vllm4gptq27make_sequential_8bit_kernelEPKjPjPKii
	.p2align	8
	.type	_ZN4vllm4gptq27make_sequential_8bit_kernelEPKjPjPKii,@function
_ZN4vllm4gptq27make_sequential_8bit_kernelEPKjPjPKii: ; @_ZN4vllm4gptq27make_sequential_8bit_kernelEPKjPjPKii
; %bb.0:
	s_load_b32 s2, s[0:1], 0x18
	v_lshl_add_u32 v0, s14, 5, v0
	s_waitcnt lgkmcnt(0)
	s_ashr_i32 s8, s2, 1
	s_mov_b32 s2, exec_lo
	s_delay_alu instid0(VALU_DEP_1)
	v_cmpx_gt_u32_e64 s8, v0
	s_cbranch_execz .LBB14_2
; %bb.1:
	s_load_b64 s[2:3], s[0:1], 0x10
	s_lshl_b32 s4, s15, 2
	s_delay_alu instid0(SALU_CYCLE_1) | instskip(NEXT) | instid1(SALU_CYCLE_1)
	s_ashr_i32 s5, s4, 31
	s_lshl_b64 s[4:5], s[4:5], 2
	s_waitcnt lgkmcnt(0)
	s_add_u32 s2, s2, s4
	s_addc_u32 s3, s3, s5
	s_load_b128 s[4:7], s[2:3], 0x0
	s_load_b128 s[0:3], s[0:1], 0x0
	s_waitcnt lgkmcnt(0)
	s_ashr_i32 s9, s4, 2
	s_ashr_i32 s10, s5, 2
	v_mad_u64_u32 v[1:2], null, s9, s8, v[0:1]
	v_mov_b32_e32 v2, 0
	s_ashr_i32 s11, s6, 2
	s_ashr_i32 s12, s7, 2
	s_delay_alu instid0(VALU_DEP_2)
	v_mad_u64_u32 v[3:4], null, s10, s8, v[0:1]
	v_mad_u64_u32 v[5:6], null, s11, s8, v[0:1]
	v_mov_b32_e32 v4, v2
	v_lshlrev_b64 v[9:10], 3, v[1:2]
	v_mad_u64_u32 v[7:8], null, s12, s8, v[0:1]
	v_mov_b32_e32 v6, v2
	s_delay_alu instid0(VALU_DEP_4) | instskip(SKIP_2) | instid1(VALU_DEP_4)
	v_lshlrev_b64 v[3:4], 3, v[3:4]
	v_mov_b32_e32 v8, v2
	v_add_co_u32 v9, vcc_lo, s0, v9
	v_lshlrev_b64 v[5:6], 3, v[5:6]
	v_add_co_ci_u32_e32 v10, vcc_lo, s1, v10, vcc_lo
	s_delay_alu instid0(VALU_DEP_4)
	v_lshlrev_b64 v[7:8], 3, v[7:8]
	v_add_co_u32 v3, vcc_lo, s0, v3
	v_add_co_ci_u32_e32 v4, vcc_lo, s1, v4, vcc_lo
	v_add_co_u32 v5, vcc_lo, s0, v5
	v_add_co_ci_u32_e32 v6, vcc_lo, s1, v6, vcc_lo
	;; [unrolled: 2-line block ×3, first 2 shown]
	s_clause 0x3
	global_load_b64 v[3:4], v[3:4], off
	global_load_b64 v[9:10], v[9:10], off
	;; [unrolled: 1-line block ×4, first 2 shown]
	s_lshl_b32 s1, s5, 3
	s_lshl_b32 s0, s4, 3
	s_and_b32 s1, s1, 24
	s_lshl_b32 s4, s6, 3
	s_lshl_b32 s5, s7, 3
	s_and_b32 s0, s0, 24
	s_and_b32 s4, s4, 24
	;; [unrolled: 1-line block ×3, first 2 shown]
	v_mad_u64_u32 v[11:12], null, s8, s15, v[0:1]
	v_mov_b32_e32 v12, v2
	s_waitcnt vmcnt(3)
	v_lshrrev_b64 v[3:4], s1, v[3:4]
	s_waitcnt vmcnt(2)
	v_lshrrev_b64 v[9:10], s0, v[9:10]
	s_waitcnt vmcnt(1)
	v_lshrrev_b64 v[5:6], s4, v[5:6]
	s_waitcnt vmcnt(0)
	v_lshrrev_b64 v[7:8], s5, v[7:8]
	v_lshlrev_b64 v[0:1], 8, v[3:4]
	s_delay_alu instid0(VALU_DEP_3) | instskip(SKIP_1) | instid1(VALU_DEP_4)
	v_lshlrev_b64 v[2:3], 16, v[5:6]
	v_and_b32_e32 v6, 0xff, v10
	v_lshlrev_b64 v[4:5], 24, v[7:8]
	v_and_b32_e32 v7, 0xff, v9
	v_and_b32_e32 v1, 0xff00, v1
	v_and_b32_e32 v0, 0xff00, v0
	v_and_b32_e32 v3, 0xff0000, v3
	v_and_b32_e32 v2, 0xff0000, v2
	v_and_b32_e32 v5, 0xff000000, v5
	v_or_b32_e32 v6, v1, v6
	v_or_b32_e32 v7, v0, v7
	v_lshlrev_b64 v[0:1], 3, v[11:12]
	s_delay_alu instid0(VALU_DEP_3) | instskip(NEXT) | instid1(VALU_DEP_3)
	v_or3_b32 v3, v3, v6, v5
	v_or3_b32 v2, v2, v7, v4
	s_delay_alu instid0(VALU_DEP_3) | instskip(NEXT) | instid1(VALU_DEP_4)
	v_add_co_u32 v0, vcc_lo, s2, v0
	v_add_co_ci_u32_e32 v1, vcc_lo, s3, v1, vcc_lo
	global_store_b64 v[0:1], v[2:3], off
.LBB14_2:
	s_nop 0
	s_sendmsg sendmsg(MSG_DEALLOC_VGPRS)
	s_endpgm
	.section	.rodata,"a",@progbits
	.p2align	6, 0x0
	.amdhsa_kernel _ZN4vllm4gptq27make_sequential_8bit_kernelEPKjPjPKii
		.amdhsa_group_segment_fixed_size 0
		.amdhsa_private_segment_fixed_size 0
		.amdhsa_kernarg_size 28
		.amdhsa_user_sgpr_count 14
		.amdhsa_user_sgpr_dispatch_ptr 0
		.amdhsa_user_sgpr_queue_ptr 0
		.amdhsa_user_sgpr_kernarg_segment_ptr 1
		.amdhsa_user_sgpr_dispatch_id 0
		.amdhsa_user_sgpr_private_segment_size 0
		.amdhsa_wavefront_size32 1
		.amdhsa_uses_dynamic_stack 0
		.amdhsa_enable_private_segment 0
		.amdhsa_system_sgpr_workgroup_id_x 1
		.amdhsa_system_sgpr_workgroup_id_y 1
		.amdhsa_system_sgpr_workgroup_id_z 0
		.amdhsa_system_sgpr_workgroup_info 0
		.amdhsa_system_vgpr_workitem_id 0
		.amdhsa_next_free_vgpr 13
		.amdhsa_next_free_sgpr 16
		.amdhsa_reserve_vcc 1
		.amdhsa_float_round_mode_32 0
		.amdhsa_float_round_mode_16_64 0
		.amdhsa_float_denorm_mode_32 3
		.amdhsa_float_denorm_mode_16_64 3
		.amdhsa_dx10_clamp 1
		.amdhsa_ieee_mode 1
		.amdhsa_fp16_overflow 0
		.amdhsa_workgroup_processor_mode 1
		.amdhsa_memory_ordered 1
		.amdhsa_forward_progress 0
		.amdhsa_shared_vgpr_count 0
		.amdhsa_exception_fp_ieee_invalid_op 0
		.amdhsa_exception_fp_denorm_src 0
		.amdhsa_exception_fp_ieee_div_zero 0
		.amdhsa_exception_fp_ieee_overflow 0
		.amdhsa_exception_fp_ieee_underflow 0
		.amdhsa_exception_fp_ieee_inexact 0
		.amdhsa_exception_int_div_zero 0
	.end_amdhsa_kernel
	.text
.Lfunc_end14:
	.size	_ZN4vllm4gptq27make_sequential_8bit_kernelEPKjPjPKii, .Lfunc_end14-_ZN4vllm4gptq27make_sequential_8bit_kernelEPKjPjPKii
                                        ; -- End function
	.section	.AMDGPU.csdata,"",@progbits
; Kernel info:
; codeLenInByte = 540
; NumSgprs: 18
; NumVgprs: 13
; ScratchSize: 0
; MemoryBound: 0
; FloatMode: 240
; IeeeMode: 1
; LDSByteSize: 0 bytes/workgroup (compile time only)
; SGPRBlocks: 2
; VGPRBlocks: 1
; NumSGPRsForWavesPerEU: 18
; NumVGPRsForWavesPerEU: 13
; Occupancy: 16
; WaveLimiterHint : 1
; COMPUTE_PGM_RSRC2:SCRATCH_EN: 0
; COMPUTE_PGM_RSRC2:USER_SGPR: 14
; COMPUTE_PGM_RSRC2:TRAP_HANDLER: 0
; COMPUTE_PGM_RSRC2:TGID_X_EN: 1
; COMPUTE_PGM_RSRC2:TGID_Y_EN: 1
; COMPUTE_PGM_RSRC2:TGID_Z_EN: 0
; COMPUTE_PGM_RSRC2:TIDIG_COMP_CNT: 0
	.section	.text._ZN4vllm4gptq33gemm_half_q_half_gptq_2bit_kernelILb1ELi1EEEvPK6__halfPKjS6_S4_PS2_iiiibPKi,"axG",@progbits,_ZN4vllm4gptq33gemm_half_q_half_gptq_2bit_kernelILb1ELi1EEEvPK6__halfPKjS6_S4_PS2_iiiibPKi,comdat
	.protected	_ZN4vllm4gptq33gemm_half_q_half_gptq_2bit_kernelILb1ELi1EEEvPK6__halfPKjS6_S4_PS2_iiiibPKi ; -- Begin function _ZN4vllm4gptq33gemm_half_q_half_gptq_2bit_kernelILb1ELi1EEEvPK6__halfPKjS6_S4_PS2_iiiibPKi
	.globl	_ZN4vllm4gptq33gemm_half_q_half_gptq_2bit_kernelILb1ELi1EEEvPK6__halfPKjS6_S4_PS2_iiiibPKi
	.p2align	8
	.type	_ZN4vllm4gptq33gemm_half_q_half_gptq_2bit_kernelILb1ELi1EEEvPK6__halfPKjS6_S4_PS2_iiiibPKi,@function
_ZN4vllm4gptq33gemm_half_q_half_gptq_2bit_kernelILb1ELi1EEEvPK6__halfPKjS6_S4_PS2_iiiibPKi: ; @_ZN4vllm4gptq33gemm_half_q_half_gptq_2bit_kernelILb1ELi1EEEvPK6__halfPKjS6_S4_PS2_iiiibPKi
; %bb.0:
	s_load_b128 s[16:19], s[0:1], 0x2c
	s_lshl_b32 s12, s15, 7
	s_load_b256 s[4:11], s[0:1], 0x8
	s_add_i32 s2, s12, 0x80
	s_mov_b32 s20, exec_lo
	v_cvt_f64_u32_e32 v[1:2], s2
	s_waitcnt lgkmcnt(0)
	v_cvt_f64_i32_e32 v[3:4], s17
	s_delay_alu instid0(VALU_DEP_1) | instskip(NEXT) | instid1(VALU_DEP_1)
	v_min_f64 v[1:2], v[1:2], v[3:4]
	v_cvt_i32_f64_e32 v2, v[1:2]
	v_add_nc_u32_e32 v1, s12, v0
	s_delay_alu instid0(VALU_DEP_2) | instskip(NEXT) | instid1(VALU_DEP_2)
	v_readfirstlane_b32 s15, v2
	v_cmpx_lt_u32_e64 v1, v2
	s_cbranch_execz .LBB15_4
; %bb.1:
	s_clause 0x1
	s_load_b64 s[2:3], s[0:1], 0x40
	s_load_b64 s[0:1], s[0:1], 0x0
	v_mov_b32_e32 v2, 0
	s_waitcnt lgkmcnt(0)
	s_cmp_eq_u64 s[2:3], 0
	s_cbranch_scc1 .LBB15_3
; %bb.2:
	s_delay_alu instid0(VALU_DEP_1) | instskip(NEXT) | instid1(VALU_DEP_1)
	v_lshlrev_b64 v[1:2], 2, v[1:2]
	v_add_co_u32 v1, vcc_lo, s2, v1
	s_delay_alu instid0(VALU_DEP_2)
	v_add_co_ci_u32_e32 v2, vcc_lo, s3, v2, vcc_lo
	global_load_b32 v1, v[1:2], off
	s_waitcnt vmcnt(0)
	v_ashrrev_i32_e32 v2, 31, v1
.LBB15_3:
	s_mul_i32 s2, s14, s17
	s_delay_alu instid0(VALU_DEP_1) | instskip(SKIP_1) | instid1(SALU_CYCLE_1)
	v_lshlrev_b64 v[1:2], 1, v[1:2]
	s_ashr_i32 s3, s2, 31
	s_lshl_b64 s[2:3], s[2:3], 1
	s_delay_alu instid0(SALU_CYCLE_1) | instskip(SKIP_1) | instid1(VALU_DEP_1)
	s_add_u32 s0, s0, s2
	s_addc_u32 s1, s1, s3
	v_add_co_u32 v1, vcc_lo, s0, v1
	v_add_co_ci_u32_e32 v2, vcc_lo, s1, v2, vcc_lo
	global_load_u16 v1, v[1:2], off
	v_lshlrev_b32_e32 v2, 1, v0
	s_waitcnt vmcnt(0)
	ds_store_b16 v2, v1
.LBB15_4:
	s_or_b32 exec_lo, exec_lo, s20
	v_lshlrev_b32_e32 v1, 2, v0
	s_mov_b32 s0, exec_lo
	s_delay_alu instid0(VALU_DEP_1) | instskip(NEXT) | instid1(VALU_DEP_1)
	v_lshl_add_u32 v1, s13, 9, v1
	v_cmpx_gt_i32_e64 s16, v1
	s_cbranch_execz .LBB15_14
; %bb.5:
	s_abs_i32 s0, s18
	v_mov_b32_e32 v7, 0
	v_cvt_f32_u32_e32 v2, s0
	s_cmp_ge_i32 s12, s15
	s_mov_b32 s2, 0
	s_waitcnt lgkmcnt(0)
	s_barrier
	v_rcp_iflag_f32_e32 v2, v2
	buffer_gl0_inv
	v_dual_mov_b32 v9, 0 :: v_dual_mul_f32 v2, 0x4f7ffffe, v2
	s_delay_alu instid0(VALU_DEP_1) | instskip(NEXT) | instid1(VALU_DEP_1)
	v_cvt_u32_f32_e32 v2, v2
	v_readfirstlane_b32 s1, v2
	s_cbranch_scc1 .LBB15_10
; %bb.6:
	s_sub_i32 s3, 0, s0
	s_abs_i32 s13, s17
	s_delay_alu instid0(VALU_DEP_1) | instskip(SKIP_2) | instid1(SALU_CYCLE_1)
	s_mul_i32 s3, s3, s1
	v_dual_mov_b32 v7, 0 :: v_dual_lshlrev_b32 v10, 3, v0
	s_mul_hi_u32 s3, s1, s3
	s_add_i32 s1, s1, s3
	s_ashr_i32 s3, s17, 31
	s_mul_hi_u32 s1, s13, s1
	s_ashr_i32 s17, s18, 31
	s_mul_i32 s18, s1, s0
	s_xor_b32 s3, s3, s17
	s_sub_i32 s13, s13, s18
	s_add_i32 s17, s1, 1
	s_sub_i32 s18, s13, s0
	s_cmp_ge_u32 s13, s0
	v_and_b32_e32 v0, 24, v10
	s_cselect_b32 s1, s17, s1
	s_cselect_b32 s13, s18, s13
	s_add_i32 s17, s1, 1
	s_cmp_ge_u32 s13, s0
	s_cselect_b32 s0, s17, s1
	s_delay_alu instid0(SALU_CYCLE_1) | instskip(NEXT) | instid1(SALU_CYCLE_1)
	s_xor_b32 s0, s0, s3
	s_sub_i32 s3, s0, s3
	s_bitcmp1_b32 s19, 0
	v_cvt_f32_u32_e32 v2, s3
	s_cselect_b32 s1, -1, 0
	s_sub_i32 s13, 0, s3
	s_xor_b32 s1, s1, -1
	s_delay_alu instid0(VALU_DEP_1) | instskip(SKIP_2) | instid1(VALU_DEP_1)
	v_rcp_iflag_f32_e32 v2, v2
	s_waitcnt_depctr 0xfff
	v_mul_f32_e32 v2, 0x4f7ffffe, v2
	v_cvt_u32_f32_e32 v2, v2
	s_delay_alu instid0(VALU_DEP_1) | instskip(SKIP_1) | instid1(VALU_DEP_2)
	v_readfirstlane_b32 s0, v2
	v_ashrrev_i32_e32 v2, 31, v1
	s_mul_i32 s13, s13, s0
	s_delay_alu instid0(VALU_DEP_1) | instskip(SKIP_1) | instid1(SALU_CYCLE_1)
	v_lshrrev_b32_e32 v3, 28, v2
	s_mul_hi_u32 s13, s0, s13
	s_add_i32 s0, s0, s13
	s_delay_alu instid0(VALU_DEP_1) | instskip(SKIP_1) | instid1(SALU_CYCLE_1)
	v_add_nc_u32_e32 v3, v1, v3
	s_mul_hi_u32 s0, s12, s0
	s_mul_i32 s13, s0, s3
	s_add_i32 s17, s0, 1
	s_sub_i32 s13, s12, s13
	v_ashrrev_i32_e32 v8, 4, v3
	s_sub_i32 s18, s13, s3
	s_cmp_ge_u32 s13, s3
	s_cselect_b32 s0, s17, s0
	s_cselect_b32 s13, s18, s13
	s_add_i32 s17, s0, 1
	s_cmp_ge_u32 s13, s3
	s_mov_b32 s18, 0x30003
	s_cselect_b32 s13, s17, s0
	s_add_i32 s19, s3, s12
	s_mul_i32 s0, s13, s16
	s_delay_alu instid0(SALU_CYCLE_1) | instskip(SKIP_2) | instid1(SALU_CYCLE_1)
	s_ashr_i32 s17, s0, 31
	v_add_nc_u32_e32 v5, s0, v1
	s_lshr_b32 s17, s17, 28
	s_add_i32 s17, s0, s17
	s_lshr_b32 s0, s12, 4
	s_ashr_i32 s17, s17, 4
	v_ashrrev_i32_e32 v6, 31, v5
	v_add_nc_u32_e32 v3, s17, v8
	s_mul_i32 s0, s0, s16
	s_ashr_i32 s17, s16, 31
	s_delay_alu instid0(VALU_DEP_1) | instskip(NEXT) | instid1(VALU_DEP_1)
	v_ashrrev_i32_e32 v4, 31, v3
	v_lshlrev_b64 v[3:4], 2, v[3:4]
	s_delay_alu instid0(VALU_DEP_1) | instskip(NEXT) | instid1(VALU_DEP_2)
	v_add_co_u32 v3, vcc_lo, s6, v3
	v_add_co_ci_u32_e32 v4, vcc_lo, s7, v4, vcc_lo
	global_load_b32 v9, v[3:4], off
	v_lshlrev_b64 v[3:4], 1, v[5:6]
	v_lshlrev_b64 v[5:6], 2, v[1:2]
	v_cndmask_b32_e64 v2, 0, 1, s1
	s_ashr_i32 s1, s0, 31
	s_delay_alu instid0(SALU_CYCLE_1) | instskip(NEXT) | instid1(VALU_DEP_3)
	s_lshl_b64 s[0:1], s[0:1], 2
	v_add_co_u32 v3, vcc_lo, s8, v3
	v_add_co_ci_u32_e32 v4, vcc_lo, s9, v4, vcc_lo
	s_add_u32 s4, s4, s0
	s_addc_u32 s5, s5, s1
	v_add_co_u32 v5, vcc_lo, s4, v5
	global_load_b64 v[3:4], v[3:4], off
	v_add_co_ci_u32_e32 v6, vcc_lo, s5, v6, vcc_lo
	v_add_co_u32 v5, vcc_lo, v5, 8
	s_lshl_b64 s[0:1], s[16:17], 2
	s_delay_alu instid0(VALU_DEP_2)
	v_add_co_ci_u32_e32 v6, vcc_lo, 0, v6, vcc_lo
	s_mov_b32 s4, 0xc000c
	s_mov_b32 s5, 0x300030
	;; [unrolled: 1-line block ×3, first 2 shown]
	s_waitcnt vmcnt(1)
	v_lshrrev_b32_e32 v13, v10, v9
	v_bfe_u32 v10, v9, v0, 2
	v_mov_b32_e32 v9, 0
	s_delay_alu instid0(VALU_DEP_3)
	v_bfe_u32 v11, v13, 2, 2
	v_bfe_u32 v12, v13, 4, 2
	;; [unrolled: 1-line block ×3, first 2 shown]
	s_branch .LBB15_8
.LBB15_7:                               ;   in Loop: Header=BB15_8 Depth=1
	global_load_b128 v[14:17], v[5:6], off offset:-8
	v_add_nc_u32_e32 v18, v10, v2
	v_dual_mov_b32 v24, s2 :: v_dual_add_nc_u32 v19, v11, v2
	v_add_nc_u32_e32 v20, v12, v2
	v_add_nc_u32_e32 v21, v13, v2
	s_delay_alu instid0(VALU_DEP_4)
	v_or_b32_e32 v26, 0xffffe400, v18
	v_cvt_f32_i32_e32 v18, v18
	v_or_b32_e32 v27, 0xffffe400, v19
	v_cvt_f32_i32_e32 v28, v19
	;; [unrolled: 2-line block ×4, first 2 shown]
	v_cvt_f16_f32_e32 v33, v18
	ds_load_2addr_b32 v[18:19], v24 offset1:1
	ds_load_2addr_b32 v[20:21], v24 offset0:2 offset1:3
	ds_load_2addr_b32 v[22:23], v24 offset0:4 offset1:5
	;; [unrolled: 1-line block ×3, first 2 shown]
	v_cvt_f16_f32_e32 v28, v28
	v_cvt_f16_f32_e32 v30, v30
	;; [unrolled: 1-line block ×3, first 2 shown]
	v_sub_f16_e32 v34, 0xdc00, v33
	v_sub_f16_e32 v35, 0xd400, v33
	;; [unrolled: 1-line block ×12, first 2 shown]
	v_add_co_u32 v5, vcc_lo, v5, s0
	v_add_co_ci_u32_e32 v6, vcc_lo, s1, v6, vcc_lo
	s_add_i32 s12, s12, 16
	s_add_i32 s2, s2, 32
	s_cmp_lt_i32 s12, s15
	s_waitcnt vmcnt(0)
	v_and_or_b32 v42, v14, s18, 0x64006400
	v_and_or_b32 v43, v14, s4, 0x64006400
	v_and_or_b32 v44, v14, s5, 0x64006400
	v_and_or_b32 v45, v14, s17, 0x64006400
	v_lshrrev_b32_e32 v14, 8, v14
	v_and_or_b32 v46, v15, s18, 0x64006400
	v_and_or_b32 v47, v15, s4, 0x64006400
	v_and_or_b32 v48, v15, s5, 0x64006400
	v_and_or_b32 v49, v15, s17, 0x64006400
	v_lshrrev_b32_e32 v15, 8, v15
	;; [unrolled: 5-line block ×3, first 2 shown]
	v_and_or_b32 v54, v17, s18, 0x64006400
	v_and_or_b32 v55, v17, s4, 0x64006400
	;; [unrolled: 1-line block ×6, first 2 shown]
	v_pk_add_f16 v42, v26, v42 op_sel_hi:[0,1]
	v_and_or_b32 v61, v15, s18, 0x64006400
	v_and_or_b32 v62, v15, s4, 0x64006400
	;; [unrolled: 1-line block ×4, first 2 shown]
	v_pk_add_f16 v46, v27, v46 op_sel_hi:[0,1]
	v_and_or_b32 v64, v16, s18, 0x64006400
	v_and_or_b32 v65, v16, s4, 0x64006400
	v_pk_add_f16 v50, v29, v50 op_sel_hi:[0,1]
	v_pk_add_f16 v54, v31, v54 op_sel_hi:[0,1]
	v_and_or_b32 v56, v17, s5, 0x64006400
	v_pk_fma_f16 v43, 0x3400, v43, v34 op_sel_hi:[0,1,0]
	v_pk_fma_f16 v45, 0x2400, v45, v33 op_sel_hi:[0,1,0]
	;; [unrolled: 1-line block ×11, first 2 shown]
	v_pk_add_f16 v28, v29, v64 op_sel_hi:[0,1]
	v_pk_fma_f16 v29, 0x3400, v65, v38 op_sel_hi:[0,1,0]
	s_waitcnt lgkmcnt(3)
	v_pk_fma_f16 v37, v42, v18, 0
	v_pk_fma_f16 v38, v46, v18, 0
	;; [unrolled: 1-line block ×4, first 2 shown]
	v_and_or_b32 v57, v17, s17, 0x64006400
	v_lshrrev_b32_e32 v17, 8, v17
	v_pk_fma_f16 v44, 0x2c00, v44, v35 op_sel_hi:[0,1,0]
	v_and_or_b32 v66, v16, s5, 0x64006400
	v_and_or_b32 v16, v16, s17, 0x64006400
	v_pk_fma_f16 v52, 0x2c00, v52, v39 op_sel_hi:[0,1,0]
	v_pk_fma_f16 v56, 0x2c00, v56, v41 op_sel_hi:[0,1,0]
	v_pk_fma_f16 v37, v43, v19, v37
	v_pk_fma_f16 v38, v47, v19, v38
	;; [unrolled: 1-line block ×4, first 2 shown]
	v_pk_fma_f16 v53, 0x2400, v53, v30 op_sel_hi:[0,1,0]
	v_and_or_b32 v67, v17, s18, 0x64006400
	v_pk_fma_f16 v57, 0x2400, v57, v32 op_sel_hi:[0,1,0]
	v_pk_fma_f16 v16, 0x2400, v16, v30 op_sel_hi:[0,1,0]
	s_waitcnt lgkmcnt(2)
	v_pk_fma_f16 v19, v44, v20, v37
	v_pk_fma_f16 v30, v48, v20, v38
	v_pk_fma_f16 v37, v52, v20, v42
	v_pk_fma_f16 v18, v56, v20, v18
	v_and_or_b32 v68, v17, s4, 0x64006400
	v_pk_add_f16 v26, v26, v58 op_sel_hi:[0,1]
	v_pk_add_f16 v27, v27, v61 op_sel_hi:[0,1]
	;; [unrolled: 1-line block ×3, first 2 shown]
	v_pk_fma_f16 v19, v45, v21, v19
	v_pk_fma_f16 v30, v49, v21, v30
	;; [unrolled: 1-line block ×4, first 2 shown]
	v_and_or_b32 v69, v17, s5, 0x64006400
	v_pk_fma_f16 v34, 0x3400, v59, v34 op_sel_hi:[0,1,0]
	v_pk_fma_f16 v21, 0x3400, v68, v40 op_sel_hi:[0,1,0]
	s_waitcnt lgkmcnt(1)
	v_pk_fma_f16 v19, v26, v22, v19
	v_pk_fma_f16 v26, v27, v22, v30
	;; [unrolled: 1-line block ×4, first 2 shown]
	v_and_or_b32 v17, v17, s17, 0x64006400
	v_pk_fma_f16 v35, 0x2c00, v60, v35 op_sel_hi:[0,1,0]
	v_pk_fma_f16 v39, 0x2c00, v66, v39 op_sel_hi:[0,1,0]
	;; [unrolled: 1-line block ×3, first 2 shown]
	v_pk_fma_f16 v19, v34, v23, v19
	v_pk_fma_f16 v22, v33, v23, v26
	;; [unrolled: 1-line block ×4, first 2 shown]
	v_pk_fma_f16 v17, 0x2400, v17, v32 op_sel_hi:[0,1,0]
	s_waitcnt lgkmcnt(0)
	v_pk_fma_f16 v19, v35, v24, v19
	v_pk_fma_f16 v21, v36, v24, v22
	v_pk_fma_f16 v22, v39, v24, v26
	v_pk_fma_f16 v18, v20, v24, v18
	s_delay_alu instid0(VALU_DEP_4) | instskip(NEXT) | instid1(VALU_DEP_4)
	v_pk_fma_f16 v14, v14, v25, v19
	v_pk_fma_f16 v15, v15, v25, v21
	s_delay_alu instid0(VALU_DEP_4) | instskip(NEXT) | instid1(VALU_DEP_4)
	v_pk_fma_f16 v16, v16, v25, v22
	v_pk_fma_f16 v17, v17, v25, v18
	s_delay_alu instid0(VALU_DEP_3) | instskip(SKIP_1) | instid1(VALU_DEP_3)
	v_pack_b32_f16 v18, v14, v15
	v_perm_b32 v14, v15, v14, 0x7060302
	v_pack_b32_f16 v15, v16, v17
	v_perm_b32 v16, v17, v16, 0x7060302
	s_delay_alu instid0(VALU_DEP_3) | instskip(NEXT) | instid1(VALU_DEP_2)
	v_pk_add_f16 v14, v18, v14
	v_pk_add_f16 v15, v15, v16
	s_delay_alu instid0(VALU_DEP_2) | instskip(NEXT) | instid1(VALU_DEP_2)
	v_pk_fma_f16 v9, v14, v3, v9
	v_pk_fma_f16 v7, v15, v4, v7
	s_cbranch_scc0 .LBB15_10
.LBB15_8:                               ; =>This Inner Loop Header: Depth=1
	s_cmp_lg_u32 s12, s19
	s_cbranch_scc1 .LBB15_7
; %bb.9:                                ;   in Loop: Header=BB15_8 Depth=1
	s_add_i32 s13, s13, 1
	s_add_i32 s19, s19, s3
	s_mul_i32 s20, s13, s16
	s_delay_alu instid0(SALU_CYCLE_1) | instskip(SKIP_2) | instid1(SALU_CYCLE_1)
	s_ashr_i32 s21, s20, 31
	v_add_nc_u32_e32 v10, s20, v1
	s_lshr_b32 s21, s21, 28
	s_add_i32 s21, s20, s21
	s_delay_alu instid0(VALU_DEP_1) | instskip(SKIP_3) | instid1(VALU_DEP_2)
	v_ashrrev_i32_e32 v11, 31, v10
	s_ashr_i32 s21, s21, 4
	s_waitcnt vmcnt(0)
	v_add_nc_u32_e32 v3, s21, v8
	v_lshlrev_b64 v[10:11], 1, v[10:11]
	s_delay_alu instid0(VALU_DEP_2) | instskip(NEXT) | instid1(VALU_DEP_1)
	v_ashrrev_i32_e32 v4, 31, v3
	v_lshlrev_b64 v[3:4], 2, v[3:4]
	s_delay_alu instid0(VALU_DEP_1) | instskip(NEXT) | instid1(VALU_DEP_2)
	v_add_co_u32 v3, vcc_lo, s6, v3
	v_add_co_ci_u32_e32 v4, vcc_lo, s7, v4, vcc_lo
	global_load_b32 v12, v[3:4], off
	v_add_co_u32 v3, vcc_lo, s8, v10
	v_add_co_ci_u32_e32 v4, vcc_lo, s9, v11, vcc_lo
	global_load_b64 v[3:4], v[3:4], off
	s_waitcnt vmcnt(1)
	v_lshrrev_b32_e32 v13, v0, v12
	v_bfe_u32 v10, v12, v0, 2
	s_delay_alu instid0(VALU_DEP_2)
	v_bfe_u32 v11, v13, 2, 2
	v_bfe_u32 v12, v13, 4, 2
	;; [unrolled: 1-line block ×3, first 2 shown]
	s_branch .LBB15_7
.LBB15_10:
	v_mad_u64_u32 v[2:3], null, s14, s16, v[1:2]
	s_mov_b32 s0, 0
	s_delay_alu instid0(VALU_DEP_1) | instskip(NEXT) | instid1(VALU_DEP_1)
	v_ashrrev_i32_e32 v3, 31, v2
	v_lshlrev_b64 v[0:1], 1, v[2:3]
	s_delay_alu instid0(VALU_DEP_1) | instskip(NEXT) | instid1(VALU_DEP_2)
	v_add_co_u32 v0, vcc_lo, s10, v0
	v_add_co_ci_u32_e32 v1, vcc_lo, s11, v1, vcc_lo
	global_load_b32 v3, v[0:1], off
.LBB15_11:                              ; =>This Inner Loop Header: Depth=1
	s_waitcnt vmcnt(0)
	v_pk_add_f16 v2, v9, v3
	global_atomic_cmpswap_b32 v2, v[0:1], v[2:3], off glc
	s_waitcnt vmcnt(0)
	v_cmp_eq_u32_e32 vcc_lo, v3, v2
	v_mov_b32_e32 v3, v2
	s_or_b32 s0, vcc_lo, s0
	s_delay_alu instid0(SALU_CYCLE_1)
	s_and_not1_b32 exec_lo, exec_lo, s0
	s_cbranch_execnz .LBB15_11
; %bb.12:
	s_or_b32 exec_lo, exec_lo, s0
	global_load_b32 v3, v[0:1], off offset:4
	s_mov_b32 s0, 0
.LBB15_13:                              ; =>This Inner Loop Header: Depth=1
	s_waitcnt vmcnt(0)
	v_pk_add_f16 v2, v7, v3
	global_atomic_cmpswap_b32 v2, v[0:1], v[2:3], off offset:4 glc
	s_waitcnt vmcnt(0)
	v_cmp_eq_u32_e32 vcc_lo, v3, v2
	v_mov_b32_e32 v3, v2
	s_or_b32 s0, vcc_lo, s0
	s_delay_alu instid0(SALU_CYCLE_1)
	s_and_not1_b32 exec_lo, exec_lo, s0
	s_cbranch_execnz .LBB15_13
.LBB15_14:
	s_endpgm
	.section	.rodata,"a",@progbits
	.p2align	6, 0x0
	.amdhsa_kernel _ZN4vllm4gptq33gemm_half_q_half_gptq_2bit_kernelILb1ELi1EEEvPK6__halfPKjS6_S4_PS2_iiiibPKi
		.amdhsa_group_segment_fixed_size 256
		.amdhsa_private_segment_fixed_size 0
		.amdhsa_kernarg_size 72
		.amdhsa_user_sgpr_count 13
		.amdhsa_user_sgpr_dispatch_ptr 0
		.amdhsa_user_sgpr_queue_ptr 0
		.amdhsa_user_sgpr_kernarg_segment_ptr 1
		.amdhsa_user_sgpr_dispatch_id 0
		.amdhsa_user_sgpr_private_segment_size 0
		.amdhsa_wavefront_size32 1
		.amdhsa_uses_dynamic_stack 0
		.amdhsa_enable_private_segment 0
		.amdhsa_system_sgpr_workgroup_id_x 1
		.amdhsa_system_sgpr_workgroup_id_y 1
		.amdhsa_system_sgpr_workgroup_id_z 1
		.amdhsa_system_sgpr_workgroup_info 0
		.amdhsa_system_vgpr_workitem_id 0
		.amdhsa_next_free_vgpr 70
		.amdhsa_next_free_sgpr 22
		.amdhsa_reserve_vcc 1
		.amdhsa_float_round_mode_32 0
		.amdhsa_float_round_mode_16_64 0
		.amdhsa_float_denorm_mode_32 3
		.amdhsa_float_denorm_mode_16_64 3
		.amdhsa_dx10_clamp 1
		.amdhsa_ieee_mode 1
		.amdhsa_fp16_overflow 0
		.amdhsa_workgroup_processor_mode 1
		.amdhsa_memory_ordered 1
		.amdhsa_forward_progress 0
		.amdhsa_shared_vgpr_count 0
		.amdhsa_exception_fp_ieee_invalid_op 0
		.amdhsa_exception_fp_denorm_src 0
		.amdhsa_exception_fp_ieee_div_zero 0
		.amdhsa_exception_fp_ieee_overflow 0
		.amdhsa_exception_fp_ieee_underflow 0
		.amdhsa_exception_fp_ieee_inexact 0
		.amdhsa_exception_int_div_zero 0
	.end_amdhsa_kernel
	.section	.text._ZN4vllm4gptq33gemm_half_q_half_gptq_2bit_kernelILb1ELi1EEEvPK6__halfPKjS6_S4_PS2_iiiibPKi,"axG",@progbits,_ZN4vllm4gptq33gemm_half_q_half_gptq_2bit_kernelILb1ELi1EEEvPK6__halfPKjS6_S4_PS2_iiiibPKi,comdat
.Lfunc_end15:
	.size	_ZN4vllm4gptq33gemm_half_q_half_gptq_2bit_kernelILb1ELi1EEEvPK6__halfPKjS6_S4_PS2_iiiibPKi, .Lfunc_end15-_ZN4vllm4gptq33gemm_half_q_half_gptq_2bit_kernelILb1ELi1EEEvPK6__halfPKjS6_S4_PS2_iiiibPKi
                                        ; -- End function
	.section	.AMDGPU.csdata,"",@progbits
; Kernel info:
; codeLenInByte = 2564
; NumSgprs: 24
; NumVgprs: 70
; ScratchSize: 0
; MemoryBound: 0
; FloatMode: 240
; IeeeMode: 1
; LDSByteSize: 256 bytes/workgroup (compile time only)
; SGPRBlocks: 2
; VGPRBlocks: 8
; NumSGPRsForWavesPerEU: 24
; NumVGPRsForWavesPerEU: 70
; Occupancy: 16
; WaveLimiterHint : 0
; COMPUTE_PGM_RSRC2:SCRATCH_EN: 0
; COMPUTE_PGM_RSRC2:USER_SGPR: 13
; COMPUTE_PGM_RSRC2:TRAP_HANDLER: 0
; COMPUTE_PGM_RSRC2:TGID_X_EN: 1
; COMPUTE_PGM_RSRC2:TGID_Y_EN: 1
; COMPUTE_PGM_RSRC2:TGID_Z_EN: 1
; COMPUTE_PGM_RSRC2:TIDIG_COMP_CNT: 0
	.section	.text._ZN4vllm4gptq33gemm_half_q_half_gptq_3bit_kernelILb1ELi1EEEvPK6__halfPKjS6_S4_PS2_iiiibPKi,"axG",@progbits,_ZN4vllm4gptq33gemm_half_q_half_gptq_3bit_kernelILb1ELi1EEEvPK6__halfPKjS6_S4_PS2_iiiibPKi,comdat
	.protected	_ZN4vllm4gptq33gemm_half_q_half_gptq_3bit_kernelILb1ELi1EEEvPK6__halfPKjS6_S4_PS2_iiiibPKi ; -- Begin function _ZN4vllm4gptq33gemm_half_q_half_gptq_3bit_kernelILb1ELi1EEEvPK6__halfPKjS6_S4_PS2_iiiibPKi
	.globl	_ZN4vllm4gptq33gemm_half_q_half_gptq_3bit_kernelILb1ELi1EEEvPK6__halfPKjS6_S4_PS2_iiiibPKi
	.p2align	8
	.type	_ZN4vllm4gptq33gemm_half_q_half_gptq_3bit_kernelILb1ELi1EEEvPK6__halfPKjS6_S4_PS2_iiiibPKi,@function
_ZN4vllm4gptq33gemm_half_q_half_gptq_3bit_kernelILb1ELi1EEEvPK6__halfPKjS6_S4_PS2_iiiibPKi: ; @_ZN4vllm4gptq33gemm_half_q_half_gptq_3bit_kernelILb1ELi1EEEvPK6__halfPKjS6_S4_PS2_iiiibPKi
; %bb.0:
	s_load_b128 s[16:19], s[0:1], 0x2c
	s_lshl_b32 s12, s15, 7
	s_load_b256 s[4:11], s[0:1], 0x8
	s_add_i32 s2, s12, 0x80
	s_mov_b32 s20, exec_lo
	v_cvt_f64_u32_e32 v[1:2], s2
	s_waitcnt lgkmcnt(0)
	v_cvt_f64_i32_e32 v[3:4], s17
	s_delay_alu instid0(VALU_DEP_1) | instskip(NEXT) | instid1(VALU_DEP_1)
	v_min_f64 v[1:2], v[1:2], v[3:4]
	v_cvt_i32_f64_e32 v2, v[1:2]
	v_add_nc_u32_e32 v1, s12, v0
	s_delay_alu instid0(VALU_DEP_2) | instskip(NEXT) | instid1(VALU_DEP_2)
	v_readfirstlane_b32 s15, v2
	v_cmpx_lt_u32_e64 v1, v2
	s_cbranch_execz .LBB16_4
; %bb.1:
	s_clause 0x1
	s_load_b64 s[2:3], s[0:1], 0x40
	s_load_b64 s[0:1], s[0:1], 0x0
	v_mov_b32_e32 v2, 0
	s_waitcnt lgkmcnt(0)
	s_cmp_eq_u64 s[2:3], 0
	s_cbranch_scc1 .LBB16_3
; %bb.2:
	s_delay_alu instid0(VALU_DEP_1) | instskip(NEXT) | instid1(VALU_DEP_1)
	v_lshlrev_b64 v[1:2], 2, v[1:2]
	v_add_co_u32 v1, vcc_lo, s2, v1
	s_delay_alu instid0(VALU_DEP_2)
	v_add_co_ci_u32_e32 v2, vcc_lo, s3, v2, vcc_lo
	global_load_b32 v1, v[1:2], off
	s_waitcnt vmcnt(0)
	v_ashrrev_i32_e32 v2, 31, v1
.LBB16_3:
	s_mul_i32 s2, s14, s17
	s_delay_alu instid0(VALU_DEP_1) | instskip(SKIP_1) | instid1(SALU_CYCLE_1)
	v_lshlrev_b64 v[1:2], 1, v[1:2]
	s_ashr_i32 s3, s2, 31
	s_lshl_b64 s[2:3], s[2:3], 1
	s_delay_alu instid0(SALU_CYCLE_1) | instskip(SKIP_1) | instid1(VALU_DEP_1)
	s_add_u32 s0, s0, s2
	s_addc_u32 s1, s1, s3
	v_add_co_u32 v1, vcc_lo, s0, v1
	v_add_co_ci_u32_e32 v2, vcc_lo, s1, v2, vcc_lo
	global_load_u16 v1, v[1:2], off
	v_lshlrev_b32_e32 v2, 1, v0
	s_waitcnt vmcnt(0)
	ds_store_b16 v2, v1
.LBB16_4:
	s_or_b32 exec_lo, exec_lo, s20
	v_lshlrev_b32_e32 v1, 2, v0
	s_mov_b32 s0, exec_lo
	s_delay_alu instid0(VALU_DEP_1) | instskip(NEXT) | instid1(VALU_DEP_1)
	v_lshl_add_u32 v0, s13, 9, v1
	v_cmpx_gt_i32_e64 s16, v0
	s_cbranch_execz .LBB16_46
; %bb.5:
	s_abs_i32 s0, s18
	s_abs_i32 s3, s17
	v_cvt_f32_u32_e32 v2, s0
	s_sub_i32 s2, 0, s0
	s_waitcnt lgkmcnt(0)
	s_barrier
	buffer_gl0_inv
	v_rcp_iflag_f32_e32 v2, v2
                                        ; implicit-def: $vgpr4
	v_and_b32_e32 v3, 28, v1
	s_delay_alu instid0(VALU_DEP_1) | instskip(SKIP_2) | instid1(VALU_DEP_1)
	v_cmp_lt_u32_e32 vcc_lo, 4, v3
	s_waitcnt_depctr 0xfff
	v_mul_f32_e32 v2, 0x4f7ffffe, v2
	v_cvt_u32_f32_e32 v2, v2
	s_delay_alu instid0(VALU_DEP_1) | instskip(NEXT) | instid1(VALU_DEP_1)
	v_readfirstlane_b32 s1, v2
	s_mul_i32 s2, s2, s1
	s_delay_alu instid0(SALU_CYCLE_1) | instskip(NEXT) | instid1(SALU_CYCLE_1)
	s_mul_hi_u32 s2, s1, s2
	s_add_i32 s1, s1, s2
	s_xor_b32 s2, s17, s18
	s_mul_hi_u32 s1, s3, s1
	s_ashr_i32 s2, s2, 31
	s_mul_i32 s13, s1, s0
	s_delay_alu instid0(SALU_CYCLE_1)
	s_sub_i32 s3, s3, s13
	s_add_i32 s13, s1, 1
	s_sub_i32 s17, s3, s0
	s_cmp_ge_u32 s3, s0
	s_cselect_b32 s1, s13, s1
	s_cselect_b32 s3, s17, s3
	s_add_i32 s13, s1, 1
	s_cmp_ge_u32 s3, s0
	s_cselect_b32 s0, s13, s1
	s_delay_alu instid0(SALU_CYCLE_1) | instskip(NEXT) | instid1(SALU_CYCLE_1)
	s_xor_b32 s0, s0, s2
	s_sub_i32 s13, s0, s2
	s_delay_alu instid0(SALU_CYCLE_1) | instskip(SKIP_1) | instid1(VALU_DEP_1)
	v_cvt_f32_u32_e32 v2, s13
	s_sub_i32 s1, 0, s13
	v_rcp_iflag_f32_e32 v2, v2
	s_waitcnt_depctr 0xfff
	v_mul_f32_e32 v2, 0x4f7ffffe, v2
	s_delay_alu instid0(VALU_DEP_1) | instskip(NEXT) | instid1(VALU_DEP_1)
	v_cvt_u32_f32_e32 v2, v2
	v_readfirstlane_b32 s0, v2
	s_delay_alu instid0(VALU_DEP_1) | instskip(NEXT) | instid1(SALU_CYCLE_1)
	s_mul_i32 s1, s1, s0
	s_mul_hi_u32 s1, s0, s1
	s_delay_alu instid0(SALU_CYCLE_1) | instskip(NEXT) | instid1(SALU_CYCLE_1)
	s_add_i32 s0, s0, s1
	s_mul_hi_u32 s0, s12, s0
	s_delay_alu instid0(SALU_CYCLE_1) | instskip(SKIP_2) | instid1(SALU_CYCLE_1)
	s_mul_i32 s1, s0, s13
	s_add_i32 s2, s0, 1
	s_sub_i32 s1, s12, s1
	s_sub_i32 s3, s1, s13
	s_cmp_ge_u32 s1, s13
	s_cselect_b32 s0, s2, s0
	s_cselect_b32 s1, s3, s1
	s_add_i32 s2, s0, 1
	s_cmp_ge_u32 s1, s13
	s_cselect_b32 s18, s2, s0
	s_and_saveexec_b32 s0, vcc_lo
	s_delay_alu instid0(SALU_CYCLE_1)
	s_xor_b32 s1, exec_lo, s0
	s_cbranch_execz .LBB16_19
; %bb.6:
	s_mov_b32 s2, exec_lo
                                        ; implicit-def: $vgpr4
	v_cmpx_ne_u32_e32 8, v3
	s_xor_b32 s2, exec_lo, s2
	s_cbranch_execz .LBB16_16
; %bb.7:
	s_mov_b32 s3, exec_lo
                                        ; implicit-def: $vgpr4
	v_cmpx_lt_u32_e32 16, v3
	s_xor_b32 s3, exec_lo, s3
	s_cbranch_execz .LBB16_13
; %bb.8:
	v_lshl_add_u32 v1, v0, 1, v0
	s_mul_i32 s0, s18, s16
	s_delay_alu instid0(SALU_CYCLE_1) | instskip(NEXT) | instid1(SALU_CYCLE_1)
	s_ashr_i32 s17, s0, 31
	s_lshr_b32 s17, s17, 27
	s_delay_alu instid0(VALU_DEP_1) | instskip(SKIP_1) | instid1(SALU_CYCLE_1)
	v_ashrrev_i32_e32 v2, 31, v1
	s_add_i32 s0, s0, s17
	s_ashr_i32 s0, s0, 5
	s_delay_alu instid0(VALU_DEP_1) | instskip(NEXT) | instid1(VALU_DEP_1)
	v_lshrrev_b32_e32 v2, 27, v2
	v_add_nc_u32_e32 v1, v1, v2
	s_delay_alu instid0(VALU_DEP_1) | instskip(NEXT) | instid1(VALU_DEP_1)
	v_ashrrev_i32_e32 v1, 5, v1
	v_mad_u64_u32 v[4:5], null, s0, 3, v[1:2]
	s_delay_alu instid0(VALU_DEP_1) | instskip(NEXT) | instid1(VALU_DEP_1)
	v_ashrrev_i32_e32 v5, 31, v4
	v_lshlrev_b64 v[1:2], 2, v[4:5]
                                        ; implicit-def: $vgpr4
	s_delay_alu instid0(VALU_DEP_1) | instskip(NEXT) | instid1(VALU_DEP_1)
	v_add_co_u32 v1, s0, s6, v1
	v_add_co_ci_u32_e64 v2, s0, s7, v2, s0
	v_cmp_ne_u32_e64 s0, 20, v3
	global_load_b32 v5, v[1:2], off
	s_and_saveexec_b32 s17, s0
	s_delay_alu instid0(SALU_CYCLE_1)
	s_xor_b32 s0, exec_lo, s17
	s_cbranch_execz .LBB16_10
; %bb.9:
	v_mad_u32_u24 v1, v3, 3, 0xffffffc0
	s_waitcnt vmcnt(0)
	s_delay_alu instid0(VALU_DEP_1)
	v_lshrrev_b32_e32 v4, v1, v5
                                        ; implicit-def: $vgpr1_vgpr2
                                        ; implicit-def: $vgpr5
.LBB16_10:
	s_and_not1_saveexec_b32 s0, s0
	s_cbranch_execz .LBB16_12
; %bb.11:
	global_load_b32 v1, v[1:2], off offset:4
	s_waitcnt vmcnt(0)
	v_alignbit_b32 v1, v1, v5, 28
	s_delay_alu instid0(VALU_DEP_1)
	v_and_b32_e32 v4, 0xfff, v1
.LBB16_12:
	s_or_b32 exec_lo, exec_lo, s0
.LBB16_13:
	s_and_not1_saveexec_b32 s3, s3
	s_cbranch_execz .LBB16_15
; %bb.14:
	v_lshl_add_u32 v1, v0, 1, v0
	s_mul_i32 s0, s18, s16
	s_delay_alu instid0(SALU_CYCLE_1) | instskip(NEXT) | instid1(SALU_CYCLE_1)
	s_ashr_i32 s17, s0, 31
	s_lshr_b32 s17, s17, 27
	s_delay_alu instid0(VALU_DEP_1) | instskip(SKIP_1) | instid1(SALU_CYCLE_1)
	v_ashrrev_i32_e32 v2, 31, v1
	s_add_i32 s0, s0, s17
	s_ashr_i32 s0, s0, 5
	s_delay_alu instid0(VALU_DEP_1) | instskip(NEXT) | instid1(VALU_DEP_1)
	v_lshrrev_b32_e32 v2, 27, v2
	v_add_nc_u32_e32 v1, v1, v2
	s_delay_alu instid0(VALU_DEP_1) | instskip(SKIP_1) | instid1(VALU_DEP_1)
	v_ashrrev_i32_e32 v1, 5, v1
	s_waitcnt vmcnt(0)
	v_mad_u64_u32 v[4:5], null, s0, 3, v[1:2]
	s_delay_alu instid0(VALU_DEP_1) | instskip(NEXT) | instid1(VALU_DEP_1)
	v_ashrrev_i32_e32 v5, 31, v4
	v_lshlrev_b64 v[1:2], 2, v[4:5]
	s_delay_alu instid0(VALU_DEP_1) | instskip(NEXT) | instid1(VALU_DEP_1)
	v_add_co_u32 v1, s0, s6, v1
	v_add_co_ci_u32_e64 v2, s0, s7, v2, s0
	global_load_b32 v1, v[1:2], off
	v_mad_u32_u24 v2, v3, 3, 0xffffffe0
	s_waitcnt vmcnt(0)
	s_delay_alu instid0(VALU_DEP_1)
	v_lshrrev_b32_e32 v4, v2, v1
.LBB16_15:
	s_or_b32 exec_lo, exec_lo, s3
.LBB16_16:
	s_and_not1_saveexec_b32 s2, s2
	s_cbranch_execz .LBB16_18
; %bb.17:
	v_lshl_add_u32 v1, v0, 1, v0
	s_mul_i32 s0, s18, s16
	s_delay_alu instid0(SALU_CYCLE_1) | instskip(NEXT) | instid1(SALU_CYCLE_1)
	s_ashr_i32 s3, s0, 31
	s_lshr_b32 s3, s3, 27
	s_delay_alu instid0(VALU_DEP_1) | instskip(SKIP_1) | instid1(SALU_CYCLE_1)
	v_ashrrev_i32_e32 v2, 31, v1
	s_add_i32 s0, s0, s3
	s_ashr_i32 s0, s0, 5
	s_delay_alu instid0(VALU_DEP_1) | instskip(NEXT) | instid1(VALU_DEP_1)
	v_lshrrev_b32_e32 v2, 27, v2
	v_add_nc_u32_e32 v1, v1, v2
	s_delay_alu instid0(VALU_DEP_1) | instskip(SKIP_1) | instid1(VALU_DEP_1)
	v_ashrrev_i32_e32 v1, 5, v1
	s_waitcnt vmcnt(0)
	v_mad_u64_u32 v[4:5], null, s0, 3, v[1:2]
	s_delay_alu instid0(VALU_DEP_1) | instskip(NEXT) | instid1(VALU_DEP_1)
	v_ashrrev_i32_e32 v5, 31, v4
	v_lshlrev_b64 v[1:2], 2, v[4:5]
	s_delay_alu instid0(VALU_DEP_1) | instskip(NEXT) | instid1(VALU_DEP_1)
	v_add_co_u32 v1, s0, s6, v1
	v_add_co_ci_u32_e64 v2, s0, s7, v2, s0
	global_load_b64 v[1:2], v[1:2], off
	s_waitcnt vmcnt(0)
	v_perm_b32 v1, v1, v2, 0x2010007
	s_delay_alu instid0(VALU_DEP_1)
	v_and_b32_e32 v4, 0xfff, v1
.LBB16_18:
	s_or_b32 exec_lo, exec_lo, s2
.LBB16_19:
	s_or_saveexec_b32 s1, s1
	v_lshl_add_u32 v2, v0, 1, v0
	v_mul_u32_u24_e32 v7, 3, v3
	s_delay_alu instid0(VALU_DEP_2)
	v_ashrrev_i32_e32 v10, 31, v2
	s_xor_b32 exec_lo, exec_lo, s1
	s_cbranch_execz .LBB16_21
; %bb.20:
	s_delay_alu instid0(VALU_DEP_1) | instskip(SKIP_1) | instid1(SALU_CYCLE_1)
	v_lshrrev_b32_e32 v1, 27, v10
	s_mul_i32 s0, s18, s16
	s_ashr_i32 s2, s0, 31
	s_delay_alu instid0(SALU_CYCLE_1) | instskip(NEXT) | instid1(VALU_DEP_1)
	s_lshr_b32 s2, s2, 27
	v_add_nc_u32_e32 v1, v2, v1
	s_add_i32 s0, s0, s2
	s_delay_alu instid0(SALU_CYCLE_1) | instskip(NEXT) | instid1(VALU_DEP_1)
	s_ashr_i32 s0, s0, 5
	v_ashrrev_i32_e32 v1, 5, v1
	s_waitcnt vmcnt(0)
	s_delay_alu instid0(VALU_DEP_1) | instskip(NEXT) | instid1(VALU_DEP_1)
	v_mad_u64_u32 v[4:5], null, s0, 3, v[1:2]
	v_ashrrev_i32_e32 v5, 31, v4
	s_delay_alu instid0(VALU_DEP_1) | instskip(NEXT) | instid1(VALU_DEP_1)
	v_lshlrev_b64 v[4:5], 2, v[4:5]
	v_add_co_u32 v4, s0, s6, v4
	s_delay_alu instid0(VALU_DEP_1)
	v_add_co_ci_u32_e64 v5, s0, s7, v5, s0
	global_load_b32 v1, v[4:5], off
	s_waitcnt vmcnt(0)
	v_lshrrev_b32_e32 v4, v7, v1
.LBB16_21:
	s_or_b32 exec_lo, exec_lo, s1
	v_dual_mov_b32 v9, 0 :: v_dual_mov_b32 v8, 0
	s_cmp_ge_i32 s12, s15
	s_mov_b32 s20, 0
	s_cbranch_scc1 .LBB16_42
; %bb.22:
	v_ashrrev_i32_e32 v1, 31, v0
	s_add_i32 s21, s13, s12
	v_lshrrev_b32_e32 v8, 27, v10
	v_and_b32_e32 v13, 7, v4
	v_bfe_u32 v14, v4, 3, 3
	s_waitcnt vmcnt(0)
	v_mad_u64_u32 v[5:6], null, s18, s16, v[0:1]
	v_bfe_u32 v15, v4, 6, 3
	v_bfe_u32 v16, v4, 9, 3
	v_cmp_lt_u32_e64 s1, 16, v3
	v_cmp_ne_u32_e64 s2, 20, v3
	v_mad_u32_u24 v11, v3, 3, 0xffffffc0
	v_mad_u32_u24 v12, v3, 3, 0xffffffe0
	v_ashrrev_i32_e32 v6, 31, v5
	v_dual_mov_b32 v9, 0 :: v_dual_add_nc_u32 v2, v2, v8
	v_mov_b32_e32 v8, 0
	s_mov_b32 s24, 0x1c001c0
	s_delay_alu instid0(VALU_DEP_3) | instskip(NEXT) | instid1(VALU_DEP_3)
	v_lshlrev_b64 v[5:6], 1, v[5:6]
	v_ashrrev_i32_e32 v2, 5, v2
	s_delay_alu instid0(VALU_DEP_2) | instskip(NEXT) | instid1(VALU_DEP_1)
	v_add_co_u32 v5, s0, s8, v5
	v_add_co_ci_u32_e64 v6, s0, s9, v6, s0
	s_lshr_b32 s0, s12, 5
	s_delay_alu instid0(SALU_CYCLE_1) | instskip(SKIP_2) | instid1(SALU_CYCLE_1)
	s_mul_i32 s0, s0, s16
	global_load_b64 v[5:6], v[5:6], off
	s_mul_i32 s22, s0, 3
	s_ashr_i32 s23, s22, 31
	s_bitcmp1_b32 s19, 0
	s_mul_hi_i32 s19, s16, 12
	s_cselect_b32 s0, -1, 0
	s_lshl_b64 s[22:23], s[22:23], 2
	s_xor_b32 s0, s0, -1
	s_ashr_i32 s17, s16, 31
	v_cndmask_b32_e64 v10, 0, 1, s0
	v_cmp_ne_u32_e64 s0, 8, v3
	v_lshlrev_b64 v[3:4], 2, v[0:1]
	s_add_u32 s3, s4, s22
	s_addc_u32 s4, s5, s23
	s_mul_i32 s22, s16, 12
	s_mov_b32 s23, 0x380038
	s_delay_alu instid0(VALU_DEP_1) | instskip(NEXT) | instid1(VALU_DEP_1)
	v_add_co_u32 v3, s3, s3, v3
	v_add_co_ci_u32_e64 v4, s3, s4, v4, s3
	s_lshl_b64 s[4:5], s[16:17], 2
	s_mov_b32 s17, 0x70007
	s_branch .LBB16_25
.LBB16_23:                              ;   in Loop: Header=BB16_25 Depth=1
	s_or_b32 exec_lo, exec_lo, s3
	v_add_nc_u32_e32 v5, s25, v0
	s_waitcnt vmcnt(0)
	v_and_b32_e32 v13, 7, v1
	v_bfe_u32 v14, v1, 3, 3
	v_bfe_u32 v15, v1, 6, 3
	;; [unrolled: 1-line block ×3, first 2 shown]
	v_ashrrev_i32_e32 v6, 31, v5
	s_add_i32 s21, s21, s13
	s_delay_alu instid0(VALU_DEP_1) | instskip(NEXT) | instid1(VALU_DEP_1)
	v_lshlrev_b64 v[5:6], 1, v[5:6]
	v_add_co_u32 v5, s3, s8, v5
	s_delay_alu instid0(VALU_DEP_1)
	v_add_co_ci_u32_e64 v6, s3, s9, v6, s3
	global_load_b64 v[5:6], v[5:6], off
.LBB16_24:                              ;   in Loop: Header=BB16_25 Depth=1
	v_add_nc_u32_e32 v17, v14, v10
	v_add_co_u32 v25, s3, v3, s4
	s_delay_alu instid0(VALU_DEP_1) | instskip(NEXT) | instid1(VALU_DEP_3)
	v_add_co_ci_u32_e64 v26, s3, s5, v4, s3
	v_or_b32_e32 v45, 0xffffe400, v17
	v_cvt_f32_i32_e32 v17, v17
	v_add_nc_u32_e32 v1, v13, v10
	s_add_i32 s12, s12, 32
	global_load_b128 v[21:24], v[25:26], off
	v_add_co_u32 v25, s3, v25, s4
	v_cvt_f16_f32_e32 v17, v17
	v_or_b32_e32 v29, 0xffffe400, v1
	v_cvt_f32_i32_e32 v1, v1
	v_add_co_ci_u32_e64 v26, s3, s5, v26, s3
	s_delay_alu instid0(VALU_DEP_4)
	v_sub_f16_e32 v43, 0xd800, v17
	v_sub_f16_e32 v44, 0xcc00, v17
	v_add_nc_u32_e32 v17, v15, v10
	v_cvt_f16_f32_e32 v1, v1
	global_load_b128 v[25:28], v[25:26], off
	v_or_b32_e32 v61, 0xffffe400, v17
	v_cvt_f32_i32_e32 v17, v17
	v_sub_f16_e32 v30, 0xd800, v1
	v_sub_f16_e32 v1, 0xcc00, v1
	s_delay_alu instid0(VALU_DEP_3) | instskip(NEXT) | instid1(VALU_DEP_1)
	v_cvt_f16_f32_e32 v17, v17
	v_sub_f16_e32 v59, 0xd800, v17
	v_sub_f16_e32 v60, 0xcc00, v17
	v_add_nc_u32_e32 v17, v16, v10
	s_delay_alu instid0(VALU_DEP_1) | instskip(SKIP_1) | instid1(VALU_DEP_1)
	v_or_b32_e32 v63, 0xffffe400, v17
	v_cvt_f32_i32_e32 v17, v17
	v_cvt_f16_f32_e32 v17, v17
	s_delay_alu instid0(VALU_DEP_1) | instskip(SKIP_3) | instid1(VALU_DEP_1)
	v_sub_f16_e32 v64, 0xd800, v17
	v_sub_f16_e32 v65, 0xcc00, v17
	global_load_b128 v[17:20], v[3:4], off
	v_add_co_u32 v3, s3, v3, s22
	v_add_co_ci_u32_e64 v4, s3, s19, v4, s3
	s_waitcnt vmcnt(2)
	v_and_or_b32 v36, v21, s17, 0x64006400
	v_and_or_b32 v37, v21, s23, 0x64006400
	v_lshrrev_b32_e32 v38, 6, v21
	v_lshrrev_b32_e32 v21, 14, v21
	s_delay_alu instid0(VALU_DEP_4) | instskip(NEXT) | instid1(VALU_DEP_4)
	v_pk_add_f16 v71, v29, v36 op_sel_hi:[0,1]
	v_pk_fma_f16 v72, 0x3000, v37, v30 op_sel_hi:[0,1,0]
	s_delay_alu instid0(VALU_DEP_4) | instskip(NEXT) | instid1(VALU_DEP_4)
	v_and_or_b32 v40, v38, s23, 0x64006400
	v_and_b32_e32 v21, 0x20002, v21
	v_and_or_b32 v39, v38, s17, 0x64006400
	v_and_or_b32 v38, v38, s24, 0x64006400
	;; [unrolled: 1-line block ×3, first 2 shown]
	s_waitcnt vmcnt(1)
	v_and_or_b32 v41, v25, s17, 0x64006400
	v_and_or_b32 v42, v25, s23, 0x64006400
	v_lshrrev_b32_e32 v46, 6, v25
	v_lshrrev_b32_e32 v25, 13, v25
	v_and_or_b32 v56, v27, s17, 0x64006400
	v_and_or_b32 v57, v27, s23, 0x64006400
	;; [unrolled: 1-line block ×4, first 2 shown]
	v_pk_fma_f16 v74, 0x3000, v40, v30 op_sel_hi:[0,1,0]
	v_pk_add_f16 v73, v29, v39 op_sel_hi:[0,1]
	v_pk_fma_f16 v75, 0x2400, v38, v1 op_sel_hi:[0,1,0]
	v_and_or_b32 v40, v26, s17, 0x64006400
	v_pk_fma_f16 v36, 0x3000, v36, v43 op_sel_hi:[0,1,0]
	v_and_or_b32 v48, v46, s23, 0x64006400
	v_and_b32_e32 v25, 0x40004, v25
	v_and_or_b32 v47, v46, s17, 0x64006400
	v_and_or_b32 v46, v46, s24, 0x64006400
	v_pk_fma_f16 v77, 0x3000, v42, v30 op_sel_hi:[0,1,0]
	v_pk_add_f16 v76, v29, v41 op_sel_hi:[0,1]
	v_and_or_b32 v41, v26, s23, 0x64006400
	v_pk_add_f16 v56, v61, v56 op_sel_hi:[0,1]
	v_pk_fma_f16 v57, 0x3000, v57, v59 op_sel_hi:[0,1,0]
	v_pk_add_f16 v40, v45, v40 op_sel_hi:[0,1]
	v_pk_fma_f16 v79, 0x3000, v48, v30 op_sel_hi:[0,1,0]
	v_pk_fma_f16 v80, 0x2400, v46, v1 op_sel_hi:[0,1,0]
	v_pk_add_f16 v78, v29, v47 op_sel_hi:[0,1]
	v_pk_fma_f16 v41, 0x3000, v41, v43 op_sel_hi:[0,1,0]
	s_waitcnt vmcnt(0)
	v_and_or_b32 v31, v17, s17, 0x64006400
	v_and_or_b32 v32, v17, s23, 0x64006400
	v_lshrrev_b32_e32 v33, 6, v17
	v_lshrrev_b32_e32 v17, 15, v17
	s_delay_alu instid0(VALU_DEP_4) | instskip(NEXT) | instid1(VALU_DEP_4)
	v_pk_add_f16 v66, v29, v31 op_sel_hi:[0,1]
	v_pk_fma_f16 v67, 0x3000, v32, v30 op_sel_hi:[0,1,0]
	s_delay_alu instid0(VALU_DEP_4) | instskip(NEXT) | instid1(VALU_DEP_4)
	v_and_or_b32 v35, v33, s23, 0x64006400
	v_and_or_b32 v17, 0x10001, v17, v21
	;; [unrolled: 1-line block ×4, first 2 shown]
	v_lshrrev_b32_e32 v21, 6, v18
	v_pk_fma_f16 v69, 0x3000, v35, v30 op_sel_hi:[0,1,0]
	v_or3_b32 v17, v17, v25, 0x64006400
	v_and_or_b32 v35, v22, s17, 0x64006400
	v_lshrrev_b32_e32 v30, 6, v22
	v_lshrrev_b32_e32 v22, 14, v22
	v_pk_fma_f16 v70, 0x2400, v33, v1 op_sel_hi:[0,1,0]
	v_pk_add_f16 v81, v29, v17 op_sel_hi:[0,1]
	v_and_or_b32 v1, v18, s17, 0x64006400
	v_and_or_b32 v17, v18, s23, 0x64006400
	v_lshrrev_b32_e32 v18, 15, v18
	v_and_or_b32 v37, v30, s17, 0x64006400
	v_and_or_b32 v38, v30, s23, 0x64006400
	;; [unrolled: 1-line block ×3, first 2 shown]
	v_and_b32_e32 v22, 0x20002, v22
	v_lshrrev_b32_e32 v30, 6, v26
	v_lshrrev_b32_e32 v26, 13, v26
	v_pk_add_f16 v68, v29, v34 op_sel_hi:[0,1]
	v_and_or_b32 v25, v21, s17, 0x64006400
	v_and_or_b32 v18, 0x10001, v18, v22
	v_and_or_b32 v29, v21, s23, 0x64006400
	v_and_b32_e32 v26, 0x40004, v26
	v_and_or_b32 v42, v30, s17, 0x64006400
	v_and_or_b32 v46, v30, s23, 0x64006400
	v_and_or_b32 v21, v21, s24, 0x64006400
	v_and_or_b32 v47, v30, s24, 0x64006400
	v_or3_b32 v18, v18, v26, 0x64006400
	v_pk_add_f16 v30, v45, v1 op_sel_hi:[0,1]
	v_pk_fma_f16 v31, 0x3000, v17, v43 op_sel_hi:[0,1,0]
	v_pk_add_f16 v32, v45, v25 op_sel_hi:[0,1]
	v_pk_fma_f16 v33, 0x3000, v29, v43 op_sel_hi:[0,1,0]
	v_pk_add_f16 v35, v45, v35 op_sel_hi:[0,1]
	v_pk_add_f16 v37, v45, v37 op_sel_hi:[0,1]
	v_pk_fma_f16 v38, 0x3000, v38, v43 op_sel_hi:[0,1,0]
	v_pk_add_f16 v42, v45, v42 op_sel_hi:[0,1]
	v_pk_fma_f16 v43, 0x3000, v46, v43 op_sel_hi:[0,1,0]
	v_pk_add_f16 v45, v45, v18 op_sel_hi:[0,1]
	v_lshrrev_b32_e32 v18, 6, v19
	v_and_or_b32 v25, v23, s17, 0x64006400
	v_and_or_b32 v26, v23, s23, 0x64006400
	v_lshrrev_b32_e32 v29, 6, v23
	v_lshrrev_b32_e32 v23, 14, v23
	;; [unrolled: 1-line block ×3, first 2 shown]
	v_pk_fma_f16 v34, 0x2400, v21, v44 op_sel_hi:[0,1,0]
	v_and_or_b32 v1, v19, s17, 0x64006400
	v_and_or_b32 v17, v19, s23, 0x64006400
	;; [unrolled: 1-line block ×5, first 2 shown]
	v_lshrrev_b32_e32 v19, 15, v19
	v_and_or_b32 v53, v29, s17, 0x64006400
	v_and_or_b32 v54, v29, s23, 0x64006400
	;; [unrolled: 1-line block ×3, first 2 shown]
	v_and_b32_e32 v23, 0x20002, v23
	v_and_or_b32 v82, v46, s24, 0x64006400
	v_pk_add_f16 v51, v61, v25 op_sel_hi:[0,1]
	v_lshrrev_b32_e32 v25, 6, v24
	v_lshrrev_b32_e32 v27, 13, v27
	v_and_or_b32 v19, 0x10001, v19, v23
	v_pk_fma_f16 v49, 0x3000, v22, v59 op_sel_hi:[0,1,0]
	v_pk_fma_f16 v50, 0x2400, v18, v60 op_sel_hi:[0,1,0]
	v_pk_fma_f16 v55, 0x2400, v29, v60 op_sel_hi:[0,1,0]
	v_pk_fma_f16 v60, 0x2400, v82, v60 op_sel_hi:[0,1,0]
	v_and_or_b32 v22, v24, s17, 0x64006400
	v_and_or_b32 v23, v24, s23, 0x64006400
	;; [unrolled: 1-line block ×5, first 2 shown]
	v_lshrrev_b32_e32 v24, 14, v24
	v_lshrrev_b32_e32 v25, 6, v28
	v_pk_fma_f16 v39, 0x2400, v39, v44 op_sel_hi:[0,1,0]
	v_pk_fma_f16 v44, 0x2400, v47, v44 op_sel_hi:[0,1,0]
	v_and_or_b32 v58, v46, s17, 0x64006400
	v_and_or_b32 v62, v46, s23, 0x64006400
	v_and_b32_e32 v27, 0x40004, v27
	v_pk_add_f16 v46, v61, v1 op_sel_hi:[0,1]
	v_pk_fma_f16 v47, 0x3000, v17, v59 op_sel_hi:[0,1,0]
	v_and_or_b32 v1, v20, s17, 0x64006400
	v_and_or_b32 v17, v20, s23, 0x64006400
	v_lshrrev_b32_e32 v18, 6, v20
	v_lshrrev_b32_e32 v20, 15, v20
	v_and_b32_e32 v24, 0x20002, v24
	v_and_or_b32 v87, v25, s17, 0x64006400
	v_and_or_b32 v88, v25, s23, 0x64006400
	;; [unrolled: 1-line block ×3, first 2 shown]
	v_lshrrev_b32_e32 v25, 13, v28
	v_or3_b32 v19, v19, v27, 0x64006400
	v_and_or_b32 v20, 0x10001, v20, v24
	v_pk_add_f16 v48, v61, v21 op_sel_hi:[0,1]
	v_pk_add_f16 v53, v61, v53 op_sel_hi:[0,1]
	v_and_b32_e32 v25, 0x40004, v25
	v_pk_add_f16 v58, v61, v58 op_sel_hi:[0,1]
	v_pk_add_f16 v61, v61, v19 op_sel_hi:[0,1]
	v_and_or_b32 v19, v18, s17, 0x64006400
	v_and_or_b32 v21, v18, s23, 0x64006400
	;; [unrolled: 1-line block ×3, first 2 shown]
	v_or3_b32 v90, v20, v25, 0x64006400
	v_pk_add_f16 v24, v63, v82 op_sel_hi:[0,1]
	v_mov_b32_e32 v82, s20
	v_pk_fma_f16 v52, 0x3000, v26, v59 op_sel_hi:[0,1,0]
	v_pk_fma_f16 v54, 0x3000, v54, v59 op_sel_hi:[0,1,0]
	;; [unrolled: 1-line block ×3, first 2 shown]
	v_pk_add_f16 v91, v63, v1 op_sel_hi:[0,1]
	v_pk_fma_f16 v62, 0x3000, v17, v64 op_sel_hi:[0,1,0]
	v_pk_add_f16 v29, v63, v19 op_sel_hi:[0,1]
	v_pk_fma_f16 v28, 0x3000, v21, v64 op_sel_hi:[0,1,0]
	v_pk_fma_f16 v27, 0x2400, v18, v65 op_sel_hi:[0,1,0]
	v_pk_add_f16 v26, v63, v22 op_sel_hi:[0,1]
	v_pk_fma_f16 v25, 0x3000, v23, v64 op_sel_hi:[0,1,0]
	;; [unrolled: 3-line block ×3, first 2 shown]
	v_pk_add_f16 v19, v63, v87 op_sel_hi:[0,1]
	v_pk_fma_f16 v18, 0x3000, v88, v64 op_sel_hi:[0,1,0]
	v_pk_add_f16 v1, v63, v90 op_sel_hi:[0,1]
	ds_load_2addr_b32 v[63:64], v82 offset1:1
	v_pk_fma_f16 v22, 0x2400, v84, v65 op_sel_hi:[0,1,0]
	v_pk_fma_f16 v17, 0x2400, v89, v65 op_sel_hi:[0,1,0]
	s_add_i32 s20, s20, 64
	s_cmp_lt_i32 s12, s15
	s_waitcnt lgkmcnt(0)
	v_pk_fma_f16 v65, v66, v63, 0
	v_pk_fma_f16 v30, v30, v63, 0
	s_delay_alu instid0(VALU_DEP_2) | instskip(SKIP_4) | instid1(VALU_DEP_2)
	v_pk_fma_f16 v67, v67, v64, v65
	ds_load_2addr_b32 v[65:66], v82 offset0:2 offset1:3
	v_pk_fma_f16 v30, v31, v64, v30
	s_waitcnt lgkmcnt(0)
	v_pk_fma_f16 v67, v68, v65, v67
	v_pk_fma_f16 v30, v32, v65, v30
	s_delay_alu instid0(VALU_DEP_2) | instskip(SKIP_4) | instid1(VALU_DEP_2)
	v_pk_fma_f16 v69, v69, v66, v67
	ds_load_2addr_b32 v[67:68], v82 offset0:4 offset1:5
	v_pk_fma_f16 v30, v33, v66, v30
	;; [unrolled: 7-line block ×7, first 2 shown]
	s_waitcnt lgkmcnt(0)
	v_pk_fma_f16 v79, v80, v77, v79
	v_pk_fma_f16 v30, v44, v77, v30
	s_delay_alu instid0(VALU_DEP_2) | instskip(NEXT) | instid1(VALU_DEP_2)
	v_pk_fma_f16 v79, v81, v78, v79
	v_pk_fma_f16 v30, v45, v78, v30
	s_delay_alu instid0(VALU_DEP_1) | instskip(SKIP_1) | instid1(VALU_DEP_1)
	v_pack_b32_f16 v31, v79, v30
	v_perm_b32 v30, v30, v79, 0x7060302
	v_pk_add_f16 v30, v31, v30
	v_pk_fma_f16 v31, v91, v63, 0
	s_delay_alu instid0(VALU_DEP_2) | instskip(SKIP_1) | instid1(VALU_DEP_3)
	v_pk_fma_f16 v9, v30, v5, v9
	v_pk_fma_f16 v30, v46, v63, 0
	;; [unrolled: 1-line block ×3, first 2 shown]
	s_delay_alu instid0(VALU_DEP_2) | instskip(NEXT) | instid1(VALU_DEP_2)
	v_pk_fma_f16 v30, v47, v64, v30
	v_pk_fma_f16 v29, v29, v65, v31
	s_delay_alu instid0(VALU_DEP_2) | instskip(NEXT) | instid1(VALU_DEP_2)
	v_pk_fma_f16 v30, v48, v65, v30
	v_pk_fma_f16 v28, v28, v66, v29
	;; [unrolled: 3-line block ×14, first 2 shown]
	s_delay_alu instid0(VALU_DEP_2) | instskip(NEXT) | instid1(VALU_DEP_1)
	v_pk_fma_f16 v30, v61, v78, v30
	v_pack_b32_f16 v17, v30, v1
	v_perm_b32 v1, v1, v30, 0x7060302
	s_delay_alu instid0(VALU_DEP_1) | instskip(NEXT) | instid1(VALU_DEP_1)
	v_pk_add_f16 v1, v17, v1
	v_pk_fma_f16 v8, v1, v6, v8
	s_cbranch_scc0 .LBB16_42
.LBB16_25:                              ; =>This Inner Loop Header: Depth=1
	s_cmp_lg_u32 s12, s21
	s_cbranch_scc1 .LBB16_24
; %bb.26:                               ;   in Loop: Header=BB16_25 Depth=1
	s_add_i32 s18, s18, 1
                                        ; implicit-def: $vgpr1
	s_delay_alu instid0(SALU_CYCLE_1) | instskip(NEXT) | instid1(SALU_CYCLE_1)
	s_mul_i32 s25, s18, s16
	s_ashr_i32 s3, s25, 31
	s_delay_alu instid0(SALU_CYCLE_1) | instskip(NEXT) | instid1(SALU_CYCLE_1)
	s_lshr_b32 s3, s3, 27
	s_add_i32 s3, s25, s3
	s_delay_alu instid0(SALU_CYCLE_1) | instskip(SKIP_2) | instid1(VALU_DEP_1)
	s_ashr_i32 s3, s3, 5
	s_waitcnt vmcnt(0)
	v_mad_u64_u32 v[5:6], null, s3, 3, v[2:3]
	v_ashrrev_i32_e32 v6, 31, v5
	s_delay_alu instid0(VALU_DEP_1) | instskip(NEXT) | instid1(VALU_DEP_1)
	v_lshlrev_b64 v[5:6], 2, v[5:6]
	v_add_co_u32 v5, s3, s6, v5
	s_delay_alu instid0(VALU_DEP_1) | instskip(SKIP_2) | instid1(SALU_CYCLE_1)
	v_add_co_ci_u32_e64 v6, s3, s7, v6, s3
	global_load_b32 v13, v[5:6], off
	s_and_saveexec_b32 s3, vcc_lo
	s_xor_b32 s3, exec_lo, s3
	s_cbranch_execz .LBB16_40
; %bb.27:                               ;   in Loop: Header=BB16_25 Depth=1
                                        ; implicit-def: $vgpr1
	s_and_saveexec_b32 s26, s0
	s_delay_alu instid0(SALU_CYCLE_1)
	s_xor_b32 s26, exec_lo, s26
	s_cbranch_execz .LBB16_37
; %bb.28:                               ;   in Loop: Header=BB16_25 Depth=1
                                        ; implicit-def: $vgpr1
	s_and_saveexec_b32 s27, s1
	s_delay_alu instid0(SALU_CYCLE_1)
	;; [unrolled: 6-line block ×3, first 2 shown]
	s_xor_b32 s28, exec_lo, s28
	s_cbranch_execz .LBB16_31
; %bb.30:                               ;   in Loop: Header=BB16_25 Depth=1
	s_waitcnt vmcnt(0)
	v_lshrrev_b32_e32 v1, v11, v13
                                        ; implicit-def: $vgpr5_vgpr6
                                        ; implicit-def: $vgpr13
.LBB16_31:                              ;   in Loop: Header=BB16_25 Depth=1
	s_and_not1_saveexec_b32 s28, s28
	s_cbranch_execz .LBB16_33
; %bb.32:                               ;   in Loop: Header=BB16_25 Depth=1
	global_load_b32 v1, v[5:6], off offset:4
	s_waitcnt vmcnt(0)
	v_alignbit_b32 v1, v1, v13, 28
	s_delay_alu instid0(VALU_DEP_1)
	v_and_b32_e32 v1, 0xfff, v1
.LBB16_33:                              ;   in Loop: Header=BB16_25 Depth=1
	s_or_b32 exec_lo, exec_lo, s28
                                        ; implicit-def: $vgpr13
.LBB16_34:                              ;   in Loop: Header=BB16_25 Depth=1
	s_and_not1_saveexec_b32 s27, s27
	s_cbranch_execz .LBB16_36
; %bb.35:                               ;   in Loop: Header=BB16_25 Depth=1
	s_waitcnt vmcnt(0)
	v_lshrrev_b32_e32 v1, v12, v13
.LBB16_36:                              ;   in Loop: Header=BB16_25 Depth=1
	s_or_b32 exec_lo, exec_lo, s27
                                        ; implicit-def: $vgpr5_vgpr6
                                        ; implicit-def: $vgpr13
.LBB16_37:                              ;   in Loop: Header=BB16_25 Depth=1
	s_and_not1_saveexec_b32 s26, s26
	s_cbranch_execz .LBB16_39
; %bb.38:                               ;   in Loop: Header=BB16_25 Depth=1
	global_load_b32 v1, v[5:6], off offset:4
	s_waitcnt vmcnt(0)
	v_perm_b32 v1, v13, v1, 0x2010007
	s_delay_alu instid0(VALU_DEP_1)
	v_and_b32_e32 v1, 0xfff, v1
.LBB16_39:                              ;   in Loop: Header=BB16_25 Depth=1
	s_or_b32 exec_lo, exec_lo, s26
                                        ; implicit-def: $vgpr13
.LBB16_40:                              ;   in Loop: Header=BB16_25 Depth=1
	s_and_not1_saveexec_b32 s3, s3
	s_cbranch_execz .LBB16_23
; %bb.41:                               ;   in Loop: Header=BB16_25 Depth=1
	s_waitcnt vmcnt(0)
	v_lshrrev_b32_e32 v1, v7, v13
	s_branch .LBB16_23
.LBB16_42:
	v_mad_u64_u32 v[1:2], null, s14, s16, v[0:1]
	s_mov_b32 s0, 0
	s_delay_alu instid0(VALU_DEP_1) | instskip(NEXT) | instid1(VALU_DEP_1)
	v_ashrrev_i32_e32 v2, 31, v1
	v_lshlrev_b64 v[0:1], 1, v[1:2]
	s_delay_alu instid0(VALU_DEP_1) | instskip(NEXT) | instid1(VALU_DEP_2)
	v_add_co_u32 v0, vcc_lo, s10, v0
	v_add_co_ci_u32_e32 v1, vcc_lo, s11, v1, vcc_lo
	global_load_b32 v3, v[0:1], off
.LBB16_43:                              ; =>This Inner Loop Header: Depth=1
	s_waitcnt vmcnt(0)
	v_pk_add_f16 v2, v9, v3
	global_atomic_cmpswap_b32 v2, v[0:1], v[2:3], off glc
	s_waitcnt vmcnt(0)
	v_cmp_eq_u32_e32 vcc_lo, v3, v2
	v_mov_b32_e32 v3, v2
	s_or_b32 s0, vcc_lo, s0
	s_delay_alu instid0(SALU_CYCLE_1)
	s_and_not1_b32 exec_lo, exec_lo, s0
	s_cbranch_execnz .LBB16_43
; %bb.44:
	s_or_b32 exec_lo, exec_lo, s0
	global_load_b32 v3, v[0:1], off offset:4
	s_mov_b32 s0, 0
.LBB16_45:                              ; =>This Inner Loop Header: Depth=1
	s_waitcnt vmcnt(0)
	v_pk_add_f16 v2, v8, v3
	global_atomic_cmpswap_b32 v2, v[0:1], v[2:3], off offset:4 glc
	s_waitcnt vmcnt(0)
	v_cmp_eq_u32_e32 vcc_lo, v3, v2
	v_mov_b32_e32 v3, v2
	s_or_b32 s0, vcc_lo, s0
	s_delay_alu instid0(SALU_CYCLE_1)
	s_and_not1_b32 exec_lo, exec_lo, s0
	s_cbranch_execnz .LBB16_45
.LBB16_46:
	s_endpgm
	.section	.rodata,"a",@progbits
	.p2align	6, 0x0
	.amdhsa_kernel _ZN4vllm4gptq33gemm_half_q_half_gptq_3bit_kernelILb1ELi1EEEvPK6__halfPKjS6_S4_PS2_iiiibPKi
		.amdhsa_group_segment_fixed_size 256
		.amdhsa_private_segment_fixed_size 0
		.amdhsa_kernarg_size 72
		.amdhsa_user_sgpr_count 13
		.amdhsa_user_sgpr_dispatch_ptr 0
		.amdhsa_user_sgpr_queue_ptr 0
		.amdhsa_user_sgpr_kernarg_segment_ptr 1
		.amdhsa_user_sgpr_dispatch_id 0
		.amdhsa_user_sgpr_private_segment_size 0
		.amdhsa_wavefront_size32 1
		.amdhsa_uses_dynamic_stack 0
		.amdhsa_enable_private_segment 0
		.amdhsa_system_sgpr_workgroup_id_x 1
		.amdhsa_system_sgpr_workgroup_id_y 1
		.amdhsa_system_sgpr_workgroup_id_z 1
		.amdhsa_system_sgpr_workgroup_info 0
		.amdhsa_system_vgpr_workitem_id 0
		.amdhsa_next_free_vgpr 92
		.amdhsa_next_free_sgpr 29
		.amdhsa_reserve_vcc 1
		.amdhsa_float_round_mode_32 0
		.amdhsa_float_round_mode_16_64 0
		.amdhsa_float_denorm_mode_32 3
		.amdhsa_float_denorm_mode_16_64 3
		.amdhsa_dx10_clamp 1
		.amdhsa_ieee_mode 1
		.amdhsa_fp16_overflow 0
		.amdhsa_workgroup_processor_mode 1
		.amdhsa_memory_ordered 1
		.amdhsa_forward_progress 0
		.amdhsa_shared_vgpr_count 0
		.amdhsa_exception_fp_ieee_invalid_op 0
		.amdhsa_exception_fp_denorm_src 0
		.amdhsa_exception_fp_ieee_div_zero 0
		.amdhsa_exception_fp_ieee_overflow 0
		.amdhsa_exception_fp_ieee_underflow 0
		.amdhsa_exception_fp_ieee_inexact 0
		.amdhsa_exception_int_div_zero 0
	.end_amdhsa_kernel
	.section	.text._ZN4vllm4gptq33gemm_half_q_half_gptq_3bit_kernelILb1ELi1EEEvPK6__halfPKjS6_S4_PS2_iiiibPKi,"axG",@progbits,_ZN4vllm4gptq33gemm_half_q_half_gptq_3bit_kernelILb1ELi1EEEvPK6__halfPKjS6_S4_PS2_iiiibPKi,comdat
.Lfunc_end16:
	.size	_ZN4vllm4gptq33gemm_half_q_half_gptq_3bit_kernelILb1ELi1EEEvPK6__halfPKjS6_S4_PS2_iiiibPKi, .Lfunc_end16-_ZN4vllm4gptq33gemm_half_q_half_gptq_3bit_kernelILb1ELi1EEEvPK6__halfPKjS6_S4_PS2_iiiibPKi
                                        ; -- End function
	.section	.AMDGPU.csdata,"",@progbits
; Kernel info:
; codeLenInByte = 4804
; NumSgprs: 31
; NumVgprs: 92
; ScratchSize: 0
; MemoryBound: 0
; FloatMode: 240
; IeeeMode: 1
; LDSByteSize: 256 bytes/workgroup (compile time only)
; SGPRBlocks: 3
; VGPRBlocks: 11
; NumSGPRsForWavesPerEU: 31
; NumVGPRsForWavesPerEU: 92
; Occupancy: 16
; WaveLimiterHint : 0
; COMPUTE_PGM_RSRC2:SCRATCH_EN: 0
; COMPUTE_PGM_RSRC2:USER_SGPR: 13
; COMPUTE_PGM_RSRC2:TRAP_HANDLER: 0
; COMPUTE_PGM_RSRC2:TGID_X_EN: 1
; COMPUTE_PGM_RSRC2:TGID_Y_EN: 1
; COMPUTE_PGM_RSRC2:TGID_Z_EN: 1
; COMPUTE_PGM_RSRC2:TIDIG_COMP_CNT: 0
	.section	.text._ZN4vllm4gptq33gemm_half_q_half_gptq_4bit_kernelILb1ELi1EEEvPK6__halfPKjS6_S4_PS2_iiiibPKi,"axG",@progbits,_ZN4vllm4gptq33gemm_half_q_half_gptq_4bit_kernelILb1ELi1EEEvPK6__halfPKjS6_S4_PS2_iiiibPKi,comdat
	.protected	_ZN4vllm4gptq33gemm_half_q_half_gptq_4bit_kernelILb1ELi1EEEvPK6__halfPKjS6_S4_PS2_iiiibPKi ; -- Begin function _ZN4vllm4gptq33gemm_half_q_half_gptq_4bit_kernelILb1ELi1EEEvPK6__halfPKjS6_S4_PS2_iiiibPKi
	.globl	_ZN4vllm4gptq33gemm_half_q_half_gptq_4bit_kernelILb1ELi1EEEvPK6__halfPKjS6_S4_PS2_iiiibPKi
	.p2align	8
	.type	_ZN4vllm4gptq33gemm_half_q_half_gptq_4bit_kernelILb1ELi1EEEvPK6__halfPKjS6_S4_PS2_iiiibPKi,@function
_ZN4vllm4gptq33gemm_half_q_half_gptq_4bit_kernelILb1ELi1EEEvPK6__halfPKjS6_S4_PS2_iiiibPKi: ; @_ZN4vllm4gptq33gemm_half_q_half_gptq_4bit_kernelILb1ELi1EEEvPK6__halfPKjS6_S4_PS2_iiiibPKi
; %bb.0:
	s_load_b128 s[16:19], s[0:1], 0x2c
	s_lshl_b32 s12, s15, 7
	s_load_b256 s[4:11], s[0:1], 0x8
	s_add_i32 s2, s12, 0x80
	s_mov_b32 s20, exec_lo
	v_cvt_f64_u32_e32 v[1:2], s2
	s_waitcnt lgkmcnt(0)
	v_cvt_f64_i32_e32 v[3:4], s17
	s_delay_alu instid0(VALU_DEP_1) | instskip(NEXT) | instid1(VALU_DEP_1)
	v_min_f64 v[1:2], v[1:2], v[3:4]
	v_cvt_i32_f64_e32 v2, v[1:2]
	v_add_nc_u32_e32 v1, s12, v0
	s_delay_alu instid0(VALU_DEP_2) | instskip(NEXT) | instid1(VALU_DEP_2)
	v_readfirstlane_b32 s15, v2
	v_cmpx_lt_u32_e64 v1, v2
	s_cbranch_execz .LBB17_4
; %bb.1:
	s_clause 0x1
	s_load_b64 s[2:3], s[0:1], 0x40
	s_load_b64 s[0:1], s[0:1], 0x0
	v_mov_b32_e32 v2, 0
	s_waitcnt lgkmcnt(0)
	s_cmp_eq_u64 s[2:3], 0
	s_cbranch_scc1 .LBB17_3
; %bb.2:
	s_delay_alu instid0(VALU_DEP_1) | instskip(NEXT) | instid1(VALU_DEP_1)
	v_lshlrev_b64 v[1:2], 2, v[1:2]
	v_add_co_u32 v1, vcc_lo, s2, v1
	s_delay_alu instid0(VALU_DEP_2)
	v_add_co_ci_u32_e32 v2, vcc_lo, s3, v2, vcc_lo
	global_load_b32 v1, v[1:2], off
	s_waitcnt vmcnt(0)
	v_ashrrev_i32_e32 v2, 31, v1
.LBB17_3:
	s_mul_i32 s2, s14, s17
	s_delay_alu instid0(VALU_DEP_1) | instskip(SKIP_1) | instid1(SALU_CYCLE_1)
	v_lshlrev_b64 v[1:2], 1, v[1:2]
	s_ashr_i32 s3, s2, 31
	s_lshl_b64 s[2:3], s[2:3], 1
	s_delay_alu instid0(SALU_CYCLE_1) | instskip(SKIP_1) | instid1(VALU_DEP_1)
	s_add_u32 s0, s0, s2
	s_addc_u32 s1, s1, s3
	v_add_co_u32 v1, vcc_lo, s0, v1
	v_add_co_ci_u32_e32 v2, vcc_lo, s1, v2, vcc_lo
	global_load_u16 v1, v[1:2], off
	v_lshlrev_b32_e32 v2, 1, v0
	s_waitcnt vmcnt(0)
	ds_store_b16 v2, v1
.LBB17_4:
	s_or_b32 exec_lo, exec_lo, s20
	v_lshlrev_b32_e32 v1, 2, v0
	s_mov_b32 s0, exec_lo
	s_delay_alu instid0(VALU_DEP_1) | instskip(NEXT) | instid1(VALU_DEP_1)
	v_lshl_add_u32 v1, s13, 9, v1
	v_cmpx_gt_i32_e64 s16, v1
	s_cbranch_execz .LBB17_15
; %bb.5:
	s_abs_i32 s0, s18
	v_dual_mov_b32 v4, 0 :: v_dual_mov_b32 v7, 0
	v_cvt_f32_u32_e32 v2, s0
	s_cmp_ge_i32 s12, s15
	s_mov_b32 s13, 0
	s_waitcnt lgkmcnt(0)
	s_barrier
	v_rcp_iflag_f32_e32 v2, v2
	buffer_gl0_inv
	v_dual_mov_b32 v5, 0 :: v_dual_mul_f32 v2, 0x4f7ffffe, v2
	s_delay_alu instid0(VALU_DEP_1) | instskip(SKIP_1) | instid1(VALU_DEP_2)
	v_cvt_u32_f32_e32 v3, v2
	v_mov_b32_e32 v2, 0
	v_readfirstlane_b32 s1, v3
	s_cbranch_scc1 .LBB17_11
; %bb.6:
	s_sub_i32 s2, 0, s0
	s_abs_i32 s3, s17
	s_delay_alu instid0(VALU_DEP_1)
	s_mul_i32 s2, s2, s1
	v_lshlrev_b32_e32 v13, 4, v0
	s_mul_hi_u32 s2, s1, s2
	v_mov_b32_e32 v0, 0
	s_add_i32 s1, s1, s2
	s_ashr_i32 s2, s17, 31
	s_mul_hi_u32 s1, s3, s1
	s_ashr_i32 s17, s18, 31
	s_mul_i32 s18, s1, s0
	s_xor_b32 s2, s2, s17
	s_sub_i32 s3, s3, s18
	s_add_i32 s17, s1, 1
	s_sub_i32 s18, s3, s0
	s_cmp_ge_u32 s3, s0
	s_cselect_b32 s1, s17, s1
	s_cselect_b32 s3, s18, s3
	s_add_i32 s17, s1, 1
	s_cmp_ge_u32 s3, s0
	s_cselect_b32 s0, s17, s1
	s_delay_alu instid0(SALU_CYCLE_1) | instskip(NEXT) | instid1(SALU_CYCLE_1)
	s_xor_b32 s0, s0, s2
	s_sub_i32 s18, s0, s2
	s_bitcmp1_b32 s19, 0
	v_cvt_f32_u32_e32 v2, s18
	s_cselect_b32 s1, -1, 0
	s_sub_i32 s2, 0, s18
	s_xor_b32 s3, s1, -1
	s_delay_alu instid0(VALU_DEP_1) | instskip(SKIP_2) | instid1(VALU_DEP_1)
	v_rcp_iflag_f32_e32 v2, v2
	s_waitcnt_depctr 0xfff
	v_mul_f32_e32 v2, 0x4f7ffffe, v2
	v_cvt_u32_f32_e32 v2, v2
	s_delay_alu instid0(VALU_DEP_1) | instskip(SKIP_1) | instid1(VALU_DEP_2)
	v_readfirstlane_b32 s0, v2
	v_ashrrev_i32_e32 v2, 31, v1
	s_mul_i32 s2, s2, s0
	s_delay_alu instid0(VALU_DEP_1) | instskip(SKIP_1) | instid1(SALU_CYCLE_1)
	v_lshrrev_b32_e32 v3, 29, v2
	s_mul_hi_u32 s2, s0, s2
	s_add_i32 s0, s0, s2
	s_delay_alu instid0(VALU_DEP_1) | instskip(SKIP_1) | instid1(SALU_CYCLE_1)
	v_add_nc_u32_e32 v3, v1, v3
	s_mul_hi_u32 s0, s12, s0
	s_mul_i32 s2, s0, s18
	s_delay_alu instid0(SALU_CYCLE_1)
	s_sub_i32 s1, s12, s2
	s_add_i32 s2, s0, 1
	s_sub_i32 s17, s1, s18
	s_cmp_ge_u32 s1, s18
	v_ashrrev_i32_e32 v4, 3, v3
	s_cselect_b32 s0, s2, s0
	s_cselect_b32 s1, s17, s1
	s_add_i32 s2, s0, 1
	s_cmp_ge_u32 s1, s18
	v_lshlrev_b64 v[2:3], 2, v[1:2]
	s_cselect_b32 s19, s2, s0
	s_delay_alu instid0(SALU_CYCLE_1) | instskip(NEXT) | instid1(SALU_CYCLE_1)
	s_mul_i32 s0, s19, s16
	s_ashr_i32 s1, s0, 31
	v_add_nc_u32_e32 v5, s0, v1
	s_lshr_b32 s1, s1, 29
	s_delay_alu instid0(SALU_CYCLE_1) | instskip(NEXT) | instid1(SALU_CYCLE_1)
	s_add_i32 s0, s0, s1
	s_ashr_i32 s0, s0, 3
	s_delay_alu instid0(VALU_DEP_1) | instskip(SKIP_2) | instid1(SALU_CYCLE_1)
	v_ashrrev_i32_e32 v6, 31, v5
	v_add_nc_u32_e32 v7, s0, v4
	s_lshr_b32 s0, s12, 3
	s_mul_i32 s0, s0, s16
	s_delay_alu instid0(VALU_DEP_2) | instskip(NEXT) | instid1(VALU_DEP_2)
	v_lshlrev_b64 v[5:6], 1, v[5:6]
	v_ashrrev_i32_e32 v8, 31, v7
	s_ashr_i32 s1, s0, 31
	s_delay_alu instid0(SALU_CYCLE_1) | instskip(NEXT) | instid1(VALU_DEP_1)
	s_lshl_b64 s[0:1], s[0:1], 2
	v_lshlrev_b64 v[7:8], 2, v[7:8]
	s_delay_alu instid0(VALU_DEP_3) | instskip(SKIP_2) | instid1(VALU_DEP_3)
	v_add_co_u32 v5, vcc_lo, s8, v5
	v_add_co_ci_u32_e32 v6, vcc_lo, s9, v6, vcc_lo
	s_add_u32 s0, s4, s0
	v_add_co_u32 v7, vcc_lo, s6, v7
	s_delay_alu instid0(VALU_DEP_4)
	v_add_co_ci_u32_e32 v8, vcc_lo, s7, v8, vcc_lo
	s_addc_u32 s1, s5, s1
	global_load_b64 v[11:12], v[5:6], off
	global_load_b32 v9, v[7:8], off
	v_dual_mov_b32 v6, 0 :: v_dual_and_b32 v7, 16, v13
	v_cndmask_b32_e64 v8, 0, 1, s3
	v_add_co_u32 v2, vcc_lo, s0, v2
	v_add_co_ci_u32_e32 v3, vcc_lo, s1, v3, vcc_lo
	s_ashr_i32 s17, s16, 31
	s_add_i32 s4, s18, s12
	s_lshl_b64 s[0:1], s[16:17], 4
	s_lshl_b64 s[2:3], s[16:17], 2
	s_mov_b32 s5, 0xf000f
	s_mov_b32 s17, 0xf000f0
	s_waitcnt vmcnt(1)
	v_lshrrev_b32_e32 v14, 16, v11
	s_waitcnt vmcnt(0)
	v_lshrrev_b32_e32 v13, v13, v9
	v_cvt_f32_f16_e32 v10, v11
	v_cvt_f32_f16_e32 v11, v12
	v_lshrrev_b32_e32 v15, 16, v12
	v_bfe_u32 v9, v9, v7, 4
	v_cvt_f32_f16_e32 v12, v14
	v_bfe_u32 v14, v13, 12, 4
	v_bfe_u32 v16, v13, 8, 4
	v_bfe_u32 v17, v13, 4, 4
	v_mov_b32_e32 v5, 0
	v_add_nc_u32_e32 v9, v9, v8
	v_add_nc_u32_e32 v14, v14, v8
	v_cvt_f32_f16_e32 v13, v15
	v_add_nc_u32_e32 v15, v16, v8
	v_add_nc_u32_e32 v16, v17, v8
	v_cvt_f32_ubyte0_e32 v17, v9
	v_or_b32_e32 v9, 0xffffe400, v9
	v_cvt_f32_ubyte0_e32 v18, v14
	v_or_b32_e32 v19, 0xffffe400, v14
	v_cvt_f32_ubyte0_e32 v20, v15
	v_cvt_f32_ubyte0_e32 v21, v16
	v_or_b32_e32 v22, 0xffffe400, v16
	v_cvt_f16_f32_e32 v17, v17
	v_perm_b32 v14, v9, v9, 0x5040100
	v_cvt_f16_f32_e32 v9, v18
	v_perm_b32 v16, v19, v19, 0x5040100
	v_cvt_f16_f32_e32 v18, v20
	v_cvt_f16_f32_e32 v19, v21
	v_or_b32_e32 v15, 0xffffe400, v15
	v_sub_f16_e32 v20, 0xd400, v17
	v_sub_f16_e32 v9, 0xd400, v9
	;; [unrolled: 1-line block ×4, first 2 shown]
	v_perm_b32 v15, v15, v15, 0x5040100
	v_perm_b32 v17, v22, v22, 0x5040100
	v_pack_b32_f16 v18, v20, v20
	v_pack_b32_f16 v19, v9, v9
	v_mov_b32_e32 v9, 0
	v_pack_b32_f16 v20, v21, v21
	v_pack_b32_f16 v21, v23, v23
	s_branch .LBB17_8
.LBB17_7:                               ;   in Loop: Header=BB17_8 Depth=1
	v_add_co_u32 v30, vcc_lo, v2, s2
	v_add_co_ci_u32_e32 v31, vcc_lo, s3, v3, vcc_lo
	global_load_b128 v[22:25], v[2:3], off
	v_add_co_u32 v34, vcc_lo, v30, s2
	global_load_b128 v[26:29], v[30:31], off
	v_add_co_ci_u32_e32 v35, vcc_lo, s3, v31, vcc_lo
	v_mov_b32_e32 v52, s13
	s_add_i32 s12, s12, 32
	s_add_i32 s13, s13, 64
	global_load_b128 v[30:33], v[34:35], off
	v_add_co_u32 v34, vcc_lo, v34, s2
	v_add_co_ci_u32_e32 v35, vcc_lo, s3, v35, vcc_lo
	v_add_co_u32 v2, vcc_lo, v2, s0
	v_add_co_ci_u32_e32 v3, vcc_lo, s1, v3, vcc_lo
	global_load_b128 v[34:37], v[34:35], off
	ds_load_2addr_b32 v[38:39], v52 offset1:1
	ds_load_2addr_b32 v[40:41], v52 offset0:2 offset1:3
	ds_load_2addr_b32 v[42:43], v52 offset0:4 offset1:5
	;; [unrolled: 1-line block ×7, first 2 shown]
	s_cmp_lt_i32 s12, s15
	s_waitcnt vmcnt(3)
	v_and_or_b32 v54, v22, s5, 0x64006400
	v_and_or_b32 v56, v23, s5, 0x64006400
	;; [unrolled: 1-line block ×5, first 2 shown]
	v_lshrrev_b32_e32 v22, 8, v22
	v_and_or_b32 v57, v23, s17, 0x64006400
	v_lshrrev_b32_e32 v23, 8, v23
	v_and_or_b32 v59, v24, s17, 0x64006400
	;; [unrolled: 2-line block ×3, first 2 shown]
	v_lshrrev_b32_e32 v25, 8, v25
	v_pk_add_f16 v54, v14, v54
	v_pk_add_f16 v56, v17, v56
	;; [unrolled: 1-line block ×4, first 2 shown]
	s_waitcnt vmcnt(2)
	v_and_or_b32 v66, v26, s5, 0x64006400
	v_and_or_b32 v67, v26, s17, 0x64006400
	v_lshrrev_b32_e32 v26, 8, v26
	v_and_or_b32 v68, v27, s5, 0x64006400
	v_and_or_b32 v70, v28, s5, 0x64006400
	v_and_or_b32 v71, v28, s17, 0x64006400
	v_lshrrev_b32_e32 v28, 8, v28
	v_and_or_b32 v72, v29, s5, 0x64006400
	v_and_or_b32 v62, v22, s5, 0x64006400
	v_pk_fma_f16 v55, 0x2c00, v55, v18 op_sel_hi:[0,1,1]
	v_and_or_b32 v63, v23, s5, 0x64006400
	v_pk_fma_f16 v57, 0x2c00, v57, v21 op_sel_hi:[0,1,1]
	;; [unrolled: 2-line block ×4, first 2 shown]
	v_and_or_b32 v69, v27, s17, 0x64006400
	v_lshrrev_b32_e32 v27, 8, v27
	v_and_or_b32 v73, v29, s17, 0x64006400
	v_lshrrev_b32_e32 v29, 8, v29
	s_waitcnt lgkmcnt(7)
	v_pk_fma_f16 v54, v54, v38, 0
	v_pk_fma_f16 v56, v56, v38, 0
	;; [unrolled: 1-line block ×4, first 2 shown]
	v_and_or_b32 v60, v26, s5, 0x64006400
	v_pk_add_f16 v66, v14, v66
	v_pk_add_f16 v68, v17, v68
	v_and_or_b32 v75, v28, s5, 0x64006400
	v_pk_add_f16 v70, v15, v70
	v_pk_add_f16 v72, v16, v72
	s_waitcnt vmcnt(1)
	v_and_or_b32 v77, v30, s5, 0x64006400
	v_and_or_b32 v78, v30, s17, 0x64006400
	;; [unrolled: 1-line block ×5, first 2 shown]
	v_lshrrev_b32_e32 v32, 8, v32
	v_and_or_b32 v83, v33, s5, 0x64006400
	v_and_or_b32 v22, v22, s17, 0x64006400
	;; [unrolled: 1-line block ×5, first 2 shown]
	v_pk_add_f16 v62, v14, v62
	v_pk_add_f16 v63, v17, v63
	v_pk_add_f16 v64, v15, v64
	v_pk_add_f16 v65, v16, v65
	v_pk_fma_f16 v67, 0x2c00, v67, v18 op_sel_hi:[0,1,1]
	v_and_or_b32 v74, v27, s5, 0x64006400
	v_pk_fma_f16 v69, 0x2c00, v69, v21 op_sel_hi:[0,1,1]
	v_pk_fma_f16 v71, 0x2c00, v71, v20 op_sel_hi:[0,1,1]
	v_and_or_b32 v76, v29, s5, 0x64006400
	v_pk_fma_f16 v73, 0x2c00, v73, v19 op_sel_hi:[0,1,1]
	v_lshrrev_b32_e32 v30, 8, v30
	v_and_or_b32 v80, v31, s17, 0x64006400
	v_lshrrev_b32_e32 v31, 8, v31
	v_and_or_b32 v84, v33, s17, 0x64006400
	v_lshrrev_b32_e32 v33, 8, v33
	v_pk_fma_f16 v54, v55, v39, v54
	v_pk_fma_f16 v55, v57, v39, v56
	v_pk_fma_f16 v56, v59, v39, v58
	v_pk_fma_f16 v38, v61, v39, v38
	v_pk_add_f16 v39, v14, v60
	v_pk_add_f16 v58, v15, v75
	s_waitcnt lgkmcnt(5)
	v_pk_fma_f16 v60, v66, v42, 0
	v_pk_fma_f16 v61, v68, v42, 0
	;; [unrolled: 1-line block ×4, first 2 shown]
	v_pk_add_f16 v70, v14, v77
	v_pk_fma_f16 v72, 0x2c00, v78, v18 op_sel_hi:[0,1,1]
	v_pk_add_f16 v75, v17, v79
	v_and_or_b32 v77, v32, s5, 0x64006400
	v_pk_add_f16 v78, v15, v81
	v_pk_add_f16 v81, v16, v83
	s_waitcnt vmcnt(0)
	v_and_or_b32 v83, v34, s5, 0x64006400
	v_and_or_b32 v85, v35, s5, 0x64006400
	;; [unrolled: 1-line block ×4, first 2 shown]
	v_pk_fma_f16 v22, 0x2c00, v22, v18 op_sel_hi:[0,1,1]
	v_pk_fma_f16 v23, 0x2c00, v23, v21 op_sel_hi:[0,1,1]
	;; [unrolled: 1-line block ×4, first 2 shown]
	v_and_or_b32 v26, v26, s17, 0x64006400
	v_and_or_b32 v27, v27, s17, 0x64006400
	v_and_or_b32 v28, v28, s17, 0x64006400
	v_and_or_b32 v29, v29, s17, 0x64006400
	v_pk_add_f16 v57, v17, v74
	v_pk_add_f16 v59, v16, v76
	v_and_or_b32 v68, v30, s5, 0x64006400
	v_and_or_b32 v74, v31, s5, 0x64006400
	v_pk_fma_f16 v76, 0x2c00, v80, v21 op_sel_hi:[0,1,1]
	v_pk_fma_f16 v79, 0x2c00, v82, v20 op_sel_hi:[0,1,1]
	v_and_or_b32 v80, v33, s5, 0x64006400
	v_pk_fma_f16 v82, 0x2c00, v84, v19 op_sel_hi:[0,1,1]
	v_and_or_b32 v84, v34, s17, 0x64006400
	v_lshrrev_b32_e32 v34, 8, v34
	v_and_or_b32 v86, v35, s17, 0x64006400
	v_lshrrev_b32_e32 v35, 8, v35
	;; [unrolled: 2-line block ×4, first 2 shown]
	v_pk_fma_f16 v54, v62, v40, v54
	v_pk_fma_f16 v55, v63, v40, v55
	;; [unrolled: 1-line block ×8, first 2 shown]
	v_pk_add_f16 v63, v15, v77
	s_waitcnt lgkmcnt(3)
	v_pk_fma_f16 v65, v70, v46, 0
	v_pk_fma_f16 v66, v75, v46, 0
	;; [unrolled: 1-line block ×4, first 2 shown]
	v_pk_add_f16 v69, v14, v83
	v_pk_add_f16 v73, v17, v85
	;; [unrolled: 1-line block ×4, first 2 shown]
	v_pk_fma_f16 v26, 0x2c00, v26, v18 op_sel_hi:[0,1,1]
	v_pk_fma_f16 v27, 0x2c00, v27, v21 op_sel_hi:[0,1,1]
	;; [unrolled: 1-line block ×4, first 2 shown]
	v_and_or_b32 v30, v30, s17, 0x64006400
	v_and_or_b32 v31, v31, s17, 0x64006400
	;; [unrolled: 1-line block ×4, first 2 shown]
	v_pk_add_f16 v43, v14, v68
	v_pk_add_f16 v62, v17, v74
	;; [unrolled: 1-line block ×3, first 2 shown]
	v_and_or_b32 v68, v34, s5, 0x64006400
	v_pk_fma_f16 v70, 0x2c00, v84, v18 op_sel_hi:[0,1,1]
	v_and_or_b32 v71, v35, s5, 0x64006400
	v_pk_fma_f16 v74, 0x2c00, v86, v21 op_sel_hi:[0,1,1]
	;; [unrolled: 2-line block ×4, first 2 shown]
	v_pk_fma_f16 v22, v22, v41, v54
	v_pk_fma_f16 v23, v23, v41, v55
	;; [unrolled: 1-line block ×12, first 2 shown]
	s_waitcnt lgkmcnt(1)
	v_pk_fma_f16 v58, v69, v50, 0
	v_pk_fma_f16 v59, v73, v50, 0
	;; [unrolled: 1-line block ×4, first 2 shown]
	v_pk_fma_f16 v30, 0x2c00, v30, v18 op_sel_hi:[0,1,1]
	v_pk_fma_f16 v31, 0x2c00, v31, v21 op_sel_hi:[0,1,1]
	;; [unrolled: 1-line block ×4, first 2 shown]
	v_and_or_b32 v34, v34, s17, 0x64006400
	v_and_or_b32 v35, v35, s17, 0x64006400
	;; [unrolled: 1-line block ×4, first 2 shown]
	v_pk_add_f16 v47, v14, v68
	v_pk_add_f16 v55, v17, v71
	;; [unrolled: 1-line block ×4, first 2 shown]
	v_cvt_f32_f16_e32 v61, v22
	v_lshrrev_b32_e32 v22, 16, v22
	v_cvt_f32_f16_e32 v65, v23
	v_lshrrev_b32_e32 v23, 16, v23
	;; [unrolled: 2-line block ×4, first 2 shown]
	v_pk_fma_f16 v26, v26, v45, v38
	v_pk_fma_f16 v27, v27, v45, v39
	;; [unrolled: 1-line block ×12, first 2 shown]
	v_pk_fma_f16 v34, 0x2c00, v34, v18 op_sel_hi:[0,1,1]
	v_pk_fma_f16 v35, 0x2c00, v35, v21 op_sel_hi:[0,1,1]
	;; [unrolled: 1-line block ×4, first 2 shown]
	v_cvt_f32_f16_e32 v22, v22
	v_cvt_f32_f16_e32 v23, v23
	;; [unrolled: 1-line block ×5, first 2 shown]
	v_lshrrev_b32_e32 v26, 16, v26
	v_add_f32_e32 v23, v65, v23
	v_cvt_f32_f16_e32 v48, v27
	v_lshrrev_b32_e32 v27, 16, v27
	v_cvt_f32_f16_e32 v50, v28
	v_lshrrev_b32_e32 v28, 16, v28
	;; [unrolled: 2-line block ×3, first 2 shown]
	v_pk_fma_f16 v30, v30, v49, v38
	v_pk_fma_f16 v31, v31, v49, v39
	;; [unrolled: 1-line block ×4, first 2 shown]
	s_waitcnt lgkmcnt(0)
	v_pk_fma_f16 v38, v47, v52, v42
	v_pk_fma_f16 v39, v55, v52, v43
	;; [unrolled: 1-line block ×4, first 2 shown]
	v_dual_add_f32 v22, v61, v22 :: v_dual_add_f32 v25, v67, v25
	v_cvt_f32_f16_e32 v26, v26
	v_cvt_f32_f16_e32 v27, v27
	v_add_f32_e32 v24, v66, v24
	v_cvt_f32_f16_e32 v28, v28
	v_cvt_f32_f16_e32 v29, v29
	;; [unrolled: 1-line block ×3, first 2 shown]
	v_lshrrev_b32_e32 v30, 16, v30
	v_cvt_f32_f16_e32 v43, v31
	v_lshrrev_b32_e32 v31, 16, v31
	v_cvt_f32_f16_e32 v44, v32
	;; [unrolled: 2-line block ×3, first 2 shown]
	v_lshrrev_b32_e32 v33, 16, v33
	v_pk_fma_f16 v34, v34, v53, v38
	v_pk_fma_f16 v35, v35, v53, v39
	;; [unrolled: 1-line block ×4, first 2 shown]
	v_dual_fmac_f32 v9, v22, v10 :: v_dual_fmac_f32 v6, v23, v12
	v_fmac_f32_e32 v0, v25, v13
	v_dual_add_f32 v22, v46, v26 :: v_dual_add_f32 v25, v51, v29
	v_add_f32_e32 v23, v48, v27
	v_fmac_f32_e32 v5, v24, v11
	v_cvt_f32_f16_e32 v26, v30
	v_cvt_f32_f16_e32 v27, v31
	v_add_f32_e32 v24, v50, v28
	v_cvt_f32_f16_e32 v28, v32
	v_cvt_f32_f16_e32 v29, v33
	;; [unrolled: 1-line block ×3, first 2 shown]
	v_lshrrev_b32_e32 v31, 16, v34
	v_cvt_f32_f16_e32 v32, v35
	v_lshrrev_b32_e32 v33, 16, v35
	v_cvt_f32_f16_e32 v34, v36
	;; [unrolled: 2-line block ×3, first 2 shown]
	v_lshrrev_b32_e32 v37, 16, v37
	v_dual_fmac_f32 v9, v22, v10 :: v_dual_fmac_f32 v6, v23, v12
	v_fmac_f32_e32 v0, v25, v13
	v_dual_add_f32 v22, v42, v26 :: v_dual_add_f32 v25, v45, v29
	v_add_f32_e32 v23, v43, v27
	v_fmac_f32_e32 v5, v24, v11
	s_delay_alu instid0(VALU_DEP_3)
	v_dual_add_f32 v24, v44, v28 :: v_dual_fmac_f32 v9, v22, v10
	v_cvt_f32_f16_e32 v26, v31
	v_cvt_f32_f16_e32 v27, v33
	;; [unrolled: 1-line block ×4, first 2 shown]
	v_dual_fmac_f32 v6, v23, v12 :: v_dual_fmac_f32 v5, v24, v11
	s_delay_alu instid0(VALU_DEP_4) | instskip(NEXT) | instid1(VALU_DEP_3)
	v_dual_fmac_f32 v0, v25, v13 :: v_dual_add_f32 v23, v32, v27
	v_dual_add_f32 v22, v30, v26 :: v_dual_add_f32 v25, v36, v29
	v_add_f32_e32 v24, v34, v28
	s_delay_alu instid0(VALU_DEP_2) | instskip(NEXT) | instid1(VALU_DEP_2)
	v_dual_fmac_f32 v6, v23, v12 :: v_dual_fmac_f32 v9, v22, v10
	v_dual_fmac_f32 v0, v25, v13 :: v_dual_fmac_f32 v5, v24, v11
	s_cbranch_scc0 .LBB17_10
.LBB17_8:                               ; =>This Inner Loop Header: Depth=1
	s_cmp_lg_u32 s12, s4
	s_cbranch_scc1 .LBB17_7
; %bb.9:                                ;   in Loop: Header=BB17_8 Depth=1
	s_add_i32 s19, s19, 1
	s_add_i32 s4, s4, s18
	s_mul_i32 s20, s19, s16
	s_delay_alu instid0(SALU_CYCLE_1) | instskip(SKIP_2) | instid1(SALU_CYCLE_1)
	s_ashr_i32 s21, s20, 31
	v_add_nc_u32_e32 v10, s20, v1
	s_lshr_b32 s21, s21, 29
	s_add_i32 s20, s20, s21
	s_delay_alu instid0(VALU_DEP_1) | instskip(SKIP_1) | instid1(SALU_CYCLE_1)
	v_ashrrev_i32_e32 v11, 31, v10
	s_ashr_i32 s20, s20, 3
	v_add_nc_u32_e32 v12, s20, v4
	s_delay_alu instid0(VALU_DEP_2) | instskip(NEXT) | instid1(VALU_DEP_2)
	v_lshlrev_b64 v[10:11], 1, v[10:11]
	v_ashrrev_i32_e32 v13, 31, v12
	s_delay_alu instid0(VALU_DEP_2) | instskip(NEXT) | instid1(VALU_DEP_2)
	v_add_co_u32 v10, vcc_lo, s8, v10
	v_lshlrev_b64 v[12:13], 2, v[12:13]
	s_delay_alu instid0(VALU_DEP_4) | instskip(NEXT) | instid1(VALU_DEP_2)
	v_add_co_ci_u32_e32 v11, vcc_lo, s9, v11, vcc_lo
	v_add_co_u32 v12, vcc_lo, s6, v12
	s_delay_alu instid0(VALU_DEP_3)
	v_add_co_ci_u32_e32 v13, vcc_lo, s7, v13, vcc_lo
	global_load_b64 v[14:15], v[10:11], off
	global_load_b32 v11, v[12:13], off
	s_waitcnt vmcnt(1)
	v_cvt_f32_f16_e32 v10, v14
	v_lshrrev_b32_e32 v12, 16, v14
	s_waitcnt vmcnt(0)
	v_bfe_u32 v13, v11, v7, 4
	v_lshrrev_b32_e32 v14, 16, v15
	v_lshrrev_b32_e32 v16, v7, v11
	v_cvt_f32_f16_e32 v11, v15
	v_cvt_f32_f16_e32 v12, v12
	v_add_nc_u32_e32 v15, v13, v8
	v_cvt_f32_f16_e32 v13, v14
	v_bfe_u32 v14, v16, 4, 4
	v_bfe_u32 v17, v16, 8, 4
	;; [unrolled: 1-line block ×3, first 2 shown]
	v_cvt_f32_ubyte0_e32 v18, v15
	v_or_b32_e32 v15, 0xffffe400, v15
	v_add_nc_u32_e32 v19, v14, v8
	v_add_nc_u32_e32 v17, v17, v8
	;; [unrolled: 1-line block ×3, first 2 shown]
	v_cvt_f16_f32_e32 v18, v18
	v_perm_b32 v14, v15, v15, 0x5040100
	v_or_b32_e32 v15, 0xffffe400, v19
	v_cvt_f32_ubyte0_e32 v19, v19
	v_or_b32_e32 v20, 0xffffe400, v17
	v_cvt_f32_ubyte0_e32 v17, v17
	v_cvt_f32_ubyte0_e32 v21, v16
	v_or_b32_e32 v16, 0xffffe400, v16
	v_cvt_f16_f32_e32 v19, v19
	v_sub_f16_e32 v18, 0xd400, v18
	v_cvt_f16_f32_e32 v22, v17
	v_cvt_f16_f32_e32 v21, v21
	v_perm_b32 v17, v15, v15, 0x5040100
	v_perm_b32 v15, v20, v20, 0x5040100
	v_sub_f16_e32 v19, 0xd400, v19
	v_sub_f16_e32 v20, 0xd400, v22
	;; [unrolled: 1-line block ×3, first 2 shown]
	v_perm_b32 v16, v16, v16, 0x5040100
	v_pack_b32_f16 v18, v18, v18
	v_pack_b32_f16 v21, v19, v19
	v_pack_b32_f16 v20, v20, v20
	v_pack_b32_f16 v19, v22, v22
	s_branch .LBB17_7
.LBB17_10:
	s_delay_alu instid0(VALU_DEP_2) | instskip(NEXT) | instid1(VALU_DEP_3)
	v_cvt_f16_f32_e32 v7, v9
	v_cvt_f16_f32_e32 v2, v6
	s_delay_alu instid0(VALU_DEP_3)
	v_cvt_f16_f32_e32 v5, v5
	v_cvt_f16_f32_e32 v4, v0
.LBB17_11:
	s_delay_alu instid0(VALU_DEP_2) | instskip(SKIP_2) | instid1(VALU_DEP_2)
	v_mad_u64_u32 v[8:9], null, s14, s16, v[1:2]
	v_perm_b32 v6, v2, v7, 0x5040100
	s_mov_b32 s0, 0
	v_ashrrev_i32_e32 v9, 31, v8
	s_delay_alu instid0(VALU_DEP_1) | instskip(NEXT) | instid1(VALU_DEP_1)
	v_lshlrev_b64 v[0:1], 1, v[8:9]
	v_add_co_u32 v0, vcc_lo, s10, v0
	s_delay_alu instid0(VALU_DEP_2)
	v_add_co_ci_u32_e32 v1, vcc_lo, s11, v1, vcc_lo
	global_load_b32 v3, v[0:1], off
.LBB17_12:                              ; =>This Inner Loop Header: Depth=1
	s_waitcnt vmcnt(0)
	v_pk_add_f16 v2, v6, v3
	global_atomic_cmpswap_b32 v2, v[0:1], v[2:3], off glc
	s_waitcnt vmcnt(0)
	v_cmp_eq_u32_e32 vcc_lo, v3, v2
	v_mov_b32_e32 v3, v2
	s_or_b32 s0, vcc_lo, s0
	s_delay_alu instid0(SALU_CYCLE_1)
	s_and_not1_b32 exec_lo, exec_lo, s0
	s_cbranch_execnz .LBB17_12
; %bb.13:
	s_or_b32 exec_lo, exec_lo, s0
	global_load_b32 v3, v[0:1], off offset:4
	v_perm_b32 v4, v4, v5, 0x5040100
	s_mov_b32 s0, 0
.LBB17_14:                              ; =>This Inner Loop Header: Depth=1
	s_waitcnt vmcnt(0)
	s_delay_alu instid0(VALU_DEP_1)
	v_pk_add_f16 v2, v4, v3
	global_atomic_cmpswap_b32 v2, v[0:1], v[2:3], off offset:4 glc
	s_waitcnt vmcnt(0)
	v_cmp_eq_u32_e32 vcc_lo, v3, v2
	v_mov_b32_e32 v3, v2
	s_or_b32 s0, vcc_lo, s0
	s_delay_alu instid0(SALU_CYCLE_1)
	s_and_not1_b32 exec_lo, exec_lo, s0
	s_cbranch_execnz .LBB17_14
.LBB17_15:
	s_endpgm
	.section	.rodata,"a",@progbits
	.p2align	6, 0x0
	.amdhsa_kernel _ZN4vllm4gptq33gemm_half_q_half_gptq_4bit_kernelILb1ELi1EEEvPK6__halfPKjS6_S4_PS2_iiiibPKi
		.amdhsa_group_segment_fixed_size 256
		.amdhsa_private_segment_fixed_size 0
		.amdhsa_kernarg_size 72
		.amdhsa_user_sgpr_count 13
		.amdhsa_user_sgpr_dispatch_ptr 0
		.amdhsa_user_sgpr_queue_ptr 0
		.amdhsa_user_sgpr_kernarg_segment_ptr 1
		.amdhsa_user_sgpr_dispatch_id 0
		.amdhsa_user_sgpr_private_segment_size 0
		.amdhsa_wavefront_size32 1
		.amdhsa_uses_dynamic_stack 0
		.amdhsa_enable_private_segment 0
		.amdhsa_system_sgpr_workgroup_id_x 1
		.amdhsa_system_sgpr_workgroup_id_y 1
		.amdhsa_system_sgpr_workgroup_id_z 1
		.amdhsa_system_sgpr_workgroup_info 0
		.amdhsa_system_vgpr_workitem_id 0
		.amdhsa_next_free_vgpr 91
		.amdhsa_next_free_sgpr 22
		.amdhsa_reserve_vcc 1
		.amdhsa_float_round_mode_32 0
		.amdhsa_float_round_mode_16_64 0
		.amdhsa_float_denorm_mode_32 3
		.amdhsa_float_denorm_mode_16_64 3
		.amdhsa_dx10_clamp 1
		.amdhsa_ieee_mode 1
		.amdhsa_fp16_overflow 0
		.amdhsa_workgroup_processor_mode 1
		.amdhsa_memory_ordered 1
		.amdhsa_forward_progress 0
		.amdhsa_shared_vgpr_count 0
		.amdhsa_exception_fp_ieee_invalid_op 0
		.amdhsa_exception_fp_denorm_src 0
		.amdhsa_exception_fp_ieee_div_zero 0
		.amdhsa_exception_fp_ieee_overflow 0
		.amdhsa_exception_fp_ieee_underflow 0
		.amdhsa_exception_fp_ieee_inexact 0
		.amdhsa_exception_int_div_zero 0
	.end_amdhsa_kernel
	.section	.text._ZN4vllm4gptq33gemm_half_q_half_gptq_4bit_kernelILb1ELi1EEEvPK6__halfPKjS6_S4_PS2_iiiibPKi,"axG",@progbits,_ZN4vllm4gptq33gemm_half_q_half_gptq_4bit_kernelILb1ELi1EEEvPK6__halfPKjS6_S4_PS2_iiiibPKi,comdat
.Lfunc_end17:
	.size	_ZN4vllm4gptq33gemm_half_q_half_gptq_4bit_kernelILb1ELi1EEEvPK6__halfPKjS6_S4_PS2_iiiibPKi, .Lfunc_end17-_ZN4vllm4gptq33gemm_half_q_half_gptq_4bit_kernelILb1ELi1EEEvPK6__halfPKjS6_S4_PS2_iiiibPKi
                                        ; -- End function
	.section	.AMDGPU.csdata,"",@progbits
; Kernel info:
; codeLenInByte = 4204
; NumSgprs: 24
; NumVgprs: 91
; ScratchSize: 0
; MemoryBound: 0
; FloatMode: 240
; IeeeMode: 1
; LDSByteSize: 256 bytes/workgroup (compile time only)
; SGPRBlocks: 2
; VGPRBlocks: 11
; NumSGPRsForWavesPerEU: 24
; NumVGPRsForWavesPerEU: 91
; Occupancy: 16
; WaveLimiterHint : 0
; COMPUTE_PGM_RSRC2:SCRATCH_EN: 0
; COMPUTE_PGM_RSRC2:USER_SGPR: 13
; COMPUTE_PGM_RSRC2:TRAP_HANDLER: 0
; COMPUTE_PGM_RSRC2:TGID_X_EN: 1
; COMPUTE_PGM_RSRC2:TGID_Y_EN: 1
; COMPUTE_PGM_RSRC2:TGID_Z_EN: 1
; COMPUTE_PGM_RSRC2:TIDIG_COMP_CNT: 0
	.section	.text._ZN4vllm4gptq33gemm_half_q_half_gptq_8bit_kernelILb1ELi1EEEvPK6__halfPKjS6_S4_PS2_iiiibPKi,"axG",@progbits,_ZN4vllm4gptq33gemm_half_q_half_gptq_8bit_kernelILb1ELi1EEEvPK6__halfPKjS6_S4_PS2_iiiibPKi,comdat
	.protected	_ZN4vllm4gptq33gemm_half_q_half_gptq_8bit_kernelILb1ELi1EEEvPK6__halfPKjS6_S4_PS2_iiiibPKi ; -- Begin function _ZN4vllm4gptq33gemm_half_q_half_gptq_8bit_kernelILb1ELi1EEEvPK6__halfPKjS6_S4_PS2_iiiibPKi
	.globl	_ZN4vllm4gptq33gemm_half_q_half_gptq_8bit_kernelILb1ELi1EEEvPK6__halfPKjS6_S4_PS2_iiiibPKi
	.p2align	8
	.type	_ZN4vllm4gptq33gemm_half_q_half_gptq_8bit_kernelILb1ELi1EEEvPK6__halfPKjS6_S4_PS2_iiiibPKi,@function
_ZN4vllm4gptq33gemm_half_q_half_gptq_8bit_kernelILb1ELi1EEEvPK6__halfPKjS6_S4_PS2_iiiibPKi: ; @_ZN4vllm4gptq33gemm_half_q_half_gptq_8bit_kernelILb1ELi1EEEvPK6__halfPKjS6_S4_PS2_iiiibPKi
; %bb.0:
	s_load_b128 s[16:19], s[0:1], 0x2c
	s_lshl_b32 s12, s15, 7
	s_load_b256 s[4:11], s[0:1], 0x8
	s_add_i32 s2, s12, 0x80
	s_mov_b32 s20, exec_lo
	v_cvt_f64_u32_e32 v[1:2], s2
	s_waitcnt lgkmcnt(0)
	v_cvt_f64_i32_e32 v[3:4], s17
	s_delay_alu instid0(VALU_DEP_1) | instskip(NEXT) | instid1(VALU_DEP_1)
	v_min_f64 v[1:2], v[1:2], v[3:4]
	v_cvt_i32_f64_e32 v2, v[1:2]
	v_add_nc_u32_e32 v1, s12, v0
	s_delay_alu instid0(VALU_DEP_2) | instskip(NEXT) | instid1(VALU_DEP_2)
	v_readfirstlane_b32 s15, v2
	v_cmpx_lt_u32_e64 v1, v2
	s_cbranch_execz .LBB18_4
; %bb.1:
	s_clause 0x1
	s_load_b64 s[2:3], s[0:1], 0x40
	s_load_b64 s[0:1], s[0:1], 0x0
	v_mov_b32_e32 v2, 0
	s_waitcnt lgkmcnt(0)
	s_cmp_eq_u64 s[2:3], 0
	s_cbranch_scc1 .LBB18_3
; %bb.2:
	s_delay_alu instid0(VALU_DEP_1) | instskip(NEXT) | instid1(VALU_DEP_1)
	v_lshlrev_b64 v[1:2], 2, v[1:2]
	v_add_co_u32 v1, vcc_lo, s2, v1
	s_delay_alu instid0(VALU_DEP_2)
	v_add_co_ci_u32_e32 v2, vcc_lo, s3, v2, vcc_lo
	global_load_b32 v1, v[1:2], off
	s_waitcnt vmcnt(0)
	v_ashrrev_i32_e32 v2, 31, v1
.LBB18_3:
	s_mul_i32 s2, s14, s17
	s_delay_alu instid0(VALU_DEP_1) | instskip(SKIP_1) | instid1(SALU_CYCLE_1)
	v_lshlrev_b64 v[1:2], 1, v[1:2]
	s_ashr_i32 s3, s2, 31
	s_lshl_b64 s[2:3], s[2:3], 1
	s_delay_alu instid0(SALU_CYCLE_1) | instskip(SKIP_1) | instid1(VALU_DEP_1)
	s_add_u32 s0, s0, s2
	s_addc_u32 s1, s1, s3
	v_add_co_u32 v1, vcc_lo, s0, v1
	v_add_co_ci_u32_e32 v2, vcc_lo, s1, v2, vcc_lo
	global_load_u16 v1, v[1:2], off
	v_lshlrev_b32_e32 v2, 1, v0
	s_waitcnt vmcnt(0)
	ds_store_b16 v2, v1
.LBB18_4:
	s_or_b32 exec_lo, exec_lo, s20
	v_lshlrev_b32_e32 v0, 2, v0
	s_mov_b32 s0, exec_lo
	s_delay_alu instid0(VALU_DEP_1) | instskip(NEXT) | instid1(VALU_DEP_1)
	v_lshl_add_u32 v24, s13, 9, v0
	v_cmpx_gt_i32_e64 s16, v24
	s_cbranch_execz .LBB18_14
; %bb.5:
	s_abs_i32 s0, s18
	v_dual_mov_b32 v38, 0 :: v_dual_mov_b32 v39, 0
	v_cvt_f32_u32_e32 v0, s0
	v_mov_b32_e32 v40, 0
	s_cmp_ge_i32 s12, s15
	s_mov_b32 s13, 0
	s_waitcnt lgkmcnt(0)
	v_rcp_iflag_f32_e32 v0, v0
	s_barrier
	buffer_gl0_inv
	v_dual_mov_b32 v37, 0 :: v_dual_mul_f32 v0, 0x4f7ffffe, v0
	s_delay_alu instid0(VALU_DEP_1) | instskip(NEXT) | instid1(VALU_DEP_1)
	v_cvt_u32_f32_e32 v0, v0
	v_readfirstlane_b32 s1, v0
	s_cbranch_scc1 .LBB18_10
; %bb.6:
	s_sub_i32 s2, 0, s0
	s_abs_i32 s3, s17
	s_delay_alu instid0(VALU_DEP_1)
	s_mul_i32 s2, s2, s1
	v_ashrrev_i32_e32 v30, 2, v24
	s_mul_hi_u32 s2, s1, s2
	v_ashrrev_i32_e32 v25, 31, v24
	s_add_i32 s1, s1, s2
	s_ashr_i32 s2, s17, 31
	s_mul_hi_u32 s1, s3, s1
	s_ashr_i32 s17, s18, 31
	s_mul_i32 s18, s1, s0
	s_xor_b32 s2, s2, s17
	s_sub_i32 s3, s3, s18
	s_add_i32 s17, s1, 1
	s_sub_i32 s18, s3, s0
	s_cmp_ge_u32 s3, s0
	v_mov_b32_e32 v38, 0
	s_cselect_b32 s1, s17, s1
	s_cselect_b32 s3, s18, s3
	s_add_i32 s17, s1, 1
	s_cmp_ge_u32 s3, s0
	v_mov_b32_e32 v40, 0
	s_cselect_b32 s0, s17, s1
	v_mov_b32_e32 v37, 0
	s_xor_b32 s0, s0, s2
	v_mov_b32_e32 v39, 0
	s_sub_i32 s18, s0, s2
	s_bitcmp1_b32 s19, 0
	v_cvt_f32_u32_e32 v0, s18
	s_cselect_b32 s1, -1, 0
	s_sub_i32 s2, 0, s18
	s_xor_b32 s3, s1, -1
	s_delay_alu instid0(VALU_DEP_1) | instskip(SKIP_2) | instid1(VALU_DEP_1)
	v_rcp_iflag_f32_e32 v0, v0
	s_waitcnt_depctr 0xfff
	v_mul_f32_e32 v0, 0x4f7ffffe, v0
	v_cvt_u32_f32_e32 v0, v0
	s_delay_alu instid0(VALU_DEP_1) | instskip(NEXT) | instid1(VALU_DEP_1)
	v_readfirstlane_b32 s0, v0
	s_mul_i32 s2, s2, s0
	s_delay_alu instid0(SALU_CYCLE_1) | instskip(NEXT) | instid1(SALU_CYCLE_1)
	s_mul_hi_u32 s2, s0, s2
	s_add_i32 s0, s0, s2
	s_delay_alu instid0(SALU_CYCLE_1) | instskip(NEXT) | instid1(SALU_CYCLE_1)
	s_mul_hi_u32 s0, s12, s0
	s_mul_i32 s2, s0, s18
	s_delay_alu instid0(SALU_CYCLE_1)
	s_sub_i32 s1, s12, s2
	s_add_i32 s2, s0, 1
	s_sub_i32 s17, s1, s18
	s_cmp_ge_u32 s1, s18
	s_cselect_b32 s0, s2, s0
	s_cselect_b32 s1, s17, s1
	s_add_i32 s2, s0, 1
	s_cmp_ge_u32 s1, s18
	s_cselect_b32 s19, s2, s0
	s_delay_alu instid0(SALU_CYCLE_1) | instskip(NEXT) | instid1(SALU_CYCLE_1)
	s_mul_i32 s0, s19, s16
	s_ashr_i32 s1, s0, 31
	v_add_nc_u32_e32 v0, s0, v24
	s_lshr_b32 s1, s1, 30
	s_delay_alu instid0(SALU_CYCLE_1) | instskip(NEXT) | instid1(VALU_DEP_1)
	s_add_i32 s0, s0, s1
	v_ashrrev_i32_e32 v1, 31, v0
	s_ashr_i32 s0, s0, 2
	s_delay_alu instid0(SALU_CYCLE_1) | instskip(SKIP_1) | instid1(VALU_DEP_2)
	v_add_nc_u32_e32 v2, s0, v30
	s_lshr_b32 s0, s12, 2
	v_lshlrev_b64 v[0:1], 1, v[0:1]
	s_mul_i32 s0, s0, s16
	s_delay_alu instid0(VALU_DEP_2) | instskip(SKIP_1) | instid1(VALU_DEP_2)
	v_ashrrev_i32_e32 v3, 31, v2
	s_ashr_i32 s1, s0, 31
	v_add_co_u32 v0, vcc_lo, s8, v0
	s_delay_alu instid0(VALU_DEP_2) | instskip(SKIP_2) | instid1(SALU_CYCLE_1)
	v_lshlrev_b64 v[2:3], 2, v[2:3]
	v_add_co_ci_u32_e32 v1, vcc_lo, s9, v1, vcc_lo
	s_lshl_b64 s[0:1], s[0:1], 2
	s_add_u32 s0, s4, s0
	s_delay_alu instid0(VALU_DEP_2) | instskip(NEXT) | instid1(VALU_DEP_3)
	v_add_co_u32 v2, vcc_lo, s6, v2
	v_add_co_ci_u32_e32 v3, vcc_lo, s7, v3, vcc_lo
	s_addc_u32 s1, s5, s1
	global_load_b64 v[26:27], v[0:1], off
	global_load_b32 v2, v[2:3], off
	v_lshlrev_b64 v[0:1], 2, v[24:25]
	v_cndmask_b32_e64 v25, 0, 1, s3
	s_ashr_i32 s17, s16, 31
	s_add_i32 s4, s18, s12
	s_lshl_b64 s[2:3], s[16:17], 2
	s_delay_alu instid0(VALU_DEP_2)
	v_add_co_u32 v28, vcc_lo, s0, v0
	v_add_co_ci_u32_e32 v29, vcc_lo, s1, v1, vcc_lo
	s_lshl_b64 s[0:1], s[16:17], 5
	s_waitcnt vmcnt(1)
	v_lshrrev_b32_e32 v34, 16, v27
	v_lshrrev_b32_e32 v31, 16, v26
	s_waitcnt vmcnt(0)
	v_and_b32_e32 v32, 0xff, v2
	v_bfe_u32 v33, v2, 8, 8
	v_bfe_u32 v35, v2, 16, 8
	v_lshrrev_b32_e32 v36, 24, v2
	s_branch .LBB18_8
.LBB18_7:                               ;   in Loop: Header=BB18_8 Depth=1
	v_add_co_u32 v9, vcc_lo, v28, s2
	global_load_b128 v[5:8], v[28:29], off
	v_add_co_ci_u32_e32 v10, vcc_lo, s3, v29, vcc_lo
	v_add_co_u32 v13, vcc_lo, v9, s2
	v_dual_mov_b32 v4, s13 :: v_dual_add_nc_u32 v41, v33, v25
	global_load_b128 v[0:3], v[9:10], off
	v_add_co_ci_u32_e32 v14, vcc_lo, s3, v10, vcc_lo
	v_add_co_u32 v17, vcc_lo, v13, s2
	v_add_nc_u32_e32 v42, v32, v25
	s_delay_alu instid0(VALU_DEP_3)
	v_add_co_ci_u32_e32 v18, vcc_lo, s3, v14, vcc_lo
	global_load_b128 v[9:12], v[13:14], off
	v_add_co_u32 v45, vcc_lo, v17, s2
	global_load_b128 v[13:16], v[17:18], off
	v_add_co_ci_u32_e32 v46, vcc_lo, s3, v18, vcc_lo
	v_add_nc_u32_e32 v44, v35, v25
	v_add_nc_u32_e32 v43, v36, v25
	s_add_i32 s12, s12, 32
	s_add_i32 s13, s13, 64
	s_cmp_lt_i32 s12, s15
	s_waitcnt vmcnt(3)
	v_and_b32_e32 v19, 0xff, v6
	v_bfe_u32 v20, v6, 8, 8
	v_and_b32_e32 v17, 0xff, v5
	v_bfe_u32 v18, v5, 8, 8
	v_and_b32_e32 v49, 0xff, v7
	v_and_b32_e32 v52, 0xff, v8
	v_bfe_u32 v47, v5, 16, 8
	s_waitcnt vmcnt(2)
	v_and_b32_e32 v55, 0xff, v0
	v_bfe_u32 v56, v0, 8, 8
	v_bfe_u32 v57, v0, 16, 8
	v_lshrrev_b32_e32 v58, 24, v0
	v_sub_nc_u32_e32 v0, v19, v41
	v_sub_nc_u32_e32 v19, v20, v41
	ds_load_b128 v[20:23], v4
	v_sub_nc_u32_e32 v17, v17, v42
	v_sub_nc_u32_e32 v18, v18, v42
	v_and_b32_e32 v59, 0xff, v1
	v_bfe_u32 v60, v1, 8, 8
	v_bfe_u32 v61, v1, 16, 8
	v_lshrrev_b32_e32 v62, 24, v1
	v_cvt_f32_i32_e32 v1, v17
	v_and_b32_e32 v63, 0xff, v2
	v_bfe_u32 v64, v2, 8, 8
	v_bfe_u32 v65, v2, 16, 8
	v_lshrrev_b32_e32 v66, 24, v2
	v_cvt_f32_i32_e32 v2, v18
	v_cvt_f32_i32_e32 v0, v0
	v_cvt_f16_f32_e32 v1, v1
	v_and_b32_e32 v67, 0xff, v3
	v_bfe_u32 v68, v3, 8, 8
	v_bfe_u32 v69, v3, 16, 8
	v_lshrrev_b32_e32 v70, 24, v3
	v_cvt_f32_i32_e32 v3, v19
	v_cvt_f16_f32_e32 v0, v0
	s_waitcnt vmcnt(0)
	v_and_b32_e32 v98, 0xff, v16
	v_bfe_u32 v99, v16, 8, 8
	v_bfe_u32 v100, v16, 16, 8
	v_lshrrev_b32_e32 v101, 24, v16
	ds_load_b128 v[16:19], v4 offset:16
	v_cvt_f16_f32_e32 v2, v2
	s_waitcnt lgkmcnt(1)
	v_fma_mix_f32 v1, v1, v20, 0 op_sel_hi:[1,1,0]
	v_bfe_u32 v50, v7, 8, 8
	v_bfe_u32 v53, v8, 8, 8
	v_and_b32_e32 v71, 0xff, v9
	v_bfe_u32 v72, v9, 8, 8
	v_bfe_u32 v73, v9, 16, 8
	v_lshrrev_b32_e32 v74, 24, v9
	v_and_b32_e32 v9, 0xff, v10
	v_bfe_u32 v75, v10, 8, 8
	v_bfe_u32 v76, v10, 16, 8
	v_lshrrev_b32_e32 v77, 24, v10
	v_cvt_f16_f32_e32 v3, v3
	v_fma_mix_f32 v0, v0, v20, 0 op_sel_hi:[1,1,0]
	v_fma_mix_f32 v2, v2, v20, v1 op_sel:[0,1,0] op_sel_hi:[1,1,0]
	v_sub_nc_u32_e32 v1, v49, v44
	v_sub_nc_u32_e32 v10, v52, v43
	v_and_b32_e32 v82, 0xff, v12
	v_bfe_u32 v83, v12, 8, 8
	v_bfe_u32 v84, v12, 16, 8
	v_lshrrev_b32_e32 v85, 24, v12
	v_and_b32_e32 v86, 0xff, v13
	v_bfe_u32 v87, v13, 8, 8
	v_bfe_u32 v88, v13, 16, 8
	v_lshrrev_b32_e32 v89, 24, v13
	v_fma_mix_f32 v3, v3, v20, v0 op_sel:[0,1,0] op_sel_hi:[1,1,0]
	v_sub_nc_u32_e32 v0, v47, v42
	v_sub_nc_u32_e32 v12, v50, v44
	;; [unrolled: 1-line block ×3, first 2 shown]
	v_cvt_f32_i32_e32 v1, v1
	v_cvt_f32_i32_e32 v10, v10
	;; [unrolled: 1-line block ×5, first 2 shown]
	v_cvt_f16_f32_e32 v1, v1
	v_cvt_f16_f32_e32 v10, v10
	v_and_b32_e32 v90, 0xff, v14
	v_bfe_u32 v91, v14, 8, 8
	v_bfe_u32 v92, v14, 16, 8
	v_lshrrev_b32_e32 v93, 24, v14
	v_cvt_f16_f32_e32 v12, v12
	v_cvt_f16_f32_e32 v13, v13
	v_fma_mix_f32 v1, v1, v20, 0 op_sel_hi:[1,1,0]
	v_fma_mix_f32 v10, v10, v20, 0 op_sel_hi:[1,1,0]
	v_cvt_f16_f32_e32 v14, v0
	v_and_b32_e32 v94, 0xff, v15
	v_bfe_u32 v95, v15, 8, 8
	v_bfe_u32 v96, v15, 16, 8
	v_lshrrev_b32_e32 v97, 24, v15
	v_fma_mix_f32 v47, v12, v20, v1 op_sel:[0,1,0] op_sel_hi:[1,1,0]
	v_fma_mix_f32 v10, v13, v20, v10 op_sel:[0,1,0] op_sel_hi:[1,1,0]
	v_fma_mix_f32 v20, v14, v21, v2 op_sel_hi:[1,1,0]
	global_load_b128 v[12:15], v[45:46], off
	v_bfe_u32 v48, v6, 16, 8
	v_bfe_u32 v51, v7, 16, 8
	v_and_b32_e32 v78, 0xff, v11
	v_bfe_u32 v79, v11, 8, 8
	v_bfe_u32 v80, v11, 16, 8
	v_lshrrev_b32_e32 v81, 24, v11
	v_sub_nc_u32_e32 v11, v48, v41
	v_sub_nc_u32_e32 v2, v51, v44
	v_add_co_u32 v0, vcc_lo, v45, s2
	v_bfe_u32 v54, v8, 16, 8
	s_delay_alu instid0(VALU_DEP_4) | instskip(NEXT) | instid1(VALU_DEP_4)
	v_cvt_f32_i32_e32 v11, v11
	v_cvt_f32_i32_e32 v2, v2
	v_add_co_ci_u32_e32 v1, vcc_lo, s3, v46, vcc_lo
	v_lshrrev_b32_e32 v5, 24, v5
	s_delay_alu instid0(VALU_DEP_4) | instskip(NEXT) | instid1(VALU_DEP_4)
	v_cvt_f16_f32_e32 v11, v11
	v_cvt_f16_f32_e32 v2, v2
	v_lshrrev_b32_e32 v6, 24, v6
	v_lshrrev_b32_e32 v8, 24, v8
	v_sub_nc_u32_e32 v5, v5, v42
	v_fma_mix_f32 v11, v11, v21, v3 op_sel_hi:[1,1,0]
	v_sub_nc_u32_e32 v3, v54, v43
	v_fma_mix_f32 v49, v2, v21, v47 op_sel_hi:[1,1,0]
	global_load_b128 v[45:48], v[0:1], off
	v_sub_nc_u32_e32 v6, v6, v41
	v_cvt_f32_i32_e32 v5, v5
	v_cvt_f32_i32_e32 v3, v3
	v_add_co_u32 v2, vcc_lo, v0, s2
	s_delay_alu instid0(VALU_DEP_4) | instskip(SKIP_1) | instid1(VALU_DEP_4)
	v_cvt_f32_i32_e32 v6, v6
	v_lshrrev_b32_e32 v7, 24, v7
	v_cvt_f16_f32_e32 v3, v3
	v_cvt_f16_f32_e32 v5, v5
	v_sub_nc_u32_e32 v51, v63, v44
	v_cvt_f16_f32_e32 v6, v6
	v_sub_nc_u32_e32 v0, v7, v44
	v_fma_mix_f32 v10, v3, v21, v10 op_sel_hi:[1,1,0]
	v_add_co_ci_u32_e32 v3, vcc_lo, s3, v1, vcc_lo
	v_sub_nc_u32_e32 v1, v8, v43
	v_fma_mix_f32 v20, v5, v21, v20 op_sel:[0,1,0] op_sel_hi:[1,1,0]
	v_fma_mix_f32 v50, v6, v21, v11 op_sel:[0,1,0] op_sel_hi:[1,1,0]
	v_sub_nc_u32_e32 v5, v71, v42
	v_sub_nc_u32_e32 v6, v9, v41
	v_cvt_f32_i32_e32 v1, v1
	v_cvt_f32_i32_e32 v0, v0
	v_sub_nc_u32_e32 v7, v72, v42
	v_sub_nc_u32_e32 v8, v75, v41
	v_cvt_f32_i32_e32 v9, v5
	v_cvt_f16_f32_e32 v1, v1
	v_cvt_f32_i32_e32 v11, v6
	v_cvt_f16_f32_e32 v0, v0
	v_cvt_f32_i32_e32 v7, v7
	v_cvt_f32_i32_e32 v8, v8
	v_fma_mix_f32 v1, v1, v21, v10 op_sel:[0,1,0] op_sel_hi:[1,1,0]
	v_cvt_f16_f32_e32 v9, v9
	v_cvt_f16_f32_e32 v10, v11
	v_fma_mix_f32 v0, v0, v21, v49 op_sel:[0,1,0] op_sel_hi:[1,1,0]
	v_sub_nc_u32_e32 v21, v55, v42
	v_cvt_f16_f32_e32 v7, v7
	v_cvt_f16_f32_e32 v8, v8
	s_waitcnt lgkmcnt(0)
	v_fma_mix_f32 v9, v9, v16, 0 op_sel_hi:[1,1,0]
	v_fma_mix_f32 v10, v10, v16, 0 op_sel_hi:[1,1,0]
	v_sub_nc_u32_e32 v54, v78, v44
	v_sub_nc_u32_e32 v63, v82, v43
	v_add_co_u32 v5, vcc_lo, v2, s2
	v_sub_nc_u32_e32 v49, v59, v41
	v_sub_nc_u32_e32 v52, v67, v43
	v_fma_mix_f32 v7, v7, v16, v9 op_sel:[0,1,0] op_sel_hi:[1,1,0]
	v_fma_mix_f32 v53, v8, v16, v10 op_sel:[0,1,0] op_sel_hi:[1,1,0]
	global_load_b128 v[8:11], v[2:3], off
	v_cvt_f32_i32_e32 v2, v21
	v_cvt_f32_i32_e32 v21, v51
	v_sub_nc_u32_e32 v51, v73, v42
	v_sub_nc_u32_e32 v55, v79, v44
	;; [unrolled: 1-line block ×3, first 2 shown]
	v_cvt_f32_i32_e32 v54, v54
	v_cvt_f32_i32_e32 v63, v63
	v_add_co_ci_u32_e32 v6, vcc_lo, s3, v3, vcc_lo
	v_cvt_f32_i32_e32 v3, v49
	v_cvt_f32_i32_e32 v49, v52
	v_sub_nc_u32_e32 v52, v76, v41
	v_cvt_f32_i32_e32 v51, v51
	v_cvt_f32_i32_e32 v55, v55
	;; [unrolled: 1-line block ×3, first 2 shown]
	v_cvt_f16_f32_e32 v54, v54
	v_cvt_f16_f32_e32 v63, v63
	;; [unrolled: 1-line block ×6, first 2 shown]
	v_cvt_f32_i32_e32 v52, v52
	v_cvt_f16_f32_e32 v55, v55
	v_cvt_f16_f32_e32 v67, v67
	v_fma_mix_f32 v54, v54, v16, 0 op_sel_hi:[1,1,0]
	v_fma_mix_f32 v63, v63, v16, 0 op_sel_hi:[1,1,0]
	v_cvt_f16_f32_e32 v51, v51
	v_cvt_f16_f32_e32 v71, v52
	v_fma_mix_f32 v20, v2, v22, v20 op_sel_hi:[1,1,0]
	v_fma_mix_f32 v54, v55, v16, v54 op_sel:[0,1,0] op_sel_hi:[1,1,0]
	v_fma_mix_f32 v16, v67, v16, v63 op_sel:[0,1,0] op_sel_hi:[1,1,0]
	v_fma_mix_f32 v55, v3, v22, v50 op_sel_hi:[1,1,0]
	v_fma_mix_f32 v21, v21, v22, v0 op_sel_hi:[1,1,0]
	;; [unrolled: 1-line block ×4, first 2 shown]
	ds_load_b128 v[49:52], v4 offset:32
	ds_load_b128 v[0:3], v4 offset:48
	global_load_b128 v[4:7], v[5:6], off
	v_sub_nc_u32_e32 v59, v80, v44
	v_sub_nc_u32_e32 v56, v56, v42
	;; [unrolled: 1-line block ×3, first 2 shown]
	v_fma_mix_f32 v53, v71, v17, v53 op_sel_hi:[1,1,0]
	v_sub_nc_u32_e32 v71, v77, v41
	v_cvt_f32_i32_e32 v59, v59
	v_cvt_f32_i32_e32 v56, v56
	v_sub_nc_u32_e32 v72, v81, v44
	v_cvt_f32_i32_e32 v73, v73
	v_sub_nc_u32_e32 v57, v57, v42
	v_cvt_f16_f32_e32 v59, v59
	v_cvt_f16_f32_e32 v56, v56
	v_sub_nc_u32_e32 v75, v86, v42
	v_sub_nc_u32_e32 v76, v87, v42
	;; [unrolled: 1-line block ×3, first 2 shown]
	v_fma_mix_f32 v54, v59, v17, v54 op_sel_hi:[1,1,0]
	v_sub_nc_u32_e32 v59, v60, v41
	v_sub_nc_u32_e32 v60, v61, v41
	v_sub_nc_u32_e32 v61, v62, v41
	v_sub_nc_u32_e32 v62, v64, v44
	v_sub_nc_u32_e32 v64, v65, v44
	v_sub_nc_u32_e32 v65, v66, v44
	v_sub_nc_u32_e32 v66, v68, v43
	v_sub_nc_u32_e32 v68, v69, v43
	v_sub_nc_u32_e32 v69, v70, v43
	v_cvt_f32_i32_e32 v59, v59
	v_cvt_f32_i32_e32 v62, v62
	v_sub_nc_u32_e32 v70, v74, v42
	v_cvt_f32_i32_e32 v66, v66
	v_sub_nc_u32_e32 v74, v85, v43
	v_cvt_f16_f32_e32 v59, v59
	v_cvt_f16_f32_e32 v62, v62
	v_cvt_f32_i32_e32 v70, v70
	v_sub_nc_u32_e32 v78, v89, v42
	v_cvt_f32_i32_e32 v71, v71
	v_sub_nc_u32_e32 v79, v90, v41
	v_sub_nc_u32_e32 v80, v91, v41
	;; [unrolled: 1-line block ×4, first 2 shown]
	v_cvt_f32_i32_e32 v72, v72
	v_sub_nc_u32_e32 v83, v94, v44
	v_cvt_f16_f32_e32 v73, v73
	v_sub_nc_u32_e32 v58, v58, v42
	v_cvt_f32_i32_e32 v57, v57
	v_cvt_f32_i32_e32 v60, v60
	;; [unrolled: 1-line block ×4, first 2 shown]
	v_cvt_f16_f32_e32 v66, v66
	v_sub_nc_u32_e32 v84, v95, v44
	v_sub_nc_u32_e32 v85, v96, v44
	;; [unrolled: 1-line block ×3, first 2 shown]
	v_cvt_f32_i32_e32 v74, v74
	v_sub_nc_u32_e32 v87, v98, v43
	v_sub_nc_u32_e32 v88, v99, v43
	;; [unrolled: 1-line block ×4, first 2 shown]
	v_fma_mix_f32 v16, v73, v17, v16 op_sel_hi:[1,1,0]
	v_fma_mix_f32 v20, v56, v22, v20 op_sel:[0,1,0] op_sel_hi:[1,1,0]
	v_fma_mix_f32 v55, v59, v22, v55 op_sel:[0,1,0] op_sel_hi:[1,1,0]
	;; [unrolled: 1-line block ×3, first 2 shown]
	v_cvt_f16_f32_e32 v62, v70
	v_cvt_f32_i32_e32 v70, v75
	v_cvt_f32_i32_e32 v75, v76
	v_cvt_f32_i32_e32 v76, v77
	v_cvt_f32_i32_e32 v77, v78
	v_cvt_f16_f32_e32 v71, v71
	v_cvt_f32_i32_e32 v78, v79
	v_cvt_f32_i32_e32 v79, v80
	v_cvt_f32_i32_e32 v80, v81
	v_cvt_f32_i32_e32 v81, v82
	;; [unrolled: 5-line block ×3, first 2 shown]
	v_cvt_f32_i32_e32 v69, v69
	v_cvt_f16_f32_e32 v57, v57
	v_cvt_f16_f32_e32 v60, v60
	;; [unrolled: 1-line block ×4, first 2 shown]
	v_cvt_f32_i32_e32 v83, v84
	v_cvt_f32_i32_e32 v84, v85
	;; [unrolled: 1-line block ×3, first 2 shown]
	v_cvt_f16_f32_e32 v74, v74
	v_cvt_f32_i32_e32 v86, v87
	v_cvt_f32_i32_e32 v87, v88
	v_cvt_f32_i32_e32 v88, v89
	v_cvt_f32_i32_e32 v89, v90
	v_fma_mix_f32 v22, v66, v22, v63 op_sel:[0,1,0] op_sel_hi:[1,1,0]
	v_cvt_f16_f32_e32 v66, v70
	v_cvt_f16_f32_e32 v70, v75
	;; [unrolled: 1-line block ×9, first 2 shown]
	v_fma_mix_f32 v53, v71, v17, v53 op_sel:[0,1,0] op_sel_hi:[1,1,0]
	v_fma_mix_f32 v54, v72, v17, v54 op_sel:[0,1,0] op_sel_hi:[1,1,0]
	v_cvt_f16_f32_e32 v58, v58
	v_cvt_f16_f32_e32 v61, v61
	;; [unrolled: 1-line block ×11, first 2 shown]
	v_fma_mix_f32 v16, v74, v17, v16 op_sel:[0,1,0] op_sel_hi:[1,1,0]
	v_fma_mix_f32 v21, v64, v23, v21 op_sel_hi:[1,1,0]
	v_fma_mix_f32 v22, v68, v23, v22 op_sel_hi:[1,1,0]
	;; [unrolled: 1-line block ×5, first 2 shown]
	v_fma_mix_f32 v21, v65, v23, v21 op_sel:[0,1,0] op_sel_hi:[1,1,0]
	v_fma_mix_f32 v22, v69, v23, v22 op_sel:[0,1,0] op_sel_hi:[1,1,0]
	v_add_co_u32 v28, vcc_lo, v28, s0
	s_delay_alu instid0(VALU_DEP_4) | instskip(SKIP_1) | instid1(VALU_DEP_2)
	v_fma_mix_f32 v16, v86, v18, v16 op_sel:[0,1,0] op_sel_hi:[1,1,0]
	v_add_co_ci_u32_e32 v29, vcc_lo, s1, v29, vcc_lo
	v_fma_mix_f32 v16, v87, v19, v16 op_sel_hi:[1,1,0]
	s_delay_alu instid0(VALU_DEP_1) | instskip(NEXT) | instid1(VALU_DEP_1)
	v_fma_mix_f32 v16, v88, v19, v16 op_sel:[0,1,0] op_sel_hi:[1,1,0]
	v_fma_mixlo_f16 v16, v16, v34, 0 op_sel_hi:[0,1,0]
	s_waitcnt vmcnt(3)
	v_and_b32_e32 v73, 0xff, v12
	v_bfe_u32 v56, v12, 8, 8
	v_bfe_u32 v59, v12, 16, 8
	v_lshrrev_b32_e32 v12, 24, v12
	v_bfe_u32 v64, v15, 16, 8
	v_sub_nc_u32_e32 v73, v73, v42
	v_sub_nc_u32_e32 v56, v56, v42
	;; [unrolled: 1-line block ×5, first 2 shown]
	v_cvt_f32_i32_e32 v73, v73
	v_cvt_f32_i32_e32 v56, v56
	;; [unrolled: 1-line block ×4, first 2 shown]
	v_fma_mix_f32 v12, v62, v17, v67 op_sel:[0,1,0] op_sel_hi:[1,1,0]
	v_fma_mix_f32 v17, v57, v23, v20 op_sel_hi:[1,1,0]
	v_fma_mix_f32 v20, v60, v23, v55 op_sel_hi:[1,1,0]
	v_bfe_u32 v57, v14, 8, 8
	v_and_b32_e32 v62, 0xff, v15
	v_fma_mix_f32 v12, v66, v18, v12 op_sel_hi:[1,1,0]
	v_fma_mix_f32 v17, v58, v23, v17 op_sel:[0,1,0] op_sel_hi:[1,1,0]
	v_fma_mix_f32 v20, v61, v23, v20 op_sel:[0,1,0] op_sel_hi:[1,1,0]
	v_fma_mix_f32 v23, v78, v18, v53 op_sel:[0,1,0] op_sel_hi:[1,1,0]
	v_fma_mix_f32 v53, v82, v18, v54 op_sel:[0,1,0] op_sel_hi:[1,1,0]
	v_fma_mix_f32 v12, v70, v18, v12 op_sel:[0,1,0] op_sel_hi:[1,1,0]
	v_fma_mixlo_f16 v17, v17, v26, 0 op_sel_hi:[0,1,0]
	v_fma_mixlo_f16 v18, v20, v31, 0 op_sel_hi:[0,1,0]
	;; [unrolled: 1-line block ×4, first 2 shown]
	v_fma_mix_f32 v22, v79, v19, v23 op_sel_hi:[1,1,0]
	v_fma_mix_f32 v23, v83, v19, v53 op_sel_hi:[1,1,0]
	;; [unrolled: 1-line block ×3, first 2 shown]
	v_add_f16_e32 v18, v39, v18
	v_and_b32_e32 v39, 0xff, v13
	v_fma_mix_f32 v22, v80, v19, v22 op_sel:[0,1,0] op_sel_hi:[1,1,0]
	v_fma_mix_f32 v23, v84, v19, v23 op_sel:[0,1,0] op_sel_hi:[1,1,0]
	;; [unrolled: 1-line block ×3, first 2 shown]
	v_add_f16_e32 v19, v37, v21
	v_add_f16_e32 v17, v40, v17
	v_fma_mixlo_f16 v21, v22, v31, 0 op_sel_hi:[0,1,0]
	v_fma_mixlo_f16 v22, v23, v27, 0 op_sel_hi:[0,1,0]
	v_cvt_f16_f32_e32 v23, v56
	v_and_b32_e32 v56, 0xff, v14
	v_add_f16_e32 v20, v38, v20
	v_sub_nc_u32_e32 v39, v39, v41
	v_bfe_u32 v40, v13, 8, 8
	s_waitcnt vmcnt(2)
	v_and_b32_e32 v63, 0xff, v45
	v_sub_nc_u32_e32 v56, v56, v44
	v_fma_mixlo_f16 v12, v12, v26, 0 op_sel_hi:[0,1,0]
	v_add_f16_e32 v20, v20, v22
	v_bfe_u32 v22, v45, 8, 8
	v_bfe_u32 v37, v45, 16, 8
	v_lshrrev_b32_e32 v38, 24, v45
	v_cvt_f32_i32_e32 v39, v39
	v_sub_nc_u32_e32 v40, v40, v41
	v_bfe_u32 v45, v13, 16, 8
	v_bfe_u32 v58, v14, 16, 8
	v_sub_nc_u32_e32 v57, v57, v44
	v_cvt_f32_i32_e32 v56, v56
	v_cvt_f16_f32_e32 v73, v73
	v_add_f16_e32 v17, v17, v12
	v_add_f16_e32 v12, v19, v16
	v_sub_nc_u32_e32 v19, v63, v42
	v_cvt_f16_f32_e32 v39, v39
	v_lshrrev_b32_e32 v13, 24, v13
	v_cvt_f32_i32_e32 v40, v40
	v_sub_nc_u32_e32 v45, v45, v41
	v_sub_nc_u32_e32 v58, v58, v44
	v_cvt_f32_i32_e32 v57, v57
	v_lshrrev_b32_e32 v14, 24, v14
	v_cvt_f16_f32_e32 v56, v56
	v_sub_nc_u32_e32 v62, v62, v43
	v_bfe_u32 v63, v15, 8, 8
	v_cvt_f16_f32_e32 v16, v59
	v_and_b32_e32 v53, 0xff, v46
	v_sub_nc_u32_e32 v13, v13, v41
	v_cvt_f16_f32_e32 v40, v40
	v_cvt_f32_i32_e32 v45, v45
	v_cvt_f32_i32_e32 v58, v58
	v_cvt_f16_f32_e32 v57, v57
	v_sub_nc_u32_e32 v14, v14, v44
	v_and_b32_e32 v59, 0xff, v47
	v_cvt_f32_i32_e32 v62, v62
	v_sub_nc_u32_e32 v63, v63, v43
	s_waitcnt lgkmcnt(1)
	v_fma_mix_f32 v67, v73, v49, 0 op_sel_hi:[1,1,0]
	v_fma_mix_f32 v39, v39, v49, 0 op_sel_hi:[1,1,0]
	;; [unrolled: 1-line block ×3, first 2 shown]
	v_bfe_u32 v54, v46, 8, 8
	v_sub_nc_u32_e32 v53, v53, v41
	v_cvt_f32_i32_e32 v13, v13
	v_cvt_f16_f32_e32 v45, v45
	v_cvt_f16_f32_e32 v58, v58
	v_bfe_u32 v60, v47, 8, 8
	v_cvt_f32_i32_e32 v14, v14
	v_sub_nc_u32_e32 v59, v59, v44
	v_lshrrev_b32_e32 v15, 24, v15
	v_cvt_f16_f32_e32 v62, v62
	v_cvt_f32_i32_e32 v63, v63
	v_fma_mix_f32 v23, v23, v49, v67 op_sel:[0,1,0] op_sel_hi:[1,1,0]
	v_fma_mix_f32 v39, v40, v49, v39 op_sel:[0,1,0] op_sel_hi:[1,1,0]
	;; [unrolled: 1-line block ×3, first 2 shown]
	v_add_f16_e32 v18, v18, v21
	v_cvt_f16_f32_e32 v21, v89
	v_cvt_f32_i32_e32 v19, v19
	v_sub_nc_u32_e32 v22, v22, v42
	v_sub_nc_u32_e32 v54, v54, v41
	v_cvt_f32_i32_e32 v53, v53
	v_bfe_u32 v55, v46, 16, 8
	v_cvt_f16_f32_e32 v13, v13
	v_bfe_u32 v61, v47, 16, 8
	v_sub_nc_u32_e32 v60, v60, v44
	v_cvt_f16_f32_e32 v14, v14
	v_cvt_f32_i32_e32 v59, v59
	v_and_b32_e32 v65, 0xff, v48
	v_sub_nc_u32_e32 v15, v15, v43
	v_cvt_f32_i32_e32 v64, v64
	v_cvt_f16_f32_e32 v63, v63
	v_fma_mix_f32 v16, v16, v50, v23 op_sel_hi:[1,1,0]
	v_fma_mix_f32 v23, v45, v50, v39 op_sel_hi:[1,1,0]
	;; [unrolled: 1-line block ×4, first 2 shown]
	v_sub_nc_u32_e32 v37, v37, v42
	v_cvt_f16_f32_e32 v19, v19
	v_cvt_f32_i32_e32 v22, v22
	v_cvt_f32_i32_e32 v54, v54
	v_cvt_f16_f32_e32 v53, v53
	v_sub_nc_u32_e32 v55, v55, v41
	v_lshrrev_b32_e32 v46, 24, v46
	v_lshrrev_b32_e32 v47, 24, v47
	v_sub_nc_u32_e32 v61, v61, v44
	v_cvt_f32_i32_e32 v60, v60
	v_cvt_f16_f32_e32 v59, v59
	v_sub_nc_u32_e32 v65, v65, v43
	v_cvt_f32_i32_e32 v15, v15
	v_bfe_u32 v66, v48, 8, 8
	v_cvt_f16_f32_e32 v64, v64
	v_fma_mix_f32 v16, v21, v50, v16 op_sel:[0,1,0] op_sel_hi:[1,1,0]
	v_fma_mix_f32 v13, v13, v50, v23 op_sel:[0,1,0] op_sel_hi:[1,1,0]
	v_fma_mix_f32 v14, v14, v50, v39 op_sel:[0,1,0] op_sel_hi:[1,1,0]
	v_fma_mix_f32 v21, v63, v49, v40 op_sel:[0,1,0] op_sel_hi:[1,1,0]
	v_sub_nc_u32_e32 v38, v38, v42
	v_cvt_f32_i32_e32 v37, v37
	v_cvt_f16_f32_e32 v22, v22
	v_cvt_f16_f32_e32 v54, v54
	v_cvt_f32_i32_e32 v55, v55
	v_sub_nc_u32_e32 v46, v46, v41
	v_sub_nc_u32_e32 v47, v47, v44
	v_cvt_f32_i32_e32 v61, v61
	v_cvt_f16_f32_e32 v60, v60
	v_cvt_f32_i32_e32 v65, v65
	v_cvt_f16_f32_e32 v15, v15
	v_sub_nc_u32_e32 v66, v66, v43
	v_bfe_u32 v68, v48, 16, 8
	v_fma_mix_f32 v16, v19, v51, v16 op_sel_hi:[1,1,0]
	v_fma_mix_f32 v13, v53, v51, v13 op_sel_hi:[1,1,0]
	;; [unrolled: 1-line block ×4, first 2 shown]
	v_cvt_f32_i32_e32 v38, v38
	v_cvt_f16_f32_e32 v37, v37
	v_cvt_f16_f32_e32 v55, v55
	v_cvt_f32_i32_e32 v46, v46
	v_cvt_f32_i32_e32 v47, v47
	v_cvt_f16_f32_e32 v61, v61
	v_cvt_f16_f32_e32 v65, v65
	v_cvt_f32_i32_e32 v66, v66
	v_sub_nc_u32_e32 v57, v68, v43
	v_lshrrev_b32_e32 v21, 24, v48
	v_fma_mix_f32 v16, v22, v51, v16 op_sel:[0,1,0] op_sel_hi:[1,1,0]
	v_fma_mix_f32 v13, v54, v51, v13 op_sel:[0,1,0] op_sel_hi:[1,1,0]
	;; [unrolled: 1-line block ×4, first 2 shown]
	v_cvt_f16_f32_e32 v38, v38
	v_cvt_f16_f32_e32 v46, v46
	;; [unrolled: 1-line block ×4, first 2 shown]
	v_cvt_f32_i32_e32 v45, v57
	v_sub_nc_u32_e32 v19, v21, v43
	v_fma_mix_f32 v16, v37, v52, v16 op_sel_hi:[1,1,0]
	v_fma_mix_f32 v13, v55, v52, v13 op_sel_hi:[1,1,0]
	;; [unrolled: 1-line block ×4, first 2 shown]
	v_cvt_f16_f32_e32 v23, v45
	v_cvt_f32_i32_e32 v19, v19
	v_fma_mix_f32 v16, v38, v52, v16 op_sel:[0,1,0] op_sel_hi:[1,1,0]
	v_fma_mix_f32 v13, v46, v52, v13 op_sel:[0,1,0] op_sel_hi:[1,1,0]
	;; [unrolled: 1-line block ×4, first 2 shown]
	v_cvt_f16_f32_e32 v19, v19
	v_fma_mixlo_f16 v16, v16, v26, 0 op_sel_hi:[0,1,0]
	v_fma_mixlo_f16 v13, v13, v31, 0 op_sel_hi:[0,1,0]
	;; [unrolled: 1-line block ×3, first 2 shown]
	v_fma_mix_f32 v15, v23, v52, v15 op_sel_hi:[1,1,0]
	s_waitcnt vmcnt(1)
	v_and_b32_e32 v21, 0xff, v8
	v_add_f16_e32 v16, v17, v16
	v_add_f16_e32 v13, v18, v13
	;; [unrolled: 1-line block ×3, first 2 shown]
	v_fma_mix_f32 v15, v19, v52, v15 op_sel:[0,1,0] op_sel_hi:[1,1,0]
	v_sub_nc_u32_e32 v17, v21, v42
	v_bfe_u32 v18, v8, 8, 8
	v_bfe_u32 v19, v8, 16, 8
	v_lshrrev_b32_e32 v8, 24, v8
	s_waitcnt vmcnt(0)
	v_and_b32_e32 v20, 0xff, v4
	v_bfe_u32 v21, v4, 8, 8
	v_bfe_u32 v22, v4, 16, 8
	v_lshrrev_b32_e32 v4, 24, v4
	v_sub_nc_u32_e32 v18, v18, v42
	v_sub_nc_u32_e32 v19, v19, v42
	;; [unrolled: 1-line block ×5, first 2 shown]
	v_and_b32_e32 v23, 0xff, v9
	v_bfe_u32 v37, v9, 8, 8
	v_sub_nc_u32_e32 v22, v22, v42
	v_sub_nc_u32_e32 v4, v4, v42
	v_bfe_u32 v38, v9, 16, 8
	v_lshrrev_b32_e32 v9, 24, v9
	v_and_b32_e32 v39, 0xff, v5
	v_bfe_u32 v40, v5, 8, 8
	v_bfe_u32 v42, v5, 16, 8
	v_lshrrev_b32_e32 v5, 24, v5
	v_sub_nc_u32_e32 v23, v23, v41
	v_sub_nc_u32_e32 v37, v37, v41
	;; [unrolled: 1-line block ×8, first 2 shown]
	v_and_b32_e32 v41, 0xff, v10
	v_bfe_u32 v45, v10, 8, 8
	v_bfe_u32 v46, v10, 16, 8
	v_lshrrev_b32_e32 v10, 24, v10
	v_and_b32_e32 v47, 0xff, v6
	v_bfe_u32 v48, v6, 8, 8
	v_bfe_u32 v49, v6, 16, 8
	v_lshrrev_b32_e32 v6, 24, v6
	v_and_b32_e32 v50, 0xff, v11
	v_sub_nc_u32_e32 v41, v41, v44
	v_sub_nc_u32_e32 v45, v45, v44
	;; [unrolled: 1-line block ×9, first 2 shown]
	v_bfe_u32 v50, v11, 8, 8
	v_cvt_f32_i32_e32 v17, v17
	v_cvt_f32_i32_e32 v23, v23
	;; [unrolled: 1-line block ×4, first 2 shown]
	v_sub_nc_u32_e32 v50, v50, v43
	v_bfe_u32 v51, v11, 16, 8
	v_cvt_f16_f32_e32 v17, v17
	v_cvt_f32_i32_e32 v18, v18
	v_cvt_f32_i32_e32 v37, v37
	v_cvt_f16_f32_e32 v23, v23
	v_cvt_f32_i32_e32 v45, v45
	v_cvt_f16_f32_e32 v41, v41
	v_cvt_f16_f32_e32 v44, v44
	v_lshrrev_b32_e32 v11, 24, v11
	v_cvt_f32_i32_e32 v50, v50
	v_sub_nc_u32_e32 v51, v51, v43
	v_cvt_f32_i32_e32 v19, v19
	v_cvt_f16_f32_e32 v18, v18
	v_cvt_f16_f32_e32 v37, v37
	v_cvt_f32_i32_e32 v38, v38
	v_cvt_f32_i32_e32 v46, v46
	v_cvt_f16_f32_e32 v45, v45
	v_and_b32_e32 v52, 0xff, v7
	v_sub_nc_u32_e32 v11, v11, v43
	v_cvt_f16_f32_e32 v50, v50
	v_cvt_f32_i32_e32 v51, v51
	s_waitcnt lgkmcnt(0)
	v_fma_mix_f32 v17, v17, v0, 0 op_sel_hi:[1,1,0]
	v_fma_mix_f32 v23, v23, v0, 0 op_sel_hi:[1,1,0]
	;; [unrolled: 1-line block ×4, first 2 shown]
	v_cvt_f32_i32_e32 v8, v8
	v_cvt_f16_f32_e32 v19, v19
	v_cvt_f16_f32_e32 v38, v38
	v_cvt_f32_i32_e32 v9, v9
	v_cvt_f32_i32_e32 v10, v10
	v_cvt_f16_f32_e32 v46, v46
	v_bfe_u32 v53, v7, 8, 8
	v_sub_nc_u32_e32 v52, v52, v43
	v_cvt_f32_i32_e32 v11, v11
	v_cvt_f16_f32_e32 v51, v51
	v_fma_mix_f32 v17, v18, v0, v17 op_sel:[0,1,0] op_sel_hi:[1,1,0]
	v_fma_mix_f32 v18, v37, v0, v23 op_sel:[0,1,0] op_sel_hi:[1,1,0]
	v_fma_mix_f32 v23, v45, v0, v41 op_sel:[0,1,0] op_sel_hi:[1,1,0]
	v_fma_mix_f32 v0, v50, v0, v44 op_sel:[0,1,0] op_sel_hi:[1,1,0]
	v_cvt_f32_i32_e32 v20, v20
	v_cvt_f16_f32_e32 v8, v8
	v_cvt_f32_i32_e32 v39, v39
	v_cvt_f16_f32_e32 v9, v9
	v_cvt_f16_f32_e32 v10, v10
	v_cvt_f32_i32_e32 v47, v47
	v_sub_nc_u32_e32 v53, v53, v43
	v_cvt_f32_i32_e32 v52, v52
	v_bfe_u32 v54, v7, 16, 8
	v_cvt_f16_f32_e32 v11, v11
	v_fma_mix_f32 v17, v19, v1, v17 op_sel_hi:[1,1,0]
	v_fma_mix_f32 v18, v38, v1, v18 op_sel_hi:[1,1,0]
	;; [unrolled: 1-line block ×4, first 2 shown]
	v_cvt_f16_f32_e32 v20, v20
	v_cvt_f32_i32_e32 v21, v21
	v_cvt_f32_i32_e32 v40, v40
	v_cvt_f16_f32_e32 v39, v39
	v_cvt_f16_f32_e32 v47, v47
	v_cvt_f32_i32_e32 v48, v48
	v_cvt_f32_i32_e32 v53, v53
	v_cvt_f16_f32_e32 v52, v52
	v_sub_nc_u32_e32 v54, v54, v43
	v_lshrrev_b32_e32 v7, 24, v7
	v_fma_mix_f32 v8, v8, v1, v17 op_sel:[0,1,0] op_sel_hi:[1,1,0]
	v_fma_mix_f32 v9, v9, v1, v18 op_sel:[0,1,0] op_sel_hi:[1,1,0]
	;; [unrolled: 1-line block ×4, first 2 shown]
	v_cvt_f16_f32_e32 v21, v21
	v_cvt_f32_i32_e32 v22, v22
	v_cvt_f32_i32_e32 v42, v42
	v_cvt_f16_f32_e32 v40, v40
	v_cvt_f32_i32_e32 v49, v49
	v_cvt_f16_f32_e32 v48, v48
	v_cvt_f16_f32_e32 v53, v53
	v_cvt_f32_i32_e32 v54, v54
	v_sub_nc_u32_e32 v1, v7, v43
	v_fma_mix_f32 v7, v20, v2, v8 op_sel_hi:[1,1,0]
	v_fma_mix_f32 v8, v39, v2, v9 op_sel_hi:[1,1,0]
	;; [unrolled: 1-line block ×4, first 2 shown]
	v_cvt_f32_i32_e32 v4, v4
	v_cvt_f16_f32_e32 v22, v22
	v_cvt_f16_f32_e32 v42, v42
	v_cvt_f32_i32_e32 v5, v5
	v_cvt_f32_i32_e32 v6, v6
	v_cvt_f16_f32_e32 v49, v49
	v_cvt_f16_f32_e32 v37, v54
	v_cvt_f32_i32_e32 v1, v1
	v_fma_mix_f32 v7, v21, v2, v7 op_sel:[0,1,0] op_sel_hi:[1,1,0]
	v_fma_mix_f32 v8, v40, v2, v8 op_sel:[0,1,0] op_sel_hi:[1,1,0]
	;; [unrolled: 1-line block ×4, first 2 shown]
	v_cvt_f16_f32_e32 v4, v4
	v_cvt_f16_f32_e32 v5, v5
	;; [unrolled: 1-line block ×4, first 2 shown]
	v_fma_mix_f32 v2, v22, v3, v7 op_sel_hi:[1,1,0]
	v_fma_mix_f32 v7, v42, v3, v8 op_sel_hi:[1,1,0]
	;; [unrolled: 1-line block ×4, first 2 shown]
	v_fma_mixlo_f16 v9, v15, v34, 0 op_sel_hi:[0,1,0]
	v_fma_mix_f32 v2, v4, v3, v2 op_sel:[0,1,0] op_sel_hi:[1,1,0]
	v_fma_mix_f32 v4, v5, v3, v7 op_sel:[0,1,0] op_sel_hi:[1,1,0]
	v_fma_mix_f32 v5, v6, v3, v8 op_sel:[0,1,0] op_sel_hi:[1,1,0]
	v_fma_mix_f32 v0, v1, v3, v0 op_sel:[0,1,0] op_sel_hi:[1,1,0]
	v_add_f16_e32 v1, v12, v9
	v_fma_mixlo_f16 v2, v2, v26, 0 op_sel_hi:[0,1,0]
	v_fma_mixlo_f16 v3, v4, v31, 0 op_sel_hi:[0,1,0]
	;; [unrolled: 1-line block ×4, first 2 shown]
	s_delay_alu instid0(VALU_DEP_4) | instskip(NEXT) | instid1(VALU_DEP_4)
	v_add_f16_e32 v40, v16, v2
	v_add_f16_e32 v39, v13, v3
	s_delay_alu instid0(VALU_DEP_4) | instskip(NEXT) | instid1(VALU_DEP_4)
	v_add_f16_e32 v38, v14, v4
	v_add_f16_e32 v37, v1, v0
	s_cbranch_scc0 .LBB18_10
.LBB18_8:                               ; =>This Inner Loop Header: Depth=1
	s_cmp_lg_u32 s12, s4
	s_cbranch_scc1 .LBB18_7
; %bb.9:                                ;   in Loop: Header=BB18_8 Depth=1
	s_add_i32 s19, s19, 1
	s_add_i32 s4, s4, s18
	s_mul_i32 s5, s19, s16
	s_delay_alu instid0(SALU_CYCLE_1) | instskip(SKIP_2) | instid1(SALU_CYCLE_1)
	s_ashr_i32 s17, s5, 31
	v_add_nc_u32_e32 v0, s5, v24
	s_lshr_b32 s17, s17, 30
	s_add_i32 s5, s5, s17
	s_delay_alu instid0(VALU_DEP_1) | instskip(SKIP_1) | instid1(SALU_CYCLE_1)
	v_ashrrev_i32_e32 v1, 31, v0
	s_ashr_i32 s5, s5, 2
	v_add_nc_u32_e32 v2, s5, v30
	s_delay_alu instid0(VALU_DEP_2) | instskip(NEXT) | instid1(VALU_DEP_2)
	v_lshlrev_b64 v[0:1], 1, v[0:1]
	v_ashrrev_i32_e32 v3, 31, v2
	s_delay_alu instid0(VALU_DEP_2) | instskip(NEXT) | instid1(VALU_DEP_2)
	v_add_co_u32 v0, vcc_lo, s8, v0
	v_lshlrev_b64 v[2:3], 2, v[2:3]
	s_delay_alu instid0(VALU_DEP_4) | instskip(NEXT) | instid1(VALU_DEP_2)
	v_add_co_ci_u32_e32 v1, vcc_lo, s9, v1, vcc_lo
	v_add_co_u32 v2, vcc_lo, s6, v2
	s_delay_alu instid0(VALU_DEP_3)
	v_add_co_ci_u32_e32 v3, vcc_lo, s7, v3, vcc_lo
	global_load_b64 v[26:27], v[0:1], off
	global_load_b32 v0, v[2:3], off
	s_waitcnt vmcnt(1)
	v_lshrrev_b32_e32 v31, 16, v26
	s_waitcnt vmcnt(0)
	v_and_b32_e32 v32, 0xff, v0
	v_bfe_u32 v33, v0, 8, 8
	v_bfe_u32 v35, v0, 16, 8
	v_lshrrev_b32_e32 v36, 24, v0
	v_lshrrev_b32_e32 v34, 16, v27
	s_branch .LBB18_7
.LBB18_10:
	v_mad_u64_u32 v[0:1], null, s14, s16, v[24:25]
	v_perm_b32 v4, v39, v40, 0x5040100
	s_mov_b32 s0, 0
	s_delay_alu instid0(VALU_DEP_2) | instskip(NEXT) | instid1(VALU_DEP_1)
	v_ashrrev_i32_e32 v1, 31, v0
	v_lshlrev_b64 v[0:1], 1, v[0:1]
	s_delay_alu instid0(VALU_DEP_1) | instskip(NEXT) | instid1(VALU_DEP_2)
	v_add_co_u32 v0, vcc_lo, s10, v0
	v_add_co_ci_u32_e32 v1, vcc_lo, s11, v1, vcc_lo
	global_load_b32 v3, v[0:1], off
.LBB18_11:                              ; =>This Inner Loop Header: Depth=1
	s_waitcnt vmcnt(0)
	v_pk_add_f16 v2, v4, v3
	global_atomic_cmpswap_b32 v2, v[0:1], v[2:3], off glc
	s_waitcnt vmcnt(0)
	v_cmp_eq_u32_e32 vcc_lo, v3, v2
	v_mov_b32_e32 v3, v2
	s_or_b32 s0, vcc_lo, s0
	s_delay_alu instid0(SALU_CYCLE_1)
	s_and_not1_b32 exec_lo, exec_lo, s0
	s_cbranch_execnz .LBB18_11
; %bb.12:
	s_or_b32 exec_lo, exec_lo, s0
	global_load_b32 v3, v[0:1], off offset:4
	v_perm_b32 v4, v37, v38, 0x5040100
	s_mov_b32 s0, 0
.LBB18_13:                              ; =>This Inner Loop Header: Depth=1
	s_waitcnt vmcnt(0)
	s_delay_alu instid0(VALU_DEP_1)
	v_pk_add_f16 v2, v4, v3
	global_atomic_cmpswap_b32 v2, v[0:1], v[2:3], off offset:4 glc
	s_waitcnt vmcnt(0)
	v_cmp_eq_u32_e32 vcc_lo, v3, v2
	v_mov_b32_e32 v3, v2
	s_or_b32 s0, vcc_lo, s0
	s_delay_alu instid0(SALU_CYCLE_1)
	s_and_not1_b32 exec_lo, exec_lo, s0
	s_cbranch_execnz .LBB18_13
.LBB18_14:
	s_endpgm
	.section	.rodata,"a",@progbits
	.p2align	6, 0x0
	.amdhsa_kernel _ZN4vllm4gptq33gemm_half_q_half_gptq_8bit_kernelILb1ELi1EEEvPK6__halfPKjS6_S4_PS2_iiiibPKi
		.amdhsa_group_segment_fixed_size 256
		.amdhsa_private_segment_fixed_size 0
		.amdhsa_kernarg_size 72
		.amdhsa_user_sgpr_count 13
		.amdhsa_user_sgpr_dispatch_ptr 0
		.amdhsa_user_sgpr_queue_ptr 0
		.amdhsa_user_sgpr_kernarg_segment_ptr 1
		.amdhsa_user_sgpr_dispatch_id 0
		.amdhsa_user_sgpr_private_segment_size 0
		.amdhsa_wavefront_size32 1
		.amdhsa_uses_dynamic_stack 0
		.amdhsa_enable_private_segment 0
		.amdhsa_system_sgpr_workgroup_id_x 1
		.amdhsa_system_sgpr_workgroup_id_y 1
		.amdhsa_system_sgpr_workgroup_id_z 1
		.amdhsa_system_sgpr_workgroup_info 0
		.amdhsa_system_vgpr_workitem_id 0
		.amdhsa_next_free_vgpr 102
		.amdhsa_next_free_sgpr 21
		.amdhsa_reserve_vcc 1
		.amdhsa_float_round_mode_32 0
		.amdhsa_float_round_mode_16_64 0
		.amdhsa_float_denorm_mode_32 3
		.amdhsa_float_denorm_mode_16_64 3
		.amdhsa_dx10_clamp 1
		.amdhsa_ieee_mode 1
		.amdhsa_fp16_overflow 0
		.amdhsa_workgroup_processor_mode 1
		.amdhsa_memory_ordered 1
		.amdhsa_forward_progress 0
		.amdhsa_shared_vgpr_count 0
		.amdhsa_exception_fp_ieee_invalid_op 0
		.amdhsa_exception_fp_denorm_src 0
		.amdhsa_exception_fp_ieee_div_zero 0
		.amdhsa_exception_fp_ieee_overflow 0
		.amdhsa_exception_fp_ieee_underflow 0
		.amdhsa_exception_fp_ieee_inexact 0
		.amdhsa_exception_int_div_zero 0
	.end_amdhsa_kernel
	.section	.text._ZN4vllm4gptq33gemm_half_q_half_gptq_8bit_kernelILb1ELi1EEEvPK6__halfPKjS6_S4_PS2_iiiibPKi,"axG",@progbits,_ZN4vllm4gptq33gemm_half_q_half_gptq_8bit_kernelILb1ELi1EEEvPK6__halfPKjS6_S4_PS2_iiiibPKi,comdat
.Lfunc_end18:
	.size	_ZN4vllm4gptq33gemm_half_q_half_gptq_8bit_kernelILb1ELi1EEEvPK6__halfPKjS6_S4_PS2_iiiibPKi, .Lfunc_end18-_ZN4vllm4gptq33gemm_half_q_half_gptq_8bit_kernelILb1ELi1EEEvPK6__halfPKjS6_S4_PS2_iiiibPKi
                                        ; -- End function
	.section	.AMDGPU.csdata,"",@progbits
; Kernel info:
; codeLenInByte = 5144
; NumSgprs: 23
; NumVgprs: 102
; ScratchSize: 0
; MemoryBound: 0
; FloatMode: 240
; IeeeMode: 1
; LDSByteSize: 256 bytes/workgroup (compile time only)
; SGPRBlocks: 2
; VGPRBlocks: 12
; NumSGPRsForWavesPerEU: 23
; NumVGPRsForWavesPerEU: 102
; Occupancy: 12
; WaveLimiterHint : 0
; COMPUTE_PGM_RSRC2:SCRATCH_EN: 0
; COMPUTE_PGM_RSRC2:USER_SGPR: 13
; COMPUTE_PGM_RSRC2:TRAP_HANDLER: 0
; COMPUTE_PGM_RSRC2:TGID_X_EN: 1
; COMPUTE_PGM_RSRC2:TGID_Y_EN: 1
; COMPUTE_PGM_RSRC2:TGID_Z_EN: 1
; COMPUTE_PGM_RSRC2:TIDIG_COMP_CNT: 0
	.section	.text._ZN4vllm4gptq33gemm_half_q_half_gptq_2bit_kernelILb1ELi2EEEvPK6__halfPKjS6_S4_PS2_iiiibPKi,"axG",@progbits,_ZN4vllm4gptq33gemm_half_q_half_gptq_2bit_kernelILb1ELi2EEEvPK6__halfPKjS6_S4_PS2_iiiibPKi,comdat
	.protected	_ZN4vllm4gptq33gemm_half_q_half_gptq_2bit_kernelILb1ELi2EEEvPK6__halfPKjS6_S4_PS2_iiiibPKi ; -- Begin function _ZN4vllm4gptq33gemm_half_q_half_gptq_2bit_kernelILb1ELi2EEEvPK6__halfPKjS6_S4_PS2_iiiibPKi
	.globl	_ZN4vllm4gptq33gemm_half_q_half_gptq_2bit_kernelILb1ELi2EEEvPK6__halfPKjS6_S4_PS2_iiiibPKi
	.p2align	8
	.type	_ZN4vllm4gptq33gemm_half_q_half_gptq_2bit_kernelILb1ELi2EEEvPK6__halfPKjS6_S4_PS2_iiiibPKi,@function
_ZN4vllm4gptq33gemm_half_q_half_gptq_2bit_kernelILb1ELi2EEEvPK6__halfPKjS6_S4_PS2_iiiibPKi: ; @_ZN4vllm4gptq33gemm_half_q_half_gptq_2bit_kernelILb1ELi2EEEvPK6__halfPKjS6_S4_PS2_iiiibPKi
; %bb.0:
	s_load_b128 s[16:19], s[0:1], 0x2c
	s_lshl_b32 s15, s15, 7
	s_load_b256 s[4:11], s[0:1], 0x8
	s_add_i32 s2, s15, 0x80
	s_lshl_b32 s12, s14, 1
	v_cvt_f64_u32_e32 v[1:2], s2
	s_mov_b32 s14, exec_lo
	s_waitcnt lgkmcnt(0)
	v_cvt_f64_i32_e32 v[3:4], s17
	s_delay_alu instid0(VALU_DEP_1) | instskip(NEXT) | instid1(VALU_DEP_1)
	v_min_f64 v[1:2], v[1:2], v[3:4]
	v_cvt_i32_f64_e32 v2, v[1:2]
	v_add_nc_u32_e32 v1, s15, v0
	s_delay_alu instid0(VALU_DEP_2) | instskip(NEXT) | instid1(VALU_DEP_2)
	v_readfirstlane_b32 s20, v2
	v_cmpx_lt_u32_e64 v1, v2
	s_cbranch_execz .LBB19_6
; %bb.1:
	s_clause 0x1
	s_load_b64 s[2:3], s[0:1], 0x40
	s_load_b64 s[0:1], s[0:1], 0x0
	v_mov_b32_e32 v2, 0
	s_delay_alu instid0(VALU_DEP_1) | instskip(SKIP_2) | instid1(VALU_DEP_2)
	v_lshlrev_b64 v[3:4], 2, v[1:2]
	v_dual_mov_b32 v6, v2 :: v_dual_mov_b32 v5, v1
	s_waitcnt lgkmcnt(0)
	v_add_co_u32 v3, vcc_lo, s2, v3
	s_delay_alu instid0(VALU_DEP_3)
	v_add_co_ci_u32_e32 v4, vcc_lo, s3, v4, vcc_lo
	s_cmp_lg_u64 s[2:3], 0
	s_cselect_b32 s21, -1, 0
	s_cmp_eq_u64 s[2:3], 0
	s_cbranch_scc1 .LBB19_3
; %bb.2:
	global_load_b32 v5, v[3:4], off
	s_waitcnt vmcnt(0)
	v_ashrrev_i32_e32 v6, 31, v5
.LBB19_3:
	s_mul_i32 s2, s12, s17
	s_delay_alu instid0(VALU_DEP_1) | instskip(SKIP_1) | instid1(SALU_CYCLE_1)
	v_lshlrev_b64 v[5:6], 1, v[5:6]
	s_ashr_i32 s3, s2, 31
	s_lshl_b64 s[22:23], s[2:3], 1
	s_delay_alu instid0(SALU_CYCLE_1) | instskip(SKIP_1) | instid1(VALU_DEP_1)
	s_add_u32 s3, s0, s22
	s_addc_u32 s22, s1, s23
	v_add_co_u32 v5, vcc_lo, s3, v5
	v_add_co_ci_u32_e32 v6, vcc_lo, s22, v6, vcc_lo
	s_and_not1_b32 vcc_lo, exec_lo, s21
	global_load_u16 v6, v[5:6], off
	v_lshlrev_b32_e32 v5, 1, v0
	s_waitcnt vmcnt(0)
	ds_store_b16 v5, v6
	s_cbranch_vccnz .LBB19_5
; %bb.4:
	global_load_b32 v1, v[3:4], off
	s_waitcnt vmcnt(0)
	v_ashrrev_i32_e32 v2, 31, v1
.LBB19_5:
	s_add_i32 s2, s2, s17
	s_delay_alu instid0(VALU_DEP_1) | instskip(SKIP_1) | instid1(SALU_CYCLE_1)
	v_lshlrev_b64 v[1:2], 1, v[1:2]
	s_ashr_i32 s3, s2, 31
	s_lshl_b64 s[2:3], s[2:3], 1
	s_delay_alu instid0(SALU_CYCLE_1) | instskip(SKIP_1) | instid1(VALU_DEP_1)
	s_add_u32 s0, s0, s2
	s_addc_u32 s1, s1, s3
	v_add_co_u32 v1, vcc_lo, s0, v1
	v_add_co_ci_u32_e32 v2, vcc_lo, s1, v2, vcc_lo
	global_load_u16 v1, v[1:2], off
	s_waitcnt vmcnt(0)
	ds_store_b16 v5, v1 offset:256
.LBB19_6:
	s_or_b32 exec_lo, exec_lo, s14
	v_lshlrev_b32_e32 v1, 2, v0
	s_mov_b32 s0, exec_lo
	s_delay_alu instid0(VALU_DEP_1) | instskip(NEXT) | instid1(VALU_DEP_1)
	v_lshl_add_u32 v1, s13, 9, v1
	v_cmpx_gt_i32_e64 s16, v1
	s_cbranch_execz .LBB19_20
; %bb.7:
	s_abs_i32 s0, s18
	v_dual_mov_b32 v9, 0 :: v_dual_mov_b32 v8, 0
	v_cvt_f32_u32_e32 v2, s0
	v_mov_b32_e32 v7, 0
	s_cmp_ge_i32 s15, s20
	s_mov_b32 s2, 0
	s_waitcnt lgkmcnt(0)
	v_rcp_iflag_f32_e32 v2, v2
	s_barrier
	buffer_gl0_inv
	v_dual_mov_b32 v11, 0 :: v_dual_mul_f32 v2, 0x4f7ffffe, v2
	s_delay_alu instid0(VALU_DEP_1) | instskip(NEXT) | instid1(VALU_DEP_1)
	v_cvt_u32_f32_e32 v2, v2
	v_readfirstlane_b32 s1, v2
	s_cbranch_scc1 .LBB19_12
; %bb.8:
	s_sub_i32 s3, 0, s0
	s_abs_i32 s13, s17
	s_delay_alu instid0(VALU_DEP_1)
	s_mul_i32 s3, s3, s1
	s_ashr_i32 s14, s18, 31
	s_mul_hi_u32 s3, s1, s3
	v_dual_mov_b32 v7, 0 :: v_dual_lshlrev_b32 v12, 3, v0
	s_add_i32 s1, s1, s3
	s_ashr_i32 s3, s17, 31
	s_mul_hi_u32 s1, s13, s1
	s_xor_b32 s3, s3, s14
	s_mul_i32 s17, s1, s0
	s_add_i32 s14, s1, 1
	s_sub_i32 s13, s13, s17
	v_dual_mov_b32 v9, 0 :: v_dual_and_b32 v0, 24, v12
	s_sub_i32 s17, s13, s0
	s_cmp_ge_u32 s13, s0
	v_mov_b32_e32 v8, 0
	s_cselect_b32 s1, s14, s1
	s_cselect_b32 s13, s17, s13
	s_add_i32 s14, s1, 1
	s_cmp_ge_u32 s13, s0
	s_cselect_b32 s0, s14, s1
	s_delay_alu instid0(SALU_CYCLE_1) | instskip(NEXT) | instid1(SALU_CYCLE_1)
	s_xor_b32 s0, s0, s3
	s_sub_i32 s3, s0, s3
	s_bitcmp1_b32 s19, 0
	v_cvt_f32_u32_e32 v2, s3
	s_cselect_b32 s1, -1, 0
	s_sub_i32 s13, 0, s3
	s_xor_b32 s1, s1, -1
	s_delay_alu instid0(VALU_DEP_1) | instskip(SKIP_2) | instid1(VALU_DEP_1)
	v_rcp_iflag_f32_e32 v2, v2
	s_waitcnt_depctr 0xfff
	v_mul_f32_e32 v2, 0x4f7ffffe, v2
	v_cvt_u32_f32_e32 v2, v2
	s_delay_alu instid0(VALU_DEP_1) | instskip(SKIP_1) | instid1(VALU_DEP_2)
	v_readfirstlane_b32 s0, v2
	v_ashrrev_i32_e32 v2, 31, v1
	s_mul_i32 s13, s13, s0
	s_delay_alu instid0(VALU_DEP_1) | instskip(SKIP_1) | instid1(SALU_CYCLE_1)
	v_lshrrev_b32_e32 v3, 28, v2
	s_mul_hi_u32 s13, s0, s13
	s_add_i32 s0, s0, s13
	s_delay_alu instid0(VALU_DEP_1) | instskip(SKIP_1) | instid1(SALU_CYCLE_1)
	v_add_nc_u32_e32 v3, v1, v3
	s_mul_hi_u32 s0, s15, s0
	s_mul_i32 s13, s0, s3
	s_add_i32 s14, s0, 1
	s_sub_i32 s13, s15, s13
	v_ashrrev_i32_e32 v10, 4, v3
	s_sub_i32 s17, s13, s3
	s_cmp_ge_u32 s13, s3
	s_cselect_b32 s0, s14, s0
	s_cselect_b32 s13, s17, s13
	s_add_i32 s14, s0, 1
	s_cmp_ge_u32 s13, s3
	s_cselect_b32 s13, s14, s0
	s_add_i32 s18, s3, s15
	s_mul_i32 s0, s13, s16
	s_ashr_i32 s17, s16, 31
	s_ashr_i32 s14, s0, 31
	v_add_nc_u32_e32 v5, s0, v1
	s_lshr_b32 s14, s14, 28
	s_delay_alu instid0(SALU_CYCLE_1)
	s_add_i32 s14, s0, s14
	s_lshr_b32 s0, s15, 4
	s_ashr_i32 s14, s14, 4
	v_ashrrev_i32_e32 v6, 31, v5
	v_add_nc_u32_e32 v3, s14, v10
	s_mul_i32 s0, s0, s16
	s_mov_b32 s14, 0x30003
	s_delay_alu instid0(VALU_DEP_1) | instskip(NEXT) | instid1(VALU_DEP_1)
	v_ashrrev_i32_e32 v4, 31, v3
	v_lshlrev_b64 v[3:4], 2, v[3:4]
	s_delay_alu instid0(VALU_DEP_1) | instskip(NEXT) | instid1(VALU_DEP_2)
	v_add_co_u32 v3, vcc_lo, s6, v3
	v_add_co_ci_u32_e32 v4, vcc_lo, s7, v4, vcc_lo
	global_load_b32 v11, v[3:4], off
	v_lshlrev_b64 v[3:4], 1, v[5:6]
	v_lshlrev_b64 v[5:6], 2, v[1:2]
	v_cndmask_b32_e64 v2, 0, 1, s1
	s_ashr_i32 s1, s0, 31
	s_delay_alu instid0(SALU_CYCLE_1) | instskip(NEXT) | instid1(VALU_DEP_3)
	s_lshl_b64 s[0:1], s[0:1], 2
	v_add_co_u32 v3, vcc_lo, s8, v3
	v_add_co_ci_u32_e32 v4, vcc_lo, s9, v4, vcc_lo
	s_add_u32 s4, s4, s0
	s_addc_u32 s5, s5, s1
	v_add_co_u32 v5, vcc_lo, s4, v5
	global_load_b64 v[3:4], v[3:4], off
	v_add_co_ci_u32_e32 v6, vcc_lo, s5, v6, vcc_lo
	v_add_co_u32 v5, vcc_lo, v5, 8
	s_lshl_b64 s[0:1], s[16:17], 2
	s_delay_alu instid0(VALU_DEP_2)
	v_add_co_ci_u32_e32 v6, vcc_lo, 0, v6, vcc_lo
	s_mov_b32 s4, 0xc000c
	s_mov_b32 s5, 0x300030
	;; [unrolled: 1-line block ×3, first 2 shown]
	s_waitcnt vmcnt(1)
	v_lshrrev_b32_e32 v15, v12, v11
	v_bfe_u32 v12, v11, v0, 2
	v_mov_b32_e32 v11, 0
	s_delay_alu instid0(VALU_DEP_3)
	v_bfe_u32 v13, v15, 2, 2
	v_bfe_u32 v14, v15, 4, 2
	;; [unrolled: 1-line block ×3, first 2 shown]
	s_branch .LBB19_10
.LBB19_9:                               ;   in Loop: Header=BB19_10 Depth=1
	global_load_b128 v[16:19], v[5:6], off offset:-8
	v_add_nc_u32_e32 v20, v12, v2
	v_dual_mov_b32 v34, s2 :: v_dual_add_nc_u32 v21, v13, v2
	v_add_nc_u32_e32 v22, v14, v2
	v_add_nc_u32_e32 v23, v15, v2
	s_delay_alu instid0(VALU_DEP_4)
	v_cvt_f32_i32_e32 v28, v20
	v_or_b32_e32 v36, 0xffffe400, v20
	v_or_b32_e32 v37, 0xffffe400, v21
	v_cvt_f32_i32_e32 v38, v21
	v_or_b32_e32 v39, 0xffffe400, v22
	v_cvt_f32_i32_e32 v40, v22
	;; [unrolled: 2-line block ×3, first 2 shown]
	ds_load_2addr_b32 v[20:21], v34 offset1:1
	ds_load_2addr_b32 v[22:23], v34 offset0:2 offset1:3
	ds_load_2addr_b32 v[24:25], v34 offset0:4 offset1:5
	;; [unrolled: 1-line block ×3, first 2 shown]
	v_cvt_f16_f32_e32 v43, v28
	ds_load_2addr_b32 v[28:29], v34 offset0:64 offset1:65
	ds_load_2addr_b32 v[30:31], v34 offset0:66 offset1:67
	;; [unrolled: 1-line block ×4, first 2 shown]
	v_cvt_f16_f32_e32 v38, v38
	v_cvt_f16_f32_e32 v40, v40
	;; [unrolled: 1-line block ×3, first 2 shown]
	v_sub_f16_e32 v44, 0xdc00, v43
	v_sub_f16_e32 v45, 0xd400, v43
	;; [unrolled: 1-line block ×12, first 2 shown]
	v_add_co_u32 v5, vcc_lo, v5, s0
	v_add_co_ci_u32_e32 v6, vcc_lo, s1, v6, vcc_lo
	s_add_i32 s15, s15, 16
	s_add_i32 s2, s2, 32
	s_cmp_ge_i32 s15, s20
	s_waitcnt vmcnt(0)
	v_and_or_b32 v52, v16, s14, 0x64006400
	v_and_or_b32 v53, v16, s4, 0x64006400
	v_and_or_b32 v54, v16, s5, 0x64006400
	v_and_or_b32 v55, v16, s17, 0x64006400
	v_lshrrev_b32_e32 v16, 8, v16
	v_and_or_b32 v56, v17, s14, 0x64006400
	v_and_or_b32 v57, v17, s4, 0x64006400
	v_and_or_b32 v58, v17, s5, 0x64006400
	v_and_or_b32 v59, v17, s17, 0x64006400
	v_lshrrev_b32_e32 v17, 8, v17
	;; [unrolled: 5-line block ×4, first 2 shown]
	v_and_or_b32 v68, v16, s14, 0x64006400
	v_and_or_b32 v69, v16, s4, 0x64006400
	v_and_or_b32 v70, v16, s5, 0x64006400
	v_and_or_b32 v16, v16, s17, 0x64006400
	v_pk_add_f16 v52, v36, v52 op_sel_hi:[0,1]
	v_and_or_b32 v71, v17, s14, 0x64006400
	v_and_or_b32 v72, v17, s4, 0x64006400
	v_and_or_b32 v73, v17, s5, 0x64006400
	v_and_or_b32 v17, v17, s17, 0x64006400
	v_pk_add_f16 v56, v37, v56 op_sel_hi:[0,1]
	;; [unrolled: 5-line block ×4, first 2 shown]
	v_pk_fma_f16 v53, 0x3400, v53, v44 op_sel_hi:[0,1,0]
	v_pk_fma_f16 v55, 0x2400, v55, v43 op_sel_hi:[0,1,0]
	;; [unrolled: 1-line block ×15, first 2 shown]
	v_pk_add_f16 v38, v39, v74 op_sel_hi:[0,1]
	v_pk_fma_f16 v39, 0x3400, v75, v48 op_sel_hi:[0,1,0]
	v_pk_fma_f16 v47, 0x2c00, v76, v49 op_sel_hi:[0,1,0]
	;; [unrolled: 1-line block ×3, first 2 shown]
	v_pk_add_f16 v40, v41, v77 op_sel_hi:[0,1]
	v_pk_fma_f16 v41, 0x3400, v78, v50 op_sel_hi:[0,1,0]
	v_pk_fma_f16 v48, 0x2c00, v79, v51 op_sel_hi:[0,1,0]
	;; [unrolled: 1-line block ×3, first 2 shown]
	s_waitcnt lgkmcnt(7)
	v_pk_fma_f16 v42, v52, v20, 0
	v_pk_fma_f16 v49, v56, v20, 0
	;; [unrolled: 1-line block ×4, first 2 shown]
	s_waitcnt lgkmcnt(3)
	v_pk_fma_f16 v51, v52, v28, 0
	v_pk_fma_f16 v52, v56, v28, 0
	;; [unrolled: 1-line block ×4, first 2 shown]
	v_pk_fma_f16 v54, 0x2c00, v54, v45 op_sel_hi:[0,1,0]
	v_pk_fma_f16 v42, v53, v21, v42
	v_pk_fma_f16 v49, v57, v21, v49
	;; [unrolled: 1-line block ×12, first 2 shown]
	s_waitcnt lgkmcnt(2)
	v_pk_fma_f16 v21, v54, v30, v21
	v_pk_fma_f16 v22, v58, v30, v51
	;; [unrolled: 1-line block ×4, first 2 shown]
	v_pk_add_f16 v36, v36, v68 op_sel_hi:[0,1]
	v_pk_add_f16 v37, v37, v71 op_sel_hi:[0,1]
	v_pk_fma_f16 v29, v55, v23, v29
	v_pk_fma_f16 v30, v59, v23, v42
	;; [unrolled: 1-line block ×8, first 2 shown]
	v_pk_fma_f16 v44, 0x3400, v69, v44 op_sel_hi:[0,1,0]
	v_pk_fma_f16 v29, v36, v24, v29
	v_pk_fma_f16 v30, v37, v24, v30
	v_pk_fma_f16 v31, v38, v24, v42
	v_pk_fma_f16 v20, v40, v24, v20
	s_waitcnt lgkmcnt(1)
	v_pk_fma_f16 v21, v36, v32, v21
	v_pk_fma_f16 v22, v37, v32, v22
	;; [unrolled: 1-line block ×4, first 2 shown]
	v_pk_fma_f16 v45, 0x2c00, v70, v45 op_sel_hi:[0,1,0]
	v_pk_fma_f16 v28, v44, v25, v29
	v_pk_fma_f16 v29, v43, v25, v30
	;; [unrolled: 1-line block ×12, first 2 shown]
	s_waitcnt lgkmcnt(0)
	v_pk_fma_f16 v21, v45, v34, v21
	v_pk_fma_f16 v22, v46, v34, v22
	;; [unrolled: 1-line block ×12, first 2 shown]
	v_pack_b32_f16 v21, v25, v26
	v_perm_b32 v22, v26, v25, 0x7060302
	v_pack_b32_f16 v23, v28, v20
	v_perm_b32 v20, v20, v28, 0x7060302
	;; [unrolled: 2-line block ×4, first 2 shown]
	v_pk_add_f16 v19, v21, v22
	v_pk_add_f16 v20, v23, v20
	;; [unrolled: 1-line block ×3, first 2 shown]
	s_delay_alu instid0(VALU_DEP_4) | instskip(NEXT) | instid1(VALU_DEP_4)
	v_pk_add_f16 v17, v17, v18
	v_pk_fma_f16 v11, v19, v3, v11
	s_delay_alu instid0(VALU_DEP_4) | instskip(NEXT) | instid1(VALU_DEP_4)
	v_pk_fma_f16 v9, v20, v4, v9
	v_pk_fma_f16 v8, v16, v3, v8
	s_delay_alu instid0(VALU_DEP_4)
	v_pk_fma_f16 v7, v17, v4, v7
	s_cbranch_scc1 .LBB19_12
.LBB19_10:                              ; =>This Inner Loop Header: Depth=1
	s_cmp_lg_u32 s15, s18
	s_cbranch_scc1 .LBB19_9
; %bb.11:                               ;   in Loop: Header=BB19_10 Depth=1
	s_add_i32 s13, s13, 1
	s_add_i32 s18, s18, s3
	s_mul_i32 s19, s13, s16
	s_delay_alu instid0(SALU_CYCLE_1) | instskip(SKIP_2) | instid1(SALU_CYCLE_1)
	s_ashr_i32 s21, s19, 31
	v_add_nc_u32_e32 v12, s19, v1
	s_lshr_b32 s21, s21, 28
	s_add_i32 s21, s19, s21
	s_delay_alu instid0(VALU_DEP_1) | instskip(SKIP_3) | instid1(VALU_DEP_2)
	v_ashrrev_i32_e32 v13, 31, v12
	s_ashr_i32 s21, s21, 4
	s_waitcnt vmcnt(0)
	v_add_nc_u32_e32 v3, s21, v10
	v_lshlrev_b64 v[12:13], 1, v[12:13]
	s_delay_alu instid0(VALU_DEP_2) | instskip(NEXT) | instid1(VALU_DEP_1)
	v_ashrrev_i32_e32 v4, 31, v3
	v_lshlrev_b64 v[3:4], 2, v[3:4]
	s_delay_alu instid0(VALU_DEP_1) | instskip(NEXT) | instid1(VALU_DEP_2)
	v_add_co_u32 v3, vcc_lo, s6, v3
	v_add_co_ci_u32_e32 v4, vcc_lo, s7, v4, vcc_lo
	global_load_b32 v14, v[3:4], off
	v_add_co_u32 v3, vcc_lo, s8, v12
	v_add_co_ci_u32_e32 v4, vcc_lo, s9, v13, vcc_lo
	global_load_b64 v[3:4], v[3:4], off
	s_waitcnt vmcnt(1)
	v_lshrrev_b32_e32 v15, v0, v14
	v_bfe_u32 v12, v14, v0, 2
	s_delay_alu instid0(VALU_DEP_2)
	v_bfe_u32 v13, v15, 2, 2
	v_bfe_u32 v14, v15, 4, 2
	;; [unrolled: 1-line block ×3, first 2 shown]
	s_branch .LBB19_9
.LBB19_12:
	v_mad_u64_u32 v[2:3], null, s12, s16, v[1:2]
	s_mov_b32 s0, 0
	s_delay_alu instid0(VALU_DEP_1) | instskip(NEXT) | instid1(VALU_DEP_1)
	v_ashrrev_i32_e32 v3, 31, v2
	v_lshlrev_b64 v[0:1], 1, v[2:3]
	s_delay_alu instid0(VALU_DEP_1) | instskip(NEXT) | instid1(VALU_DEP_2)
	v_add_co_u32 v0, vcc_lo, s10, v0
	v_add_co_ci_u32_e32 v1, vcc_lo, s11, v1, vcc_lo
	global_load_b32 v4, v[0:1], off
.LBB19_13:                              ; =>This Inner Loop Header: Depth=1
	s_waitcnt vmcnt(0)
	v_pk_add_f16 v3, v11, v4
	global_atomic_cmpswap_b32 v3, v[0:1], v[3:4], off glc
	s_waitcnt vmcnt(0)
	v_cmp_eq_u32_e32 vcc_lo, v4, v3
	v_mov_b32_e32 v4, v3
	s_or_b32 s0, vcc_lo, s0
	s_delay_alu instid0(SALU_CYCLE_1)
	s_and_not1_b32 exec_lo, exec_lo, s0
	s_cbranch_execnz .LBB19_13
; %bb.14:
	s_or_b32 exec_lo, exec_lo, s0
	global_load_b32 v4, v[0:1], off offset:4
	s_mov_b32 s0, 0
.LBB19_15:                              ; =>This Inner Loop Header: Depth=1
	s_waitcnt vmcnt(0)
	v_pk_add_f16 v3, v9, v4
	global_atomic_cmpswap_b32 v3, v[0:1], v[3:4], off offset:4 glc
	s_waitcnt vmcnt(0)
	v_cmp_eq_u32_e32 vcc_lo, v4, v3
	v_mov_b32_e32 v4, v3
	s_or_b32 s0, vcc_lo, s0
	s_delay_alu instid0(SALU_CYCLE_1)
	s_and_not1_b32 exec_lo, exec_lo, s0
	s_cbranch_execnz .LBB19_15
; %bb.16:
	s_or_b32 exec_lo, exec_lo, s0
	v_add_nc_u32_e32 v0, s16, v2
	s_mov_b32 s0, 0
	s_delay_alu instid0(VALU_DEP_1) | instskip(NEXT) | instid1(VALU_DEP_1)
	v_ashrrev_i32_e32 v1, 31, v0
	v_lshlrev_b64 v[0:1], 1, v[0:1]
	s_delay_alu instid0(VALU_DEP_1) | instskip(NEXT) | instid1(VALU_DEP_2)
	v_add_co_u32 v0, vcc_lo, s10, v0
	v_add_co_ci_u32_e32 v1, vcc_lo, s11, v1, vcc_lo
	global_load_b32 v3, v[0:1], off
.LBB19_17:                              ; =>This Inner Loop Header: Depth=1
	s_waitcnt vmcnt(0)
	v_pk_add_f16 v2, v8, v3
	global_atomic_cmpswap_b32 v2, v[0:1], v[2:3], off glc
	s_waitcnt vmcnt(0)
	v_cmp_eq_u32_e32 vcc_lo, v3, v2
	v_mov_b32_e32 v3, v2
	s_or_b32 s0, vcc_lo, s0
	s_delay_alu instid0(SALU_CYCLE_1)
	s_and_not1_b32 exec_lo, exec_lo, s0
	s_cbranch_execnz .LBB19_17
; %bb.18:
	s_or_b32 exec_lo, exec_lo, s0
	global_load_b32 v3, v[0:1], off offset:4
	s_mov_b32 s0, 0
.LBB19_19:                              ; =>This Inner Loop Header: Depth=1
	s_waitcnt vmcnt(0)
	v_pk_add_f16 v2, v7, v3
	global_atomic_cmpswap_b32 v2, v[0:1], v[2:3], off offset:4 glc
	s_waitcnt vmcnt(0)
	v_cmp_eq_u32_e32 vcc_lo, v3, v2
	v_mov_b32_e32 v3, v2
	s_or_b32 s0, vcc_lo, s0
	s_delay_alu instid0(SALU_CYCLE_1)
	s_and_not1_b32 exec_lo, exec_lo, s0
	s_cbranch_execnz .LBB19_19
.LBB19_20:
	s_endpgm
	.section	.rodata,"a",@progbits
	.p2align	6, 0x0
	.amdhsa_kernel _ZN4vllm4gptq33gemm_half_q_half_gptq_2bit_kernelILb1ELi2EEEvPK6__halfPKjS6_S4_PS2_iiiibPKi
		.amdhsa_group_segment_fixed_size 512
		.amdhsa_private_segment_fixed_size 0
		.amdhsa_kernarg_size 72
		.amdhsa_user_sgpr_count 13
		.amdhsa_user_sgpr_dispatch_ptr 0
		.amdhsa_user_sgpr_queue_ptr 0
		.amdhsa_user_sgpr_kernarg_segment_ptr 1
		.amdhsa_user_sgpr_dispatch_id 0
		.amdhsa_user_sgpr_private_segment_size 0
		.amdhsa_wavefront_size32 1
		.amdhsa_uses_dynamic_stack 0
		.amdhsa_enable_private_segment 0
		.amdhsa_system_sgpr_workgroup_id_x 1
		.amdhsa_system_sgpr_workgroup_id_y 1
		.amdhsa_system_sgpr_workgroup_id_z 1
		.amdhsa_system_sgpr_workgroup_info 0
		.amdhsa_system_vgpr_workitem_id 0
		.amdhsa_next_free_vgpr 80
		.amdhsa_next_free_sgpr 24
		.amdhsa_reserve_vcc 1
		.amdhsa_float_round_mode_32 0
		.amdhsa_float_round_mode_16_64 0
		.amdhsa_float_denorm_mode_32 3
		.amdhsa_float_denorm_mode_16_64 3
		.amdhsa_dx10_clamp 1
		.amdhsa_ieee_mode 1
		.amdhsa_fp16_overflow 0
		.amdhsa_workgroup_processor_mode 1
		.amdhsa_memory_ordered 1
		.amdhsa_forward_progress 0
		.amdhsa_shared_vgpr_count 0
		.amdhsa_exception_fp_ieee_invalid_op 0
		.amdhsa_exception_fp_denorm_src 0
		.amdhsa_exception_fp_ieee_div_zero 0
		.amdhsa_exception_fp_ieee_overflow 0
		.amdhsa_exception_fp_ieee_underflow 0
		.amdhsa_exception_fp_ieee_inexact 0
		.amdhsa_exception_int_div_zero 0
	.end_amdhsa_kernel
	.section	.text._ZN4vllm4gptq33gemm_half_q_half_gptq_2bit_kernelILb1ELi2EEEvPK6__halfPKjS6_S4_PS2_iiiibPKi,"axG",@progbits,_ZN4vllm4gptq33gemm_half_q_half_gptq_2bit_kernelILb1ELi2EEEvPK6__halfPKjS6_S4_PS2_iiiibPKi,comdat
.Lfunc_end19:
	.size	_ZN4vllm4gptq33gemm_half_q_half_gptq_2bit_kernelILb1ELi2EEEvPK6__halfPKjS6_S4_PS2_iiiibPKi, .Lfunc_end19-_ZN4vllm4gptq33gemm_half_q_half_gptq_2bit_kernelILb1ELi2EEEvPK6__halfPKjS6_S4_PS2_iiiibPKi
                                        ; -- End function
	.section	.AMDGPU.csdata,"",@progbits
; Kernel info:
; codeLenInByte = 3212
; NumSgprs: 26
; NumVgprs: 80
; ScratchSize: 0
; MemoryBound: 0
; FloatMode: 240
; IeeeMode: 1
; LDSByteSize: 512 bytes/workgroup (compile time only)
; SGPRBlocks: 3
; VGPRBlocks: 9
; NumSGPRsForWavesPerEU: 26
; NumVGPRsForWavesPerEU: 80
; Occupancy: 16
; WaveLimiterHint : 0
; COMPUTE_PGM_RSRC2:SCRATCH_EN: 0
; COMPUTE_PGM_RSRC2:USER_SGPR: 13
; COMPUTE_PGM_RSRC2:TRAP_HANDLER: 0
; COMPUTE_PGM_RSRC2:TGID_X_EN: 1
; COMPUTE_PGM_RSRC2:TGID_Y_EN: 1
; COMPUTE_PGM_RSRC2:TGID_Z_EN: 1
; COMPUTE_PGM_RSRC2:TIDIG_COMP_CNT: 0
	.section	.text._ZN4vllm4gptq33gemm_half_q_half_gptq_3bit_kernelILb1ELi2EEEvPK6__halfPKjS6_S4_PS2_iiiibPKi,"axG",@progbits,_ZN4vllm4gptq33gemm_half_q_half_gptq_3bit_kernelILb1ELi2EEEvPK6__halfPKjS6_S4_PS2_iiiibPKi,comdat
	.protected	_ZN4vllm4gptq33gemm_half_q_half_gptq_3bit_kernelILb1ELi2EEEvPK6__halfPKjS6_S4_PS2_iiiibPKi ; -- Begin function _ZN4vllm4gptq33gemm_half_q_half_gptq_3bit_kernelILb1ELi2EEEvPK6__halfPKjS6_S4_PS2_iiiibPKi
	.globl	_ZN4vllm4gptq33gemm_half_q_half_gptq_3bit_kernelILb1ELi2EEEvPK6__halfPKjS6_S4_PS2_iiiibPKi
	.p2align	8
	.type	_ZN4vllm4gptq33gemm_half_q_half_gptq_3bit_kernelILb1ELi2EEEvPK6__halfPKjS6_S4_PS2_iiiibPKi,@function
_ZN4vllm4gptq33gemm_half_q_half_gptq_3bit_kernelILb1ELi2EEEvPK6__halfPKjS6_S4_PS2_iiiibPKi: ; @_ZN4vllm4gptq33gemm_half_q_half_gptq_3bit_kernelILb1ELi2EEEvPK6__halfPKjS6_S4_PS2_iiiibPKi
; %bb.0:
	s_load_b128 s[16:19], s[0:1], 0x2c
	s_lshl_b32 s15, s15, 7
	s_load_b256 s[4:11], s[0:1], 0x8
	s_add_i32 s2, s15, 0x80
	s_lshl_b32 s12, s14, 1
	v_cvt_f64_u32_e32 v[1:2], s2
	s_mov_b32 s14, exec_lo
	s_waitcnt lgkmcnt(0)
	v_cvt_f64_i32_e32 v[3:4], s17
	s_delay_alu instid0(VALU_DEP_1) | instskip(NEXT) | instid1(VALU_DEP_1)
	v_min_f64 v[1:2], v[1:2], v[3:4]
	v_cvt_i32_f64_e32 v2, v[1:2]
	v_add_nc_u32_e32 v1, s15, v0
	s_delay_alu instid0(VALU_DEP_2) | instskip(NEXT) | instid1(VALU_DEP_2)
	v_readfirstlane_b32 s20, v2
	v_cmpx_lt_u32_e64 v1, v2
	s_cbranch_execz .LBB20_6
; %bb.1:
	s_clause 0x1
	s_load_b64 s[2:3], s[0:1], 0x40
	s_load_b64 s[0:1], s[0:1], 0x0
	v_mov_b32_e32 v2, 0
	s_delay_alu instid0(VALU_DEP_1) | instskip(SKIP_2) | instid1(VALU_DEP_2)
	v_lshlrev_b64 v[3:4], 2, v[1:2]
	v_dual_mov_b32 v6, v2 :: v_dual_mov_b32 v5, v1
	s_waitcnt lgkmcnt(0)
	v_add_co_u32 v3, vcc_lo, s2, v3
	s_delay_alu instid0(VALU_DEP_3)
	v_add_co_ci_u32_e32 v4, vcc_lo, s3, v4, vcc_lo
	s_cmp_lg_u64 s[2:3], 0
	s_cselect_b32 s21, -1, 0
	s_cmp_eq_u64 s[2:3], 0
	s_cbranch_scc1 .LBB20_3
; %bb.2:
	global_load_b32 v5, v[3:4], off
	s_waitcnt vmcnt(0)
	v_ashrrev_i32_e32 v6, 31, v5
.LBB20_3:
	s_mul_i32 s2, s12, s17
	s_delay_alu instid0(VALU_DEP_1) | instskip(SKIP_1) | instid1(SALU_CYCLE_1)
	v_lshlrev_b64 v[5:6], 1, v[5:6]
	s_ashr_i32 s3, s2, 31
	s_lshl_b64 s[22:23], s[2:3], 1
	s_delay_alu instid0(SALU_CYCLE_1) | instskip(SKIP_1) | instid1(VALU_DEP_1)
	s_add_u32 s3, s0, s22
	s_addc_u32 s22, s1, s23
	v_add_co_u32 v5, vcc_lo, s3, v5
	v_add_co_ci_u32_e32 v6, vcc_lo, s22, v6, vcc_lo
	s_and_not1_b32 vcc_lo, exec_lo, s21
	global_load_u16 v6, v[5:6], off
	v_lshlrev_b32_e32 v5, 1, v0
	s_waitcnt vmcnt(0)
	ds_store_b16 v5, v6
	s_cbranch_vccnz .LBB20_5
; %bb.4:
	global_load_b32 v1, v[3:4], off
	s_waitcnt vmcnt(0)
	v_ashrrev_i32_e32 v2, 31, v1
.LBB20_5:
	s_add_i32 s2, s2, s17
	s_delay_alu instid0(VALU_DEP_1) | instskip(SKIP_1) | instid1(SALU_CYCLE_1)
	v_lshlrev_b64 v[1:2], 1, v[1:2]
	s_ashr_i32 s3, s2, 31
	s_lshl_b64 s[2:3], s[2:3], 1
	s_delay_alu instid0(SALU_CYCLE_1) | instskip(SKIP_1) | instid1(VALU_DEP_1)
	s_add_u32 s0, s0, s2
	s_addc_u32 s1, s1, s3
	v_add_co_u32 v1, vcc_lo, s0, v1
	v_add_co_ci_u32_e32 v2, vcc_lo, s1, v2, vcc_lo
	global_load_u16 v1, v[1:2], off
	s_waitcnt vmcnt(0)
	ds_store_b16 v5, v1 offset:256
.LBB20_6:
	s_or_b32 exec_lo, exec_lo, s14
	v_lshlrev_b32_e32 v1, 2, v0
	s_mov_b32 s0, exec_lo
	s_delay_alu instid0(VALU_DEP_1) | instskip(NEXT) | instid1(VALU_DEP_1)
	v_lshl_add_u32 v0, s13, 9, v1
	v_cmpx_gt_i32_e64 s16, v0
	s_cbranch_execz .LBB20_52
; %bb.7:
	s_abs_i32 s0, s18
	s_abs_i32 s3, s17
	v_cvt_f32_u32_e32 v2, s0
	s_sub_i32 s2, 0, s0
	s_waitcnt lgkmcnt(0)
	s_barrier
	buffer_gl0_inv
	v_rcp_iflag_f32_e32 v2, v2
                                        ; implicit-def: $vgpr4
                                        ; implicit-def: $vgpr5
	v_and_b32_e32 v3, 28, v1
	s_delay_alu instid0(VALU_DEP_1) | instskip(SKIP_2) | instid1(VALU_DEP_1)
	v_cmp_lt_u32_e32 vcc_lo, 4, v3
	s_waitcnt_depctr 0xfff
	v_mul_f32_e32 v2, 0x4f7ffffe, v2
	v_cvt_u32_f32_e32 v2, v2
	s_delay_alu instid0(VALU_DEP_1) | instskip(NEXT) | instid1(VALU_DEP_1)
	v_readfirstlane_b32 s1, v2
	s_mul_i32 s2, s2, s1
	s_delay_alu instid0(SALU_CYCLE_1) | instskip(NEXT) | instid1(SALU_CYCLE_1)
	s_mul_hi_u32 s2, s1, s2
	s_add_i32 s1, s1, s2
	s_xor_b32 s2, s17, s18
	s_mul_hi_u32 s1, s3, s1
	s_ashr_i32 s2, s2, 31
	s_mul_i32 s13, s1, s0
	s_delay_alu instid0(SALU_CYCLE_1)
	s_sub_i32 s3, s3, s13
	s_add_i32 s13, s1, 1
	s_sub_i32 s14, s3, s0
	s_cmp_ge_u32 s3, s0
	s_cselect_b32 s1, s13, s1
	s_cselect_b32 s3, s14, s3
	s_add_i32 s13, s1, 1
	s_cmp_ge_u32 s3, s0
	s_cselect_b32 s0, s13, s1
	s_delay_alu instid0(SALU_CYCLE_1) | instskip(NEXT) | instid1(SALU_CYCLE_1)
	s_xor_b32 s0, s0, s2
	s_sub_i32 s13, s0, s2
	s_delay_alu instid0(SALU_CYCLE_1) | instskip(SKIP_1) | instid1(VALU_DEP_1)
	v_cvt_f32_u32_e32 v2, s13
	s_sub_i32 s1, 0, s13
	v_rcp_iflag_f32_e32 v2, v2
	s_waitcnt_depctr 0xfff
	v_mul_f32_e32 v2, 0x4f7ffffe, v2
	s_delay_alu instid0(VALU_DEP_1) | instskip(NEXT) | instid1(VALU_DEP_1)
	v_cvt_u32_f32_e32 v2, v2
	v_readfirstlane_b32 s0, v2
	s_delay_alu instid0(VALU_DEP_1) | instskip(NEXT) | instid1(SALU_CYCLE_1)
	s_mul_i32 s1, s1, s0
	s_mul_hi_u32 s1, s0, s1
	s_delay_alu instid0(SALU_CYCLE_1) | instskip(NEXT) | instid1(SALU_CYCLE_1)
	s_add_i32 s0, s0, s1
	s_mul_hi_u32 s0, s15, s0
	s_delay_alu instid0(SALU_CYCLE_1) | instskip(SKIP_2) | instid1(SALU_CYCLE_1)
	s_mul_i32 s1, s0, s13
	s_add_i32 s2, s0, 1
	s_sub_i32 s1, s15, s1
	s_sub_i32 s3, s1, s13
	s_cmp_ge_u32 s1, s13
	s_cselect_b32 s0, s2, s0
	s_cselect_b32 s1, s3, s1
	s_add_i32 s2, s0, 1
	s_cmp_ge_u32 s1, s13
	s_cselect_b32 s14, s2, s0
	s_and_saveexec_b32 s0, vcc_lo
	s_delay_alu instid0(SALU_CYCLE_1)
	s_xor_b32 s1, exec_lo, s0
	s_cbranch_execz .LBB20_21
; %bb.8:
	s_mov_b32 s2, exec_lo
                                        ; implicit-def: $vgpr4
                                        ; implicit-def: $vgpr5
	v_cmpx_ne_u32_e32 8, v3
	s_xor_b32 s2, exec_lo, s2
	s_cbranch_execz .LBB20_18
; %bb.9:
	s_mov_b32 s3, exec_lo
                                        ; implicit-def: $vgpr4
                                        ; implicit-def: $vgpr5
	v_cmpx_lt_u32_e32 16, v3
	s_xor_b32 s3, exec_lo, s3
	s_cbranch_execz .LBB20_15
; %bb.10:
	v_lshl_add_u32 v1, v0, 1, v0
	s_mul_i32 s17, s14, s16
	s_delay_alu instid0(SALU_CYCLE_1) | instskip(NEXT) | instid1(SALU_CYCLE_1)
	s_ashr_i32 s0, s17, 31
	s_lshr_b32 s0, s0, 27
	s_delay_alu instid0(VALU_DEP_1) | instskip(SKIP_1) | instid1(SALU_CYCLE_1)
	v_ashrrev_i32_e32 v2, 31, v1
	s_add_i32 s0, s17, s0
	s_ashr_i32 s0, s0, 5
	s_delay_alu instid0(VALU_DEP_1) | instskip(NEXT) | instid1(VALU_DEP_1)
	v_lshrrev_b32_e32 v2, 27, v2
	v_add_nc_u32_e32 v1, v1, v2
	s_delay_alu instid0(VALU_DEP_1) | instskip(NEXT) | instid1(VALU_DEP_1)
	v_ashrrev_i32_e32 v1, 5, v1
	v_mad_u64_u32 v[4:5], null, s0, 3, v[1:2]
	s_delay_alu instid0(VALU_DEP_1) | instskip(NEXT) | instid1(VALU_DEP_1)
	v_ashrrev_i32_e32 v5, 31, v4
	v_lshlrev_b64 v[1:2], 2, v[4:5]
                                        ; implicit-def: $vgpr4
	s_delay_alu instid0(VALU_DEP_1) | instskip(NEXT) | instid1(VALU_DEP_1)
	v_add_co_u32 v1, s0, s6, v1
	v_add_co_ci_u32_e64 v2, s0, s7, v2, s0
	v_cmp_ne_u32_e64 s0, 20, v3
	global_load_b32 v6, v[1:2], off
	s_and_saveexec_b32 s18, s0
	s_delay_alu instid0(SALU_CYCLE_1)
	s_xor_b32 s0, exec_lo, s18
	s_cbranch_execz .LBB20_12
; %bb.11:
	v_mad_u32_u24 v1, v3, 3, 0xffffffc0
	s_waitcnt vmcnt(0)
	s_delay_alu instid0(VALU_DEP_1)
	v_lshrrev_b32_e32 v4, v1, v6
                                        ; implicit-def: $vgpr1_vgpr2
                                        ; implicit-def: $vgpr6
.LBB20_12:
	s_or_saveexec_b32 s0, s0
	v_mov_b32_e32 v5, s17
	s_xor_b32 exec_lo, exec_lo, s0
	s_cbranch_execz .LBB20_14
; %bb.13:
	global_load_b32 v1, v[1:2], off offset:4
	v_mov_b32_e32 v5, s17
	s_waitcnt vmcnt(0)
	v_alignbit_b32 v1, v1, v6, 28
	s_delay_alu instid0(VALU_DEP_1)
	v_and_b32_e32 v4, 0xfff, v1
.LBB20_14:
	s_or_b32 exec_lo, exec_lo, s0
.LBB20_15:
	s_and_not1_saveexec_b32 s3, s3
	s_cbranch_execz .LBB20_17
; %bb.16:
	v_lshl_add_u32 v1, v0, 1, v0
	s_mul_i32 s17, s14, s16
	s_delay_alu instid0(SALU_CYCLE_1) | instskip(NEXT) | instid1(SALU_CYCLE_1)
	s_ashr_i32 s0, s17, 31
	s_lshr_b32 s0, s0, 27
	s_delay_alu instid0(VALU_DEP_1) | instskip(SKIP_1) | instid1(SALU_CYCLE_1)
	v_ashrrev_i32_e32 v2, 31, v1
	s_add_i32 s0, s17, s0
	s_ashr_i32 s0, s0, 5
	s_delay_alu instid0(VALU_DEP_1) | instskip(NEXT) | instid1(VALU_DEP_1)
	v_lshrrev_b32_e32 v2, 27, v2
	v_add_nc_u32_e32 v1, v1, v2
	s_delay_alu instid0(VALU_DEP_1) | instskip(NEXT) | instid1(VALU_DEP_1)
	v_ashrrev_i32_e32 v1, 5, v1
	v_mad_u64_u32 v[4:5], null, s0, 3, v[1:2]
	s_delay_alu instid0(VALU_DEP_1) | instskip(NEXT) | instid1(VALU_DEP_1)
	v_ashrrev_i32_e32 v5, 31, v4
	v_lshlrev_b64 v[1:2], 2, v[4:5]
	v_mov_b32_e32 v5, s17
	s_delay_alu instid0(VALU_DEP_2) | instskip(NEXT) | instid1(VALU_DEP_1)
	v_add_co_u32 v1, s0, s6, v1
	v_add_co_ci_u32_e64 v2, s0, s7, v2, s0
	global_load_b32 v1, v[1:2], off
	v_mad_u32_u24 v2, v3, 3, 0xffffffe0
	s_waitcnt vmcnt(0)
	s_delay_alu instid0(VALU_DEP_1)
	v_lshrrev_b32_e32 v4, v2, v1
.LBB20_17:
	s_or_b32 exec_lo, exec_lo, s3
.LBB20_18:
	s_and_not1_saveexec_b32 s2, s2
	s_cbranch_execz .LBB20_20
; %bb.19:
	v_lshl_add_u32 v1, v0, 1, v0
	s_mul_i32 s3, s14, s16
	s_delay_alu instid0(SALU_CYCLE_1) | instskip(NEXT) | instid1(SALU_CYCLE_1)
	s_ashr_i32 s0, s3, 31
	s_lshr_b32 s0, s0, 27
	s_delay_alu instid0(VALU_DEP_1) | instskip(SKIP_1) | instid1(SALU_CYCLE_1)
	v_ashrrev_i32_e32 v2, 31, v1
	s_add_i32 s0, s3, s0
	s_ashr_i32 s0, s0, 5
	s_delay_alu instid0(VALU_DEP_1) | instskip(NEXT) | instid1(VALU_DEP_1)
	v_lshrrev_b32_e32 v2, 27, v2
	v_add_nc_u32_e32 v1, v1, v2
	s_delay_alu instid0(VALU_DEP_1) | instskip(NEXT) | instid1(VALU_DEP_1)
	v_ashrrev_i32_e32 v1, 5, v1
	v_mad_u64_u32 v[4:5], null, s0, 3, v[1:2]
	s_delay_alu instid0(VALU_DEP_1) | instskip(NEXT) | instid1(VALU_DEP_1)
	v_ashrrev_i32_e32 v5, 31, v4
	v_lshlrev_b64 v[1:2], 2, v[4:5]
	v_mov_b32_e32 v5, s3
	s_delay_alu instid0(VALU_DEP_2) | instskip(NEXT) | instid1(VALU_DEP_1)
	v_add_co_u32 v1, s0, s6, v1
	v_add_co_ci_u32_e64 v2, s0, s7, v2, s0
	global_load_b64 v[1:2], v[1:2], off
	s_waitcnt vmcnt(0)
	v_perm_b32 v1, v1, v2, 0x2010007
	s_delay_alu instid0(VALU_DEP_1)
	v_and_b32_e32 v4, 0xfff, v1
.LBB20_20:
	s_or_b32 exec_lo, exec_lo, s2
.LBB20_21:
	s_or_saveexec_b32 s1, s1
	v_lshl_add_u32 v2, v0, 1, v0
	v_mul_u32_u24_e32 v15, 3, v3
	s_delay_alu instid0(VALU_DEP_2)
	v_ashrrev_i32_e32 v7, 31, v2
	s_xor_b32 exec_lo, exec_lo, s1
	s_cbranch_execz .LBB20_23
; %bb.22:
	s_delay_alu instid0(VALU_DEP_1) | instskip(SKIP_1) | instid1(SALU_CYCLE_1)
	v_lshrrev_b32_e32 v1, 27, v7
	s_mul_i32 s2, s14, s16
	s_ashr_i32 s0, s2, 31
	s_delay_alu instid0(SALU_CYCLE_1) | instskip(NEXT) | instid1(VALU_DEP_1)
	s_lshr_b32 s0, s0, 27
	v_add_nc_u32_e32 v1, v2, v1
	s_add_i32 s0, s2, s0
	s_delay_alu instid0(SALU_CYCLE_1) | instskip(NEXT) | instid1(VALU_DEP_1)
	s_ashr_i32 s0, s0, 5
	v_ashrrev_i32_e32 v1, 5, v1
	s_delay_alu instid0(VALU_DEP_1) | instskip(NEXT) | instid1(VALU_DEP_1)
	v_mad_u64_u32 v[4:5], null, s0, 3, v[1:2]
	v_ashrrev_i32_e32 v5, 31, v4
	s_delay_alu instid0(VALU_DEP_1) | instskip(NEXT) | instid1(VALU_DEP_1)
	v_lshlrev_b64 v[4:5], 2, v[4:5]
	v_add_co_u32 v4, s0, s6, v4
	s_delay_alu instid0(VALU_DEP_1)
	v_add_co_ci_u32_e64 v5, s0, s7, v5, s0
	global_load_b32 v1, v[4:5], off
	v_mov_b32_e32 v5, s2
	s_waitcnt vmcnt(0)
	v_lshrrev_b32_e32 v4, v15, v1
.LBB20_23:
	s_or_b32 exec_lo, exec_lo, s1
	v_dual_mov_b32 v19, 0 :: v_dual_mov_b32 v18, 0
	v_dual_mov_b32 v17, 0 :: v_dual_mov_b32 v16, 0
	s_cmp_ge_i32 s15, s20
	s_mov_b32 s18, 0
	s_cbranch_scc1 .LBB20_44
; %bb.24:
	v_dual_mov_b32 v16, 0 :: v_dual_add_nc_u32 v5, v5, v0
	s_add_i32 s21, s13, s15
	v_ashrrev_i32_e32 v1, 31, v0
	v_lshrrev_b32_e32 v7, 27, v7
	s_waitcnt vmcnt(0)
	v_ashrrev_i32_e32 v6, 31, v5
	v_dual_mov_b32 v18, 0 :: v_dual_and_b32 v23, 7, v4
	v_bfe_u32 v24, v4, 3, 3
	v_bfe_u32 v25, v4, 6, 3
	s_delay_alu instid0(VALU_DEP_4)
	v_lshlrev_b64 v[5:6], 1, v[5:6]
	v_bfe_u32 v26, v4, 9, 3
	v_cmp_lt_u32_e64 s1, 16, v3
	v_cmp_ne_u32_e64 s2, 20, v3
	v_mad_u32_u24 v21, v3, 3, 0xffffffc0
	v_mad_u32_u24 v22, v3, 3, 0xffffffe0
	v_add_co_u32 v5, s0, s8, v5
	s_delay_alu instid0(VALU_DEP_1)
	v_add_co_ci_u32_e64 v6, s0, s9, v6, s0
	s_lshr_b32 s0, s15, 5
	v_dual_mov_b32 v17, 0 :: v_dual_add_nc_u32 v2, v2, v7
	global_load_b64 v[5:6], v[5:6], off
	s_mul_i32 s0, s0, s16
	v_mov_b32_e32 v19, 0
	s_mul_i32 s22, s0, 3
	v_ashrrev_i32_e32 v2, 5, v2
	s_ashr_i32 s23, s22, 31
	s_bitcmp1_b32 s19, 0
	s_mul_hi_i32 s19, s16, 12
	s_cselect_b32 s0, -1, 0
	s_lshl_b64 s[22:23], s[22:23], 2
	s_xor_b32 s0, s0, -1
	s_ashr_i32 s17, s16, 31
	v_cndmask_b32_e64 v20, 0, 1, s0
	v_cmp_ne_u32_e64 s0, 8, v3
	v_lshlrev_b64 v[3:4], 2, v[0:1]
	s_add_u32 s3, s4, s22
	s_addc_u32 s4, s5, s23
	s_mul_i32 s22, s16, 12
	s_mov_b32 s23, 0x380038
	s_mov_b32 s24, 0x1c001c0
	v_add_co_u32 v3, s3, s3, v3
	s_delay_alu instid0(VALU_DEP_1)
	v_add_co_ci_u32_e64 v4, s3, s4, v4, s3
	s_lshl_b64 s[4:5], s[16:17], 2
	s_mov_b32 s17, 0x70007
	s_branch .LBB20_27
.LBB20_25:                              ;   in Loop: Header=BB20_27 Depth=1
	s_or_b32 exec_lo, exec_lo, s3
	v_add_nc_u32_e32 v5, s25, v0
	s_delay_alu instid0(VALU_DEP_2)
	v_and_b32_e32 v23, 7, v1
	v_bfe_u32 v24, v1, 3, 3
	v_bfe_u32 v25, v1, 6, 3
	;; [unrolled: 1-line block ×3, first 2 shown]
	v_ashrrev_i32_e32 v6, 31, v5
	s_add_i32 s21, s21, s13
	s_delay_alu instid0(VALU_DEP_1) | instskip(NEXT) | instid1(VALU_DEP_1)
	v_lshlrev_b64 v[5:6], 1, v[5:6]
	v_add_co_u32 v5, s3, s8, v5
	s_delay_alu instid0(VALU_DEP_1)
	v_add_co_ci_u32_e64 v6, s3, s9, v6, s3
	global_load_b64 v[5:6], v[5:6], off
.LBB20_26:                              ;   in Loop: Header=BB20_27 Depth=1
	v_add_co_u32 v27, s3, v3, s4
	s_delay_alu instid0(VALU_DEP_1) | instskip(SKIP_4) | instid1(VALU_DEP_1)
	v_add_co_ci_u32_e64 v28, s3, s5, v4, s3
	global_load_b128 v[7:10], v[3:4], off
	v_dual_mov_b32 v1, s18 :: v_dual_add_nc_u32 v30, v25, v20
	global_load_b128 v[11:14], v[27:28], off
	v_add_co_u32 v27, s3, v27, s4
	v_add_co_ci_u32_e64 v28, s3, s5, v28, s3
	v_add_nc_u32_e32 v29, v24, v20
	ds_load_2addr_b32 v[82:83], v1 offset1:1
	ds_load_2addr_b32 v[84:85], v1 offset0:64 offset1:65
	global_load_b128 v[78:81], v[27:28], off
	v_add_nc_u32_e32 v27, v23, v20
	v_add_nc_u32_e32 v31, v26, v20
	v_or_b32_e32 v28, 0xffffe400, v29
	v_cvt_f32_i32_e32 v33, v29
	v_or_b32_e32 v29, 0xffffe400, v30
	v_cvt_f32_i32_e32 v32, v27
	v_cvt_f32_i32_e32 v30, v30
	v_or_b32_e32 v42, 0xffffe400, v27
	v_cvt_f32_i32_e32 v34, v31
	v_or_b32_e32 v27, 0xffffe400, v31
	v_cvt_f16_f32_e32 v58, v32
	v_cvt_f16_f32_e32 v60, v30
	;; [unrolled: 1-line block ×4, first 2 shown]
	v_add_co_u32 v3, s3, v3, s22
	v_sub_f16_e32 v47, 0xd800, v58
	s_delay_alu instid0(VALU_DEP_4)
	v_sub_f16_e32 v45, 0xd800, v59
	v_sub_f16_e32 v44, 0xd800, v60
	;; [unrolled: 1-line block ×7, first 2 shown]
	v_add_co_ci_u32_e64 v4, s3, s19, v4, s3
	s_add_i32 s15, s15, 32
	s_add_i32 s18, s18, 64
	s_cmp_ge_i32 s15, s20
	s_waitcnt vmcnt(2)
	v_and_or_b32 v30, v7, s17, 0x64006400
	v_and_or_b32 v31, v7, s23, 0x64006400
	v_lshrrev_b32_e32 v62, 6, v7
	v_lshrrev_b32_e32 v53, 15, v7
	v_and_or_b32 v7, v8, s17, 0x64006400
	v_and_or_b32 v32, v8, s23, 0x64006400
	v_lshrrev_b32_e32 v63, 6, v8
	v_lshrrev_b32_e32 v52, 15, v8
	;; [unrolled: 4-line block ×4, first 2 shown]
	v_pk_add_f16 v10, v42, v30 op_sel_hi:[0,1]
	v_pk_fma_f16 v86, 0x3000, v31, v47 op_sel_hi:[0,1,0]
	v_pk_add_f16 v87, v28, v7 op_sel_hi:[0,1]
	v_pk_add_f16 v89, v29, v8 op_sel_hi:[0,1]
	s_waitcnt vmcnt(1)
	v_and_or_b32 v30, v14, s17, 0x64006400
	s_waitcnt vmcnt(0)
	v_and_or_b32 v37, v79, s17, 0x64006400
	v_and_or_b32 v70, v79, s23, 0x64006400
	v_lshrrev_b32_e32 v39, 6, v79
	v_lshrrev_b32_e32 v76, 13, v79
	v_and_or_b32 v38, v80, s17, 0x64006400
	v_and_or_b32 v64, v80, s23, 0x64006400
	v_lshrrev_b32_e32 v40, 6, v80
	v_lshrrev_b32_e32 v71, 13, v80
	v_and_or_b32 v31, v81, s17, 0x64006400
	ds_load_2addr_b32 v[7:8], v1 offset0:2 offset1:3
	ds_load_2addr_b32 v[79:80], v1 offset0:66 offset1:67
	v_pk_add_f16 v9, v27, v9 op_sel_hi:[0,1]
	v_and_or_b32 v46, v11, s17, 0x64006400
	v_and_or_b32 v68, v11, s23, 0x64006400
	v_lshrrev_b32_e32 v48, 6, v11
	v_lshrrev_b32_e32 v73, 14, v11
	v_pk_add_f16 v94, v27, v30 op_sel_hi:[0,1]
	v_pk_add_f16 v96, v27, v31 op_sel_hi:[0,1]
	ds_load_2addr_b32 v[30:31], v1 offset0:14 offset1:15
	s_waitcnt lgkmcnt(4)
	v_pk_fma_f16 v11, v10, v82, 0
	s_waitcnt lgkmcnt(3)
	v_pk_fma_f16 v10, v10, v84, 0
	v_pk_fma_f16 v88, 0x3000, v32, v45 op_sel_hi:[0,1,0]
	v_pk_fma_f16 v90, 0x3000, v33, v44 op_sel_hi:[0,1,0]
	;; [unrolled: 1-line block ×3, first 2 shown]
	v_and_or_b32 v32, v12, s17, 0x64006400
	v_and_or_b32 v67, v12, s23, 0x64006400
	v_lshrrev_b32_e32 v34, 6, v12
	v_lshrrev_b32_e32 v74, 14, v12
	v_and_or_b32 v33, v13, s17, 0x64006400
	v_and_or_b32 v56, v13, s23, 0x64006400
	v_lshrrev_b32_e32 v35, 6, v13
	v_lshrrev_b32_e32 v75, 14, v13
	v_and_or_b32 v51, v14, s23, 0x64006400
	v_lshrrev_b32_e32 v36, 6, v14
	v_lshrrev_b32_e32 v77, 14, v14
	v_pk_fma_f16 v12, v87, v82, 0
	v_pk_fma_f16 v13, v89, v82, 0
	;; [unrolled: 1-line block ×5, first 2 shown]
	v_and_or_b32 v86, v62, s17, 0x64006400
	v_pk_fma_f16 v12, v88, v83, v12
	v_pk_fma_f16 v13, v90, v83, v13
	;; [unrolled: 1-line block ×5, first 2 shown]
	v_pk_add_f16 v86, v42, v86 op_sel_hi:[0,1]
	v_and_or_b32 v89, v65, s17, 0x64006400
	v_and_or_b32 v49, v78, s17, 0x64006400
	;; [unrolled: 1-line block ×3, first 2 shown]
	v_lshrrev_b32_e32 v50, 6, v78
	v_lshrrev_b32_e32 v78, 13, v78
	v_pk_fma_f16 v9, v9, v84, 0
	v_pk_fma_f16 v82, v88, v85, v82
	v_and_or_b32 v87, v65, s23, 0x64006400
	v_and_or_b32 v88, v63, s17, 0x64006400
	s_waitcnt lgkmcnt(2)
	v_pk_fma_f16 v11, v86, v7, v11
	s_waitcnt lgkmcnt(1)
	v_pk_fma_f16 v86, v86, v79, v10
	v_and_or_b32 v10, v69, s17, 0x64006400
	v_pk_add_f16 v89, v29, v89 op_sel_hi:[0,1]
	v_and_b32_e32 v73, 0x20002, v73
	v_and_b32_e32 v74, 0x20002, v74
	v_pk_fma_f16 v83, v90, v85, v83
	v_pk_fma_f16 v85, v91, v85, v9
	v_and_or_b32 v9, v69, s23, 0x64006400
	v_pk_add_f16 v88, v28, v88 op_sel_hi:[0,1]
	v_pk_fma_f16 v87, 0x3000, v87, v44 op_sel_hi:[0,1,0]
	v_pk_add_f16 v90, v27, v10 op_sel_hi:[0,1]
	v_pk_fma_f16 v13, v89, v7, v13
	v_and_or_b32 v53, 0x10001, v53, v73
	v_and_b32_e32 v75, 0x20002, v75
	v_and_b32_e32 v77, 0x20002, v77
	v_and_or_b32 v52, 0x10001, v52, v74
	v_and_b32_e32 v78, 0x40004, v78
	v_and_b32_e32 v76, 0x40004, v76
	v_and_or_b32 v61, v81, s23, 0x64006400
	v_lshrrev_b32_e32 v41, 6, v81
	v_lshrrev_b32_e32 v66, 13, v81
	v_and_or_b32 v81, v62, s23, 0x64006400
	v_and_or_b32 v84, v63, s23, 0x64006400
	v_pk_fma_f16 v91, 0x3000, v9, v43 op_sel_hi:[0,1,0]
	v_pk_fma_f16 v12, v88, v7, v12
	v_pk_fma_f16 v82, v88, v79, v82
	;; [unrolled: 1-line block ×4, first 2 shown]
	ds_load_2addr_b32 v[9:10], v1 offset0:4 offset1:5
	v_pk_fma_f16 v92, v87, v8, v13
	v_pk_fma_f16 v79, v90, v79, v85
	ds_load_2addr_b32 v[13:14], v1 offset0:68 offset1:69
	v_and_or_b32 v62, v62, s24, 0x64006400
	v_and_or_b32 v63, v63, s24, 0x64006400
	;; [unrolled: 1-line block ×8, first 2 shown]
	v_or3_b32 v53, v53, v78, 0x64006400
	v_and_or_b32 v78, v50, s24, 0x64006400
	v_or3_b32 v52, v52, v76, 0x64006400
	v_and_or_b32 v76, v39, s24, 0x64006400
	v_pk_fma_f16 v81, 0x3000, v81, v47 op_sel_hi:[0,1,0]
	v_pk_fma_f16 v84, 0x3000, v84, v45 op_sel_hi:[0,1,0]
	;; [unrolled: 1-line block ×5, first 2 shown]
	v_and_or_b32 v74, v34, s23, 0x64006400
	v_pk_fma_f16 v85, 0x3000, v85, v47 op_sel_hi:[0,1,0]
	v_pk_fma_f16 v72, 0x3000, v72, v47 op_sel_hi:[0,1,0]
	;; [unrolled: 1-line block ×3, first 2 shown]
	v_and_or_b32 v77, v35, s23, 0x64006400
	v_pk_fma_f16 v73, 0x2400, v73, v58 op_sel_hi:[0,1,0]
	v_pk_fma_f16 v58, 0x2400, v78, v58 op_sel_hi:[0,1,0]
	v_and_or_b32 v78, v39, s23, 0x64006400
	v_and_b32_e32 v71, 0x40004, v71
	v_pk_fma_f16 v75, 0x2400, v75, v59 op_sel_hi:[0,1,0]
	v_pk_fma_f16 v59, 0x2400, v76, v59 op_sel_hi:[0,1,0]
	v_and_or_b32 v76, v40, s23, 0x64006400
	v_and_b32_e32 v66, 0x40004, v66
	v_pk_fma_f16 v88, v81, v8, v11
	v_pk_fma_f16 v89, v84, v8, v12
	ds_load_2addr_b32 v[11:12], v1 offset0:70 offset1:71
	v_pk_fma_f16 v93, v91, v8, v7
	ds_load_2addr_b32 v[7:8], v1 offset0:6 offset1:7
	v_pk_fma_f16 v81, v81, v80, v86
	v_and_or_b32 v65, v65, s24, 0x64006400
	v_and_or_b32 v69, v69, s24, 0x64006400
	v_pk_fma_f16 v67, 0x3000, v67, v45 op_sel_hi:[0,1,0]
	v_pk_fma_f16 v74, 0x3000, v74, v45 op_sel_hi:[0,1,0]
	;; [unrolled: 1-line block ×4, first 2 shown]
	v_and_or_b32 v78, v35, s24, 0x64006400
	v_pk_fma_f16 v56, 0x3000, v56, v44 op_sel_hi:[0,1,0]
	v_pk_fma_f16 v77, 0x3000, v77, v44 op_sel_hi:[0,1,0]
	;; [unrolled: 1-line block ×3, first 2 shown]
	v_or3_b32 v55, v55, v71, 0x64006400
	v_and_or_b32 v71, v40, s24, 0x64006400
	v_pk_fma_f16 v44, 0x3000, v76, v44 op_sel_hi:[0,1,0]
	v_and_or_b32 v76, v36, s23, 0x64006400
	v_or3_b32 v57, v57, v66, 0x64006400
	v_and_or_b32 v66, v41, s23, 0x64006400
	v_and_or_b32 v34, v34, s17, 0x64006400
	v_pk_add_f16 v86, v28, v32 op_sel_hi:[0,1]
	v_and_or_b32 v32, v35, s17, 0x64006400
	v_pk_fma_f16 v82, v84, v80, v82
	v_pk_fma_f16 v83, v87, v80, v83
	;; [unrolled: 1-line block ×3, first 2 shown]
	ds_load_2addr_b32 v[79:80], v1 offset0:8 offset1:9
	v_pk_fma_f16 v65, 0x2400, v65, v60 op_sel_hi:[0,1,0]
	v_pk_fma_f16 v69, 0x2400, v69, v54 op_sel_hi:[0,1,0]
	;; [unrolled: 1-line block ×5, first 2 shown]
	v_and_or_b32 v71, v36, s24, 0x64006400
	v_and_or_b32 v48, v48, s17, 0x64006400
	v_pk_fma_f16 v76, 0x3000, v76, v43 op_sel_hi:[0,1,0]
	v_pk_fma_f16 v61, 0x3000, v61, v43 op_sel_hi:[0,1,0]
	;; [unrolled: 1-line block ×3, first 2 shown]
	v_and_or_b32 v43, v41, s24, 0x64006400
	v_and_or_b32 v50, v50, s17, 0x64006400
	v_pk_add_f16 v87, v29, v33 op_sel_hi:[0,1]
	v_and_or_b32 v33, v36, s17, 0x64006400
	v_and_or_b32 v35, v39, s17, 0x64006400
	v_pk_add_f16 v39, v28, v34 op_sel_hi:[0,1]
	v_and_or_b32 v34, v40, s17, 0x64006400
	v_pk_add_f16 v40, v29, v32 op_sel_hi:[0,1]
	;; [unrolled: 2-line block ×3, first 2 shown]
	v_pk_fma_f16 v71, 0x2400, v71, v54 op_sel_hi:[0,1,0]
	v_pk_add_f16 v48, v42, v48 op_sel_hi:[0,1]
	v_pk_add_f16 v49, v42, v49 op_sel_hi:[0,1]
	v_pk_fma_f16 v54, 0x2400, v43, v54 op_sel_hi:[0,1,0]
	v_pk_add_f16 v50, v42, v50 op_sel_hi:[0,1]
	v_pk_add_f16 v53, v42, v53 op_sel_hi:[0,1]
	ds_load_2addr_b32 v[42:43], v1 offset0:10 offset1:11
	v_pk_add_f16 v90, v28, v37 op_sel_hi:[0,1]
	v_pk_add_f16 v38, v29, v38 op_sel_hi:[0,1]
	;; [unrolled: 1-line block ×9, first 2 shown]
	s_waitcnt lgkmcnt(5)
	v_pk_fma_f16 v34, v62, v9, v88
	v_pk_fma_f16 v36, v63, v9, v89
	v_pk_fma_f16 v37, v65, v9, v92
	v_pk_fma_f16 v9, v69, v9, v93
	ds_load_2addr_b32 v[32:33], v1 offset0:72 offset1:73
	ds_load_2addr_b32 v[28:29], v1 offset0:12 offset1:13
	s_waitcnt lgkmcnt(6)
	v_pk_fma_f16 v35, v62, v13, v81
	v_pk_fma_f16 v57, v63, v13, v82
	;; [unrolled: 1-line block ×8, first 2 shown]
	ds_load_2addr_b32 v[9:10], v1 offset0:74 offset1:75
	v_pk_fma_f16 v46, v46, v14, v35
	ds_load_2addr_b32 v[34:35], v1 offset0:76 offset1:77
	ds_load_2addr_b32 v[36:37], v1 offset0:78 offset1:79
	v_pk_fma_f16 v57, v86, v14, v57
	v_pk_fma_f16 v1, v87, v14, v62
	;; [unrolled: 1-line block ×3, first 2 shown]
	s_waitcnt lgkmcnt(7)
	v_pk_fma_f16 v14, v68, v7, v63
	v_pk_fma_f16 v62, v67, v7, v65
	;; [unrolled: 1-line block ×16, first 2 shown]
	s_waitcnt lgkmcnt(6)
	v_pk_fma_f16 v12, v85, v79, v13
	v_pk_fma_f16 v13, v74, v79, v14
	v_pk_fma_f16 v14, v77, v79, v51
	v_pk_fma_f16 v7, v76, v79, v7
	s_waitcnt lgkmcnt(4)
	v_pk_fma_f16 v8, v85, v32, v8
	v_pk_fma_f16 v39, v74, v32, v39
	v_pk_fma_f16 v1, v77, v32, v1
	v_pk_fma_f16 v11, v76, v32, v11
	v_pk_fma_f16 v12, v73, v80, v12
	v_pk_fma_f16 v13, v75, v80, v13
	v_pk_fma_f16 v14, v78, v80, v14
	v_pk_fma_f16 v7, v71, v80, v7
	v_pk_fma_f16 v8, v73, v33, v8
	v_pk_fma_f16 v32, v75, v33, v39
	v_pk_fma_f16 v1, v78, v33, v1
	v_pk_fma_f16 v11, v71, v33, v11
	v_pk_fma_f16 v12, v49, v42, v12
	v_pk_fma_f16 v13, v90, v42, v13
	v_pk_fma_f16 v14, v38, v42, v14
	v_pk_fma_f16 v7, v96, v42, v7
	s_waitcnt lgkmcnt(2)
	v_pk_fma_f16 v8, v49, v9, v8
	v_pk_fma_f16 v32, v90, v9, v32
	v_pk_fma_f16 v1, v38, v9, v1
	v_pk_fma_f16 v9, v96, v9, v11
	v_pk_fma_f16 v11, v72, v43, v12
	v_pk_fma_f16 v12, v70, v43, v13
	v_pk_fma_f16 v13, v64, v43, v14
	v_pk_fma_f16 v7, v61, v43, v7
	v_pk_fma_f16 v8, v72, v10, v8
	v_pk_fma_f16 v14, v70, v10, v32
	v_pk_fma_f16 v1, v64, v10, v1
	v_pk_fma_f16 v9, v61, v10, v9
	;; [unrolled: 17-line block ×4, first 2 shown]
	v_pack_b32_f16 v14, v10, v11
	v_perm_b32 v10, v11, v10, 0x7060302
	v_pack_b32_f16 v11, v12, v7
	v_perm_b32 v7, v7, v12, 0x7060302
	;; [unrolled: 2-line block ×4, first 2 shown]
	v_pk_add_f16 v9, v14, v10
	v_pk_add_f16 v7, v11, v7
	;; [unrolled: 1-line block ×3, first 2 shown]
	s_delay_alu instid0(VALU_DEP_4) | instskip(NEXT) | instid1(VALU_DEP_4)
	v_pk_add_f16 v1, v13, v1
	v_pk_fma_f16 v19, v9, v5, v19
	s_delay_alu instid0(VALU_DEP_4) | instskip(NEXT) | instid1(VALU_DEP_4)
	v_pk_fma_f16 v18, v7, v6, v18
	v_pk_fma_f16 v17, v8, v5, v17
	s_delay_alu instid0(VALU_DEP_4)
	v_pk_fma_f16 v16, v1, v6, v16
	s_cbranch_scc1 .LBB20_44
.LBB20_27:                              ; =>This Inner Loop Header: Depth=1
	s_cmp_lg_u32 s15, s21
	s_cbranch_scc1 .LBB20_26
; %bb.28:                               ;   in Loop: Header=BB20_27 Depth=1
	s_add_i32 s14, s14, 1
                                        ; implicit-def: $vgpr1
	s_delay_alu instid0(SALU_CYCLE_1) | instskip(NEXT) | instid1(SALU_CYCLE_1)
	s_mul_i32 s25, s14, s16
	s_ashr_i32 s3, s25, 31
	s_delay_alu instid0(SALU_CYCLE_1) | instskip(NEXT) | instid1(SALU_CYCLE_1)
	s_lshr_b32 s3, s3, 27
	s_add_i32 s3, s25, s3
	s_delay_alu instid0(SALU_CYCLE_1) | instskip(SKIP_2) | instid1(VALU_DEP_1)
	s_ashr_i32 s3, s3, 5
	s_waitcnt vmcnt(0)
	v_mad_u64_u32 v[5:6], null, s3, 3, v[2:3]
	v_ashrrev_i32_e32 v6, 31, v5
	s_delay_alu instid0(VALU_DEP_1) | instskip(NEXT) | instid1(VALU_DEP_1)
	v_lshlrev_b64 v[5:6], 2, v[5:6]
	v_add_co_u32 v5, s3, s6, v5
	s_delay_alu instid0(VALU_DEP_1) | instskip(SKIP_2) | instid1(SALU_CYCLE_1)
	v_add_co_ci_u32_e64 v6, s3, s7, v6, s3
	global_load_b32 v7, v[5:6], off
	s_and_saveexec_b32 s3, vcc_lo
	s_xor_b32 s3, exec_lo, s3
	s_cbranch_execz .LBB20_42
; %bb.29:                               ;   in Loop: Header=BB20_27 Depth=1
                                        ; implicit-def: $vgpr1
	s_and_saveexec_b32 s26, s0
	s_delay_alu instid0(SALU_CYCLE_1)
	s_xor_b32 s26, exec_lo, s26
	s_cbranch_execz .LBB20_39
; %bb.30:                               ;   in Loop: Header=BB20_27 Depth=1
                                        ; implicit-def: $vgpr1
	s_and_saveexec_b32 s27, s1
	s_delay_alu instid0(SALU_CYCLE_1)
	;; [unrolled: 6-line block ×3, first 2 shown]
	s_xor_b32 s28, exec_lo, s28
	s_cbranch_execz .LBB20_33
; %bb.32:                               ;   in Loop: Header=BB20_27 Depth=1
	s_waitcnt vmcnt(0)
	v_lshrrev_b32_e32 v1, v21, v7
                                        ; implicit-def: $vgpr5_vgpr6
                                        ; implicit-def: $vgpr7
.LBB20_33:                              ;   in Loop: Header=BB20_27 Depth=1
	s_and_not1_saveexec_b32 s28, s28
	s_cbranch_execz .LBB20_35
; %bb.34:                               ;   in Loop: Header=BB20_27 Depth=1
	global_load_b32 v1, v[5:6], off offset:4
	s_waitcnt vmcnt(0)
	v_alignbit_b32 v1, v1, v7, 28
	s_delay_alu instid0(VALU_DEP_1)
	v_and_b32_e32 v1, 0xfff, v1
.LBB20_35:                              ;   in Loop: Header=BB20_27 Depth=1
	s_or_b32 exec_lo, exec_lo, s28
                                        ; implicit-def: $vgpr7
.LBB20_36:                              ;   in Loop: Header=BB20_27 Depth=1
	s_and_not1_saveexec_b32 s27, s27
	s_cbranch_execz .LBB20_38
; %bb.37:                               ;   in Loop: Header=BB20_27 Depth=1
	s_waitcnt vmcnt(0)
	v_lshrrev_b32_e32 v1, v22, v7
.LBB20_38:                              ;   in Loop: Header=BB20_27 Depth=1
	s_or_b32 exec_lo, exec_lo, s27
                                        ; implicit-def: $vgpr5_vgpr6
                                        ; implicit-def: $vgpr7
.LBB20_39:                              ;   in Loop: Header=BB20_27 Depth=1
	s_and_not1_saveexec_b32 s26, s26
	s_cbranch_execz .LBB20_41
; %bb.40:                               ;   in Loop: Header=BB20_27 Depth=1
	global_load_b32 v1, v[5:6], off offset:4
	s_waitcnt vmcnt(0)
	v_perm_b32 v1, v7, v1, 0x2010007
	s_delay_alu instid0(VALU_DEP_1)
	v_and_b32_e32 v1, 0xfff, v1
.LBB20_41:                              ;   in Loop: Header=BB20_27 Depth=1
	s_or_b32 exec_lo, exec_lo, s26
                                        ; implicit-def: $vgpr7
.LBB20_42:                              ;   in Loop: Header=BB20_27 Depth=1
	s_and_not1_saveexec_b32 s3, s3
	s_cbranch_execz .LBB20_25
; %bb.43:                               ;   in Loop: Header=BB20_27 Depth=1
	s_waitcnt vmcnt(0)
	v_lshrrev_b32_e32 v1, v15, v7
	s_branch .LBB20_25
.LBB20_44:
	v_mad_u64_u32 v[1:2], null, s12, s16, v[0:1]
	s_mov_b32 s0, 0
	s_delay_alu instid0(VALU_DEP_1) | instskip(NEXT) | instid1(VALU_DEP_1)
	v_ashrrev_i32_e32 v2, 31, v1
	v_lshlrev_b64 v[2:3], 1, v[1:2]
	s_delay_alu instid0(VALU_DEP_1) | instskip(NEXT) | instid1(VALU_DEP_2)
	v_add_co_u32 v2, vcc_lo, s10, v2
	v_add_co_ci_u32_e32 v3, vcc_lo, s11, v3, vcc_lo
	global_load_b32 v5, v[2:3], off
.LBB20_45:                              ; =>This Inner Loop Header: Depth=1
	s_waitcnt vmcnt(0)
	v_pk_add_f16 v4, v19, v5
	global_atomic_cmpswap_b32 v0, v[2:3], v[4:5], off glc
	s_waitcnt vmcnt(0)
	v_cmp_eq_u32_e32 vcc_lo, v5, v0
	v_mov_b32_e32 v5, v0
	s_or_b32 s0, vcc_lo, s0
	s_delay_alu instid0(SALU_CYCLE_1)
	s_and_not1_b32 exec_lo, exec_lo, s0
	s_cbranch_execnz .LBB20_45
; %bb.46:
	s_or_b32 exec_lo, exec_lo, s0
	global_load_b32 v5, v[2:3], off offset:4
	s_mov_b32 s0, 0
.LBB20_47:                              ; =>This Inner Loop Header: Depth=1
	s_waitcnt vmcnt(0)
	v_pk_add_f16 v4, v18, v5
	global_atomic_cmpswap_b32 v0, v[2:3], v[4:5], off offset:4 glc
	s_waitcnt vmcnt(0)
	v_cmp_eq_u32_e32 vcc_lo, v5, v0
	v_mov_b32_e32 v5, v0
	s_or_b32 s0, vcc_lo, s0
	s_delay_alu instid0(SALU_CYCLE_1)
	s_and_not1_b32 exec_lo, exec_lo, s0
	s_cbranch_execnz .LBB20_47
; %bb.48:
	s_or_b32 exec_lo, exec_lo, s0
	v_add_nc_u32_e32 v0, s16, v1
	s_mov_b32 s0, 0
	s_delay_alu instid0(VALU_DEP_1) | instskip(NEXT) | instid1(VALU_DEP_1)
	v_ashrrev_i32_e32 v1, 31, v0
	v_lshlrev_b64 v[0:1], 1, v[0:1]
	s_delay_alu instid0(VALU_DEP_1) | instskip(NEXT) | instid1(VALU_DEP_2)
	v_add_co_u32 v0, vcc_lo, s10, v0
	v_add_co_ci_u32_e32 v1, vcc_lo, s11, v1, vcc_lo
	global_load_b32 v3, v[0:1], off
.LBB20_49:                              ; =>This Inner Loop Header: Depth=1
	s_waitcnt vmcnt(0)
	v_pk_add_f16 v2, v17, v3
	global_atomic_cmpswap_b32 v2, v[0:1], v[2:3], off glc
	s_waitcnt vmcnt(0)
	v_cmp_eq_u32_e32 vcc_lo, v3, v2
	v_mov_b32_e32 v3, v2
	s_or_b32 s0, vcc_lo, s0
	s_delay_alu instid0(SALU_CYCLE_1)
	s_and_not1_b32 exec_lo, exec_lo, s0
	s_cbranch_execnz .LBB20_49
; %bb.50:
	s_or_b32 exec_lo, exec_lo, s0
	global_load_b32 v3, v[0:1], off offset:4
	s_mov_b32 s0, 0
.LBB20_51:                              ; =>This Inner Loop Header: Depth=1
	s_waitcnt vmcnt(0)
	v_pk_add_f16 v2, v16, v3
	global_atomic_cmpswap_b32 v2, v[0:1], v[2:3], off offset:4 glc
	s_waitcnt vmcnt(0)
	v_cmp_eq_u32_e32 vcc_lo, v3, v2
	v_mov_b32_e32 v3, v2
	s_or_b32 s0, vcc_lo, s0
	s_delay_alu instid0(SALU_CYCLE_1)
	s_and_not1_b32 exec_lo, exec_lo, s0
	s_cbranch_execnz .LBB20_51
.LBB20_52:
	s_endpgm
	.section	.rodata,"a",@progbits
	.p2align	6, 0x0
	.amdhsa_kernel _ZN4vllm4gptq33gemm_half_q_half_gptq_3bit_kernelILb1ELi2EEEvPK6__halfPKjS6_S4_PS2_iiiibPKi
		.amdhsa_group_segment_fixed_size 512
		.amdhsa_private_segment_fixed_size 0
		.amdhsa_kernarg_size 72
		.amdhsa_user_sgpr_count 13
		.amdhsa_user_sgpr_dispatch_ptr 0
		.amdhsa_user_sgpr_queue_ptr 0
		.amdhsa_user_sgpr_kernarg_segment_ptr 1
		.amdhsa_user_sgpr_dispatch_id 0
		.amdhsa_user_sgpr_private_segment_size 0
		.amdhsa_wavefront_size32 1
		.amdhsa_uses_dynamic_stack 0
		.amdhsa_enable_private_segment 0
		.amdhsa_system_sgpr_workgroup_id_x 1
		.amdhsa_system_sgpr_workgroup_id_y 1
		.amdhsa_system_sgpr_workgroup_id_z 1
		.amdhsa_system_sgpr_workgroup_info 0
		.amdhsa_system_vgpr_workitem_id 0
		.amdhsa_next_free_vgpr 98
		.amdhsa_next_free_sgpr 29
		.amdhsa_reserve_vcc 1
		.amdhsa_float_round_mode_32 0
		.amdhsa_float_round_mode_16_64 0
		.amdhsa_float_denorm_mode_32 3
		.amdhsa_float_denorm_mode_16_64 3
		.amdhsa_dx10_clamp 1
		.amdhsa_ieee_mode 1
		.amdhsa_fp16_overflow 0
		.amdhsa_workgroup_processor_mode 1
		.amdhsa_memory_ordered 1
		.amdhsa_forward_progress 0
		.amdhsa_shared_vgpr_count 0
		.amdhsa_exception_fp_ieee_invalid_op 0
		.amdhsa_exception_fp_denorm_src 0
		.amdhsa_exception_fp_ieee_div_zero 0
		.amdhsa_exception_fp_ieee_overflow 0
		.amdhsa_exception_fp_ieee_underflow 0
		.amdhsa_exception_fp_ieee_inexact 0
		.amdhsa_exception_int_div_zero 0
	.end_amdhsa_kernel
	.section	.text._ZN4vllm4gptq33gemm_half_q_half_gptq_3bit_kernelILb1ELi2EEEvPK6__halfPKjS6_S4_PS2_iiiibPKi,"axG",@progbits,_ZN4vllm4gptq33gemm_half_q_half_gptq_3bit_kernelILb1ELi2EEEvPK6__halfPKjS6_S4_PS2_iiiibPKi,comdat
.Lfunc_end20:
	.size	_ZN4vllm4gptq33gemm_half_q_half_gptq_3bit_kernelILb1ELi2EEEvPK6__halfPKjS6_S4_PS2_iiiibPKi, .Lfunc_end20-_ZN4vllm4gptq33gemm_half_q_half_gptq_3bit_kernelILb1ELi2EEEvPK6__halfPKjS6_S4_PS2_iiiibPKi
                                        ; -- End function
	.section	.AMDGPU.csdata,"",@progbits
; Kernel info:
; codeLenInByte = 5644
; NumSgprs: 31
; NumVgprs: 98
; ScratchSize: 0
; MemoryBound: 0
; FloatMode: 240
; IeeeMode: 1
; LDSByteSize: 512 bytes/workgroup (compile time only)
; SGPRBlocks: 3
; VGPRBlocks: 12
; NumSGPRsForWavesPerEU: 31
; NumVGPRsForWavesPerEU: 98
; Occupancy: 12
; WaveLimiterHint : 0
; COMPUTE_PGM_RSRC2:SCRATCH_EN: 0
; COMPUTE_PGM_RSRC2:USER_SGPR: 13
; COMPUTE_PGM_RSRC2:TRAP_HANDLER: 0
; COMPUTE_PGM_RSRC2:TGID_X_EN: 1
; COMPUTE_PGM_RSRC2:TGID_Y_EN: 1
; COMPUTE_PGM_RSRC2:TGID_Z_EN: 1
; COMPUTE_PGM_RSRC2:TIDIG_COMP_CNT: 0
	.section	.text._ZN4vllm4gptq33gemm_half_q_half_gptq_4bit_kernelILb1ELi2EEEvPK6__halfPKjS6_S4_PS2_iiiibPKi,"axG",@progbits,_ZN4vllm4gptq33gemm_half_q_half_gptq_4bit_kernelILb1ELi2EEEvPK6__halfPKjS6_S4_PS2_iiiibPKi,comdat
	.protected	_ZN4vllm4gptq33gemm_half_q_half_gptq_4bit_kernelILb1ELi2EEEvPK6__halfPKjS6_S4_PS2_iiiibPKi ; -- Begin function _ZN4vllm4gptq33gemm_half_q_half_gptq_4bit_kernelILb1ELi2EEEvPK6__halfPKjS6_S4_PS2_iiiibPKi
	.globl	_ZN4vllm4gptq33gemm_half_q_half_gptq_4bit_kernelILb1ELi2EEEvPK6__halfPKjS6_S4_PS2_iiiibPKi
	.p2align	8
	.type	_ZN4vllm4gptq33gemm_half_q_half_gptq_4bit_kernelILb1ELi2EEEvPK6__halfPKjS6_S4_PS2_iiiibPKi,@function
_ZN4vllm4gptq33gemm_half_q_half_gptq_4bit_kernelILb1ELi2EEEvPK6__halfPKjS6_S4_PS2_iiiibPKi: ; @_ZN4vllm4gptq33gemm_half_q_half_gptq_4bit_kernelILb1ELi2EEEvPK6__halfPKjS6_S4_PS2_iiiibPKi
; %bb.0:
	s_load_b128 s[16:19], s[0:1], 0x2c
	s_lshl_b32 s15, s15, 7
	s_load_b256 s[4:11], s[0:1], 0x8
	s_add_i32 s2, s15, 0x80
	s_lshl_b32 s12, s14, 1
	v_cvt_f64_u32_e32 v[1:2], s2
	s_mov_b32 s14, exec_lo
	s_waitcnt lgkmcnt(0)
	v_cvt_f64_i32_e32 v[3:4], s17
	s_delay_alu instid0(VALU_DEP_1) | instskip(NEXT) | instid1(VALU_DEP_1)
	v_min_f64 v[1:2], v[1:2], v[3:4]
	v_cvt_i32_f64_e32 v2, v[1:2]
	v_add_nc_u32_e32 v1, s15, v0
	s_delay_alu instid0(VALU_DEP_2) | instskip(NEXT) | instid1(VALU_DEP_2)
	v_readfirstlane_b32 s20, v2
	v_cmpx_lt_u32_e64 v1, v2
	s_cbranch_execz .LBB21_6
; %bb.1:
	s_clause 0x1
	s_load_b64 s[2:3], s[0:1], 0x40
	s_load_b64 s[0:1], s[0:1], 0x0
	v_mov_b32_e32 v2, 0
	s_delay_alu instid0(VALU_DEP_1) | instskip(SKIP_2) | instid1(VALU_DEP_2)
	v_lshlrev_b64 v[3:4], 2, v[1:2]
	v_dual_mov_b32 v6, v2 :: v_dual_mov_b32 v5, v1
	s_waitcnt lgkmcnt(0)
	v_add_co_u32 v3, vcc_lo, s2, v3
	s_delay_alu instid0(VALU_DEP_3)
	v_add_co_ci_u32_e32 v4, vcc_lo, s3, v4, vcc_lo
	s_cmp_lg_u64 s[2:3], 0
	s_cselect_b32 s21, -1, 0
	s_cmp_eq_u64 s[2:3], 0
	s_cbranch_scc1 .LBB21_3
; %bb.2:
	global_load_b32 v5, v[3:4], off
	s_waitcnt vmcnt(0)
	v_ashrrev_i32_e32 v6, 31, v5
.LBB21_3:
	s_mul_i32 s2, s12, s17
	s_delay_alu instid0(VALU_DEP_1) | instskip(SKIP_1) | instid1(SALU_CYCLE_1)
	v_lshlrev_b64 v[5:6], 1, v[5:6]
	s_ashr_i32 s3, s2, 31
	s_lshl_b64 s[22:23], s[2:3], 1
	s_delay_alu instid0(SALU_CYCLE_1) | instskip(SKIP_1) | instid1(VALU_DEP_1)
	s_add_u32 s3, s0, s22
	s_addc_u32 s22, s1, s23
	v_add_co_u32 v5, vcc_lo, s3, v5
	v_add_co_ci_u32_e32 v6, vcc_lo, s22, v6, vcc_lo
	s_and_not1_b32 vcc_lo, exec_lo, s21
	global_load_u16 v6, v[5:6], off
	v_lshlrev_b32_e32 v5, 1, v0
	s_waitcnt vmcnt(0)
	ds_store_b16 v5, v6
	s_cbranch_vccnz .LBB21_5
; %bb.4:
	global_load_b32 v1, v[3:4], off
	s_waitcnt vmcnt(0)
	v_ashrrev_i32_e32 v2, 31, v1
.LBB21_5:
	s_add_i32 s2, s2, s17
	s_delay_alu instid0(VALU_DEP_1) | instskip(SKIP_1) | instid1(SALU_CYCLE_1)
	v_lshlrev_b64 v[1:2], 1, v[1:2]
	s_ashr_i32 s3, s2, 31
	s_lshl_b64 s[2:3], s[2:3], 1
	s_delay_alu instid0(SALU_CYCLE_1) | instskip(SKIP_1) | instid1(VALU_DEP_1)
	s_add_u32 s0, s0, s2
	s_addc_u32 s1, s1, s3
	v_add_co_u32 v1, vcc_lo, s0, v1
	v_add_co_ci_u32_e32 v2, vcc_lo, s1, v2, vcc_lo
	global_load_u16 v1, v[1:2], off
	s_waitcnt vmcnt(0)
	ds_store_b16 v5, v1 offset:256
.LBB21_6:
	s_or_b32 exec_lo, exec_lo, s14
	v_lshlrev_b32_e32 v1, 2, v0
	s_mov_b32 s0, exec_lo
	s_delay_alu instid0(VALU_DEP_1) | instskip(NEXT) | instid1(VALU_DEP_1)
	v_lshl_add_u32 v1, s13, 9, v1
	v_cmpx_gt_i32_e64 s16, v1
	s_cbranch_execz .LBB21_21
; %bb.7:
	s_abs_i32 s0, s18
	v_dual_mov_b32 v6, 0 :: v_dual_mov_b32 v7, 0
	v_cvt_f32_u32_e32 v2, s0
	v_dual_mov_b32 v8, 0 :: v_dual_mov_b32 v9, 0
	v_dual_mov_b32 v13, 0 :: v_dual_mov_b32 v14, 0
	s_delay_alu instid0(VALU_DEP_3)
	v_rcp_iflag_f32_e32 v2, v2
	v_mov_b32_e32 v16, 0
	s_cmp_ge_i32 s15, s20
	s_mov_b32 s13, 0
	s_waitcnt lgkmcnt(0)
	s_barrier
	buffer_gl0_inv
	v_dual_mov_b32 v5, 0 :: v_dual_mul_f32 v2, 0x4f7ffffe, v2
	s_delay_alu instid0(VALU_DEP_1) | instskip(NEXT) | instid1(VALU_DEP_1)
	v_cvt_u32_f32_e32 v2, v2
	v_readfirstlane_b32 s1, v2
	s_cbranch_scc1 .LBB21_13
; %bb.8:
	s_sub_i32 s2, 0, s0
	s_abs_i32 s3, s17
	s_delay_alu instid0(VALU_DEP_1)
	s_mul_i32 s2, s2, s1
	s_ashr_i32 s14, s18, 31
	s_mul_hi_u32 s2, s1, s2
	v_dual_mov_b32 v10, 0 :: v_dual_lshlrev_b32 v17, 4, v0
	s_add_i32 s1, s1, s2
	s_ashr_i32 s2, s17, 31
	s_mul_hi_u32 s1, s3, s1
	s_xor_b32 s2, s2, s14
	s_mul_i32 s17, s1, s0
	s_add_i32 s14, s1, 1
	s_sub_i32 s3, s3, s17
	v_and_b32_e32 v13, 16, v17
	s_sub_i32 s17, s3, s0
	s_cmp_ge_u32 s3, s0
	v_mov_b32_e32 v0, 0
	s_cselect_b32 s1, s14, s1
	s_cselect_b32 s3, s17, s3
	s_add_i32 s14, s1, 1
	s_cmp_ge_u32 s3, s0
	v_mov_b32_e32 v12, 0
	s_cselect_b32 s0, s14, s1
	s_delay_alu instid0(SALU_CYCLE_1) | instskip(NEXT) | instid1(SALU_CYCLE_1)
	s_xor_b32 s0, s0, s2
	s_sub_i32 s14, s0, s2
	s_bitcmp1_b32 s19, 0
	v_cvt_f32_u32_e32 v2, s14
	s_cselect_b32 s1, -1, 0
	s_sub_i32 s2, 0, s14
	s_xor_b32 s3, s1, -1
	s_delay_alu instid0(VALU_DEP_1) | instskip(SKIP_3) | instid1(VALU_DEP_1)
	v_rcp_iflag_f32_e32 v2, v2
	v_cndmask_b32_e64 v14, 0, 1, s3
	s_waitcnt_depctr 0xfff
	v_mul_f32_e32 v2, 0x4f7ffffe, v2
	v_cvt_u32_f32_e32 v2, v2
	s_delay_alu instid0(VALU_DEP_1) | instskip(SKIP_1) | instid1(VALU_DEP_2)
	v_readfirstlane_b32 s0, v2
	v_ashrrev_i32_e32 v2, 31, v1
	s_mul_i32 s2, s2, s0
	s_delay_alu instid0(VALU_DEP_1) | instskip(SKIP_1) | instid1(SALU_CYCLE_1)
	v_lshrrev_b32_e32 v3, 29, v2
	s_mul_hi_u32 s2, s0, s2
	s_add_i32 s0, s0, s2
	s_delay_alu instid0(VALU_DEP_1) | instskip(SKIP_1) | instid1(SALU_CYCLE_1)
	v_add_nc_u32_e32 v3, v1, v3
	s_mul_hi_u32 s0, s15, s0
	s_mul_i32 s2, s0, s14
	s_delay_alu instid0(SALU_CYCLE_1)
	s_sub_i32 s1, s15, s2
	s_add_i32 s2, s0, 1
	s_sub_i32 s17, s1, s14
	s_cmp_ge_u32 s1, s14
	v_ashrrev_i32_e32 v6, 3, v3
	s_cselect_b32 s0, s2, s0
	s_cselect_b32 s1, s17, s1
	s_add_i32 s2, s0, 1
	s_cmp_ge_u32 s1, s14
	s_cselect_b32 s18, s2, s0
	s_delay_alu instid0(SALU_CYCLE_1) | instskip(NEXT) | instid1(SALU_CYCLE_1)
	s_mul_i32 s0, s18, s16
	s_ashr_i32 s1, s0, 31
	v_add_nc_u32_e32 v3, s0, v1
	s_lshr_b32 s1, s1, 29
	s_delay_alu instid0(SALU_CYCLE_1) | instskip(NEXT) | instid1(SALU_CYCLE_1)
	s_add_i32 s0, s0, s1
	s_ashr_i32 s0, s0, 3
	s_delay_alu instid0(VALU_DEP_1) | instskip(SKIP_2) | instid1(SALU_CYCLE_1)
	v_ashrrev_i32_e32 v4, 31, v3
	v_add_nc_u32_e32 v7, s0, v6
	s_lshr_b32 s0, s15, 3
	s_mul_i32 s0, s0, s16
	s_delay_alu instid0(VALU_DEP_2) | instskip(NEXT) | instid1(VALU_DEP_2)
	v_lshlrev_b64 v[3:4], 1, v[3:4]
	v_ashrrev_i32_e32 v8, 31, v7
	s_ashr_i32 s1, s0, 31
	s_delay_alu instid0(SALU_CYCLE_1) | instskip(NEXT) | instid1(VALU_DEP_1)
	s_lshl_b64 s[0:1], s[0:1], 2
	v_lshlrev_b64 v[7:8], 2, v[7:8]
	s_delay_alu instid0(VALU_DEP_3) | instskip(SKIP_2) | instid1(VALU_DEP_3)
	v_add_co_u32 v3, vcc_lo, s8, v3
	v_add_co_ci_u32_e32 v4, vcc_lo, s9, v4, vcc_lo
	s_add_u32 s0, s4, s0
	v_add_co_u32 v7, vcc_lo, s6, v7
	s_delay_alu instid0(VALU_DEP_4)
	v_add_co_ci_u32_e32 v8, vcc_lo, s7, v8, vcc_lo
	global_load_b64 v[4:5], v[3:4], off
	global_load_b32 v15, v[7:8], off
	v_mov_b32_e32 v8, 0
	v_lshlrev_b64 v[2:3], 2, v[1:2]
	s_addc_u32 s1, s5, s1
	v_mov_b32_e32 v7, 0
	s_ashr_i32 s17, s16, 31
	s_add_i32 s4, s14, s15
	s_lshl_b64 s[2:3], s[16:17], 2
	v_add_co_u32 v2, vcc_lo, s0, v2
	v_add_co_ci_u32_e32 v3, vcc_lo, s1, v3, vcc_lo
	s_lshl_b64 s[0:1], s[16:17], 4
	s_mov_b32 s5, 0xf000f
	s_mov_b32 s17, 0xf000f0
	s_waitcnt vmcnt(1)
	v_cvt_f32_f16_e32 v16, v4
	v_lshrrev_b32_e32 v4, 16, v4
	s_waitcnt vmcnt(0)
	v_lshrrev_b32_e32 v19, v17, v15
	v_cvt_f32_f16_e32 v17, v5
	v_lshrrev_b32_e32 v5, 16, v5
	v_bfe_u32 v15, v15, v13, 4
	v_cvt_f32_f16_e32 v18, v4
	v_bfe_u32 v4, v19, 12, 4
	v_bfe_u32 v20, v19, 8, 4
	;; [unrolled: 1-line block ×3, first 2 shown]
	v_mov_b32_e32 v9, 0
	v_mov_b32_e32 v11, 0
	v_add_nc_u32_e32 v15, v15, v14
	v_cvt_f32_f16_e32 v19, v5
	v_add_nc_u32_e32 v4, v4, v14
	v_add_nc_u32_e32 v5, v20, v14
	;; [unrolled: 1-line block ×3, first 2 shown]
	v_cvt_f32_ubyte0_e32 v21, v15
	v_or_b32_e32 v15, 0xffffe400, v15
	v_cvt_f32_ubyte0_e32 v22, v4
	v_or_b32_e32 v4, 0xffffe400, v4
	v_cvt_f32_ubyte0_e32 v23, v5
	v_cvt_f32_ubyte0_e32 v24, v20
	v_or_b32_e32 v5, 0xffffe400, v5
	v_or_b32_e32 v25, 0xffffe400, v20
	v_cvt_f16_f32_e32 v26, v21
	v_perm_b32 v20, v15, v15, 0x5040100
	v_cvt_f16_f32_e32 v15, v22
	v_perm_b32 v22, v4, v4, 0x5040100
	v_cvt_f16_f32_e32 v4, v23
	v_cvt_f16_f32_e32 v23, v24
	v_perm_b32 v21, v5, v5, 0x5040100
	v_sub_f16_e32 v5, 0xd400, v26
	v_sub_f16_e32 v15, 0xd400, v15
	;; [unrolled: 1-line block ×4, first 2 shown]
	v_perm_b32 v23, v25, v25, 0x5040100
	v_pack_b32_f16 v24, v5, v5
	v_pack_b32_f16 v25, v15, v15
	;; [unrolled: 1-line block ×4, first 2 shown]
	v_mov_b32_e32 v15, 0
	s_branch .LBB21_10
.LBB21_9:                               ;   in Loop: Header=BB21_10 Depth=1
	global_load_b128 v[28:31], v[2:3], off
	s_add_i32 s15, s15, 32
	s_waitcnt vmcnt(0)
	v_and_or_b32 v4, v28, s5, 0x64006400
	v_and_or_b32 v5, v28, s17, 0x64006400
	v_lshrrev_b32_e32 v28, 8, v28
	s_delay_alu instid0(VALU_DEP_3) | instskip(SKIP_1) | instid1(VALU_DEP_3)
	v_pk_add_f16 v33, v20, v4
	v_and_or_b32 v4, v29, s5, 0x64006400
	v_and_or_b32 v32, v28, s5, 0x64006400
	;; [unrolled: 1-line block ×3, first 2 shown]
	v_pk_fma_f16 v5, 0x2c00, v5, v24 op_sel_hi:[0,1,1]
	s_delay_alu instid0(VALU_DEP_4) | instskip(SKIP_1) | instid1(VALU_DEP_4)
	v_pk_add_f16 v36, v23, v4
	v_and_or_b32 v4, v30, s5, 0x64006400
	v_pk_fma_f16 v34, 0x2c00, v28, v24 op_sel_hi:[0,1,1]
	v_and_or_b32 v28, v29, s17, 0x64006400
	v_lshrrev_b32_e32 v29, 8, v29
	v_pk_add_f16 v32, v20, v32
	v_pk_add_f16 v39, v21, v4
	v_and_or_b32 v4, v31, s5, 0x64006400
	v_pk_fma_f16 v37, 0x2c00, v28, v27 op_sel_hi:[0,1,1]
	v_and_or_b32 v35, v29, s5, 0x64006400
	v_and_or_b32 v29, v29, s17, 0x64006400
	;; [unrolled: 1-line block ×3, first 2 shown]
	v_pk_add_f16 v43, v22, v4
	v_mov_b32_e32 v4, s13
	v_pk_add_f16 v35, v23, v35
	v_pk_fma_f16 v38, 0x2c00, v29, v27 op_sel_hi:[0,1,1]
	v_lshrrev_b32_e32 v29, 8, v30
	v_pk_fma_f16 v40, 0x2c00, v28, v26 op_sel_hi:[0,1,1]
	v_and_or_b32 v28, v31, s17, 0x64006400
	s_add_i32 s13, s13, 64
	s_cmp_ge_i32 s15, s20
	v_and_or_b32 v30, v29, s5, 0x64006400
	v_and_or_b32 v29, v29, s17, 0x64006400
	v_pk_fma_f16 v44, 0x2c00, v28, v25 op_sel_hi:[0,1,1]
	s_delay_alu instid0(VALU_DEP_3) | instskip(NEXT) | instid1(VALU_DEP_3)
	v_pk_add_f16 v41, v21, v30
	v_pk_fma_f16 v42, 0x2c00, v29, v26 op_sel_hi:[0,1,1]
	v_lshrrev_b32_e32 v29, 8, v31
	s_delay_alu instid0(VALU_DEP_1) | instskip(SKIP_1) | instid1(VALU_DEP_2)
	v_and_or_b32 v30, v29, s5, 0x64006400
	v_and_or_b32 v29, v29, s17, 0x64006400
	v_pk_add_f16 v45, v22, v30
	s_delay_alu instid0(VALU_DEP_2) | instskip(SKIP_3) | instid1(VALU_DEP_1)
	v_pk_fma_f16 v46, 0x2c00, v29, v25 op_sel_hi:[0,1,1]
	ds_load_2addr_b32 v[28:29], v4 offset1:1
	s_waitcnt lgkmcnt(0)
	v_pk_fma_f16 v30, v33, v28, 0
	v_pk_fma_f16 v47, v5, v29, v30
	ds_load_2addr_b32 v[30:31], v4 offset0:2 offset1:3
	s_waitcnt lgkmcnt(0)
	v_pk_fma_f16 v47, v32, v30, v47
	s_delay_alu instid0(VALU_DEP_1) | instskip(NEXT) | instid1(VALU_DEP_1)
	v_pk_fma_f16 v47, v34, v31, v47
	v_cvt_f32_f16_e32 v48, v47
	v_lshrrev_b32_e32 v47, 16, v47
	s_delay_alu instid0(VALU_DEP_1) | instskip(NEXT) | instid1(VALU_DEP_1)
	v_cvt_f32_f16_e32 v47, v47
	v_add_f32_e32 v47, v48, v47
	s_delay_alu instid0(VALU_DEP_1) | instskip(SKIP_1) | instid1(VALU_DEP_1)
	v_fmac_f32_e32 v0, v47, v16
	v_pk_fma_f16 v47, v36, v28, 0
	v_pk_fma_f16 v47, v37, v29, v47
	s_delay_alu instid0(VALU_DEP_1) | instskip(NEXT) | instid1(VALU_DEP_1)
	v_pk_fma_f16 v47, v35, v30, v47
	v_pk_fma_f16 v47, v38, v31, v47
	s_delay_alu instid0(VALU_DEP_1) | instskip(SKIP_1) | instid1(VALU_DEP_1)
	v_cvt_f32_f16_e32 v48, v47
	v_lshrrev_b32_e32 v47, 16, v47
	v_cvt_f32_f16_e32 v47, v47
	s_delay_alu instid0(VALU_DEP_1) | instskip(NEXT) | instid1(VALU_DEP_1)
	v_add_f32_e32 v47, v48, v47
	v_fmac_f32_e32 v7, v47, v18
	v_pk_fma_f16 v47, v39, v28, 0
	v_pk_fma_f16 v28, v43, v28, 0
	s_delay_alu instid0(VALU_DEP_2) | instskip(NEXT) | instid1(VALU_DEP_2)
	v_pk_fma_f16 v47, v40, v29, v47
	v_pk_fma_f16 v28, v44, v29, v28
	s_delay_alu instid0(VALU_DEP_2) | instskip(NEXT) | instid1(VALU_DEP_2)
	;; [unrolled: 3-line block ×4, first 2 shown]
	v_cvt_f32_f16_e32 v48, v47
	v_cvt_f32_f16_e32 v29, v28
	v_lshrrev_b32_e32 v28, 16, v28
	v_lshrrev_b32_e32 v47, 16, v47
	s_delay_alu instid0(VALU_DEP_2) | instskip(NEXT) | instid1(VALU_DEP_2)
	v_cvt_f32_f16_e32 v28, v28
	v_cvt_f32_f16_e32 v47, v47
	s_delay_alu instid0(VALU_DEP_2) | instskip(NEXT) | instid1(VALU_DEP_1)
	v_add_f32_e32 v28, v29, v28
	v_fmac_f32_e32 v9, v28, v19
	ds_load_2addr_b32 v[28:29], v4 offset0:64 offset1:65
	s_waitcnt lgkmcnt(0)
	v_pk_fma_f16 v30, v33, v28, 0
	s_delay_alu instid0(VALU_DEP_1) | instskip(SKIP_3) | instid1(VALU_DEP_1)
	v_pk_fma_f16 v5, v5, v29, v30
	ds_load_2addr_b32 v[30:31], v4 offset0:66 offset1:67
	s_waitcnt lgkmcnt(0)
	v_pk_fma_f16 v5, v32, v30, v5
	v_pk_fma_f16 v5, v34, v31, v5
	s_delay_alu instid0(VALU_DEP_1) | instskip(SKIP_1) | instid1(VALU_DEP_1)
	v_cvt_f32_f16_e32 v32, v5
	v_lshrrev_b32_e32 v5, 16, v5
	v_cvt_f32_f16_e32 v5, v5
	s_delay_alu instid0(VALU_DEP_1) | instskip(NEXT) | instid1(VALU_DEP_1)
	v_add_f32_e32 v5, v32, v5
	v_dual_add_f32 v47, v48, v47 :: v_dual_fmac_f32 v10, v5, v16
	v_pk_fma_f16 v5, v36, v28, 0
	s_delay_alu instid0(VALU_DEP_1) | instskip(NEXT) | instid1(VALU_DEP_1)
	v_pk_fma_f16 v5, v37, v29, v5
	v_pk_fma_f16 v5, v35, v30, v5
	s_delay_alu instid0(VALU_DEP_1) | instskip(NEXT) | instid1(VALU_DEP_1)
	v_pk_fma_f16 v5, v38, v31, v5
	v_cvt_f32_f16_e32 v32, v5
	v_lshrrev_b32_e32 v5, 16, v5
	s_delay_alu instid0(VALU_DEP_1) | instskip(NEXT) | instid1(VALU_DEP_1)
	v_cvt_f32_f16_e32 v5, v5
	v_add_f32_e32 v5, v32, v5
	s_delay_alu instid0(VALU_DEP_1) | instskip(SKIP_1) | instid1(VALU_DEP_1)
	v_dual_fmac_f32 v8, v47, v17 :: v_dual_fmac_f32 v11, v5, v18
	v_pk_fma_f16 v5, v39, v28, 0
	v_pk_fma_f16 v5, v40, v29, v5
	s_delay_alu instid0(VALU_DEP_1) | instskip(NEXT) | instid1(VALU_DEP_1)
	v_pk_fma_f16 v5, v41, v30, v5
	v_pk_fma_f16 v5, v42, v31, v5
	s_delay_alu instid0(VALU_DEP_1) | instskip(SKIP_1) | instid1(VALU_DEP_1)
	v_cvt_f32_f16_e32 v32, v5
	v_lshrrev_b32_e32 v5, 16, v5
	v_cvt_f32_f16_e32 v5, v5
	s_delay_alu instid0(VALU_DEP_1) | instskip(SKIP_2) | instid1(VALU_DEP_3)
	v_add_f32_e32 v5, v32, v5
	v_add_co_u32 v32, vcc_lo, v2, s2
	v_add_co_ci_u32_e32 v33, vcc_lo, s3, v3, vcc_lo
	v_fmac_f32_e32 v12, v5, v17
	v_pk_fma_f16 v5, v43, v28, 0
	s_delay_alu instid0(VALU_DEP_1) | instskip(NEXT) | instid1(VALU_DEP_1)
	v_pk_fma_f16 v5, v44, v29, v5
	v_pk_fma_f16 v5, v45, v30, v5
	s_delay_alu instid0(VALU_DEP_1) | instskip(NEXT) | instid1(VALU_DEP_1)
	v_pk_fma_f16 v5, v46, v31, v5
	v_cvt_f32_f16_e32 v28, v5
	v_lshrrev_b32_e32 v5, 16, v5
	s_delay_alu instid0(VALU_DEP_1) | instskip(NEXT) | instid1(VALU_DEP_1)
	v_cvt_f32_f16_e32 v5, v5
	v_add_f32_e32 v5, v28, v5
	global_load_b128 v[28:31], v[32:33], off
	v_add_co_u32 v32, vcc_lo, v32, s2
	v_add_co_ci_u32_e32 v33, vcc_lo, s3, v33, vcc_lo
	v_fmac_f32_e32 v15, v5, v19
	s_waitcnt vmcnt(0)
	v_and_or_b32 v5, v28, s5, 0x64006400
	v_and_or_b32 v34, v28, s17, 0x64006400
	v_lshrrev_b32_e32 v28, 8, v28
	v_and_or_b32 v37, v29, s17, 0x64006400
	s_delay_alu instid0(VALU_DEP_4) | instskip(NEXT) | instid1(VALU_DEP_4)
	v_pk_add_f16 v5, v20, v5
	v_pk_fma_f16 v34, 0x2c00, v34, v24 op_sel_hi:[0,1,1]
	s_delay_alu instid0(VALU_DEP_4) | instskip(SKIP_2) | instid1(VALU_DEP_3)
	v_and_or_b32 v35, v28, s5, 0x64006400
	v_and_or_b32 v28, v28, s17, 0x64006400
	v_pk_fma_f16 v37, 0x2c00, v37, v27 op_sel_hi:[0,1,1]
	v_pk_add_f16 v35, v20, v35
	s_delay_alu instid0(VALU_DEP_3) | instskip(SKIP_2) | instid1(VALU_DEP_2)
	v_pk_fma_f16 v36, 0x2c00, v28, v24 op_sel_hi:[0,1,1]
	v_and_or_b32 v28, v29, s5, 0x64006400
	v_lshrrev_b32_e32 v29, 8, v29
	v_pk_add_f16 v39, v23, v28
	s_delay_alu instid0(VALU_DEP_2) | instskip(SKIP_2) | instid1(VALU_DEP_3)
	v_and_or_b32 v38, v29, s5, 0x64006400
	v_and_or_b32 v29, v29, s17, 0x64006400
	v_and_or_b32 v28, v30, s5, 0x64006400
	v_pk_add_f16 v38, v23, v38
	s_delay_alu instid0(VALU_DEP_3) | instskip(SKIP_1) | instid1(VALU_DEP_4)
	v_pk_fma_f16 v40, 0x2c00, v29, v27 op_sel_hi:[0,1,1]
	v_and_or_b32 v29, v30, s17, 0x64006400
	v_pk_add_f16 v42, v21, v28
	v_and_or_b32 v28, v31, s5, 0x64006400
	v_lshrrev_b32_e32 v30, 8, v30
	s_delay_alu instid0(VALU_DEP_4) | instskip(SKIP_1) | instid1(VALU_DEP_4)
	v_pk_fma_f16 v43, 0x2c00, v29, v26 op_sel_hi:[0,1,1]
	v_and_or_b32 v29, v31, s17, 0x64006400
	v_pk_add_f16 v45, v22, v28
	s_delay_alu instid0(VALU_DEP_4) | instskip(SKIP_1) | instid1(VALU_DEP_4)
	v_and_or_b32 v41, v30, s5, 0x64006400
	v_and_or_b32 v30, v30, s17, 0x64006400
	v_pk_fma_f16 v46, 0x2c00, v29, v25 op_sel_hi:[0,1,1]
	ds_load_2addr_b32 v[28:29], v4 offset0:4 offset1:5
	v_pk_add_f16 v41, v21, v41
	v_pk_fma_f16 v44, 0x2c00, v30, v26 op_sel_hi:[0,1,1]
	v_lshrrev_b32_e32 v30, 8, v31
	s_delay_alu instid0(VALU_DEP_1) | instskip(SKIP_1) | instid1(VALU_DEP_2)
	v_and_or_b32 v31, v30, s5, 0x64006400
	v_and_or_b32 v30, v30, s17, 0x64006400
	v_pk_add_f16 v47, v22, v31
	s_delay_alu instid0(VALU_DEP_2) | instskip(SKIP_2) | instid1(VALU_DEP_1)
	v_pk_fma_f16 v48, 0x2c00, v30, v25 op_sel_hi:[0,1,1]
	s_waitcnt lgkmcnt(0)
	v_pk_fma_f16 v30, v5, v28, 0
	v_pk_fma_f16 v49, v34, v29, v30
	ds_load_2addr_b32 v[30:31], v4 offset0:6 offset1:7
	s_waitcnt lgkmcnt(0)
	v_pk_fma_f16 v49, v35, v30, v49
	s_delay_alu instid0(VALU_DEP_1) | instskip(NEXT) | instid1(VALU_DEP_1)
	v_pk_fma_f16 v49, v36, v31, v49
	v_cvt_f32_f16_e32 v50, v49
	v_lshrrev_b32_e32 v49, 16, v49
	s_delay_alu instid0(VALU_DEP_1) | instskip(NEXT) | instid1(VALU_DEP_1)
	v_cvt_f32_f16_e32 v49, v49
	v_add_f32_e32 v49, v50, v49
	s_delay_alu instid0(VALU_DEP_1) | instskip(SKIP_1) | instid1(VALU_DEP_1)
	v_fmac_f32_e32 v0, v49, v16
	v_pk_fma_f16 v49, v39, v28, 0
	v_pk_fma_f16 v49, v37, v29, v49
	s_delay_alu instid0(VALU_DEP_1) | instskip(NEXT) | instid1(VALU_DEP_1)
	v_pk_fma_f16 v49, v38, v30, v49
	v_pk_fma_f16 v49, v40, v31, v49
	s_delay_alu instid0(VALU_DEP_1) | instskip(SKIP_1) | instid1(VALU_DEP_1)
	v_cvt_f32_f16_e32 v50, v49
	v_lshrrev_b32_e32 v49, 16, v49
	v_cvt_f32_f16_e32 v49, v49
	s_delay_alu instid0(VALU_DEP_1) | instskip(NEXT) | instid1(VALU_DEP_1)
	v_add_f32_e32 v49, v50, v49
	v_fmac_f32_e32 v7, v49, v18
	v_pk_fma_f16 v49, v42, v28, 0
	v_pk_fma_f16 v28, v45, v28, 0
	s_delay_alu instid0(VALU_DEP_2) | instskip(NEXT) | instid1(VALU_DEP_2)
	v_pk_fma_f16 v49, v43, v29, v49
	v_pk_fma_f16 v28, v46, v29, v28
	s_delay_alu instid0(VALU_DEP_2) | instskip(NEXT) | instid1(VALU_DEP_2)
	;; [unrolled: 3-line block ×3, first 2 shown]
	v_pk_fma_f16 v49, v44, v31, v49
	v_pk_fma_f16 v28, v48, v31, v28
	ds_load_2addr_b32 v[30:31], v4 offset0:70 offset1:71
	v_cvt_f32_f16_e32 v50, v49
	v_lshrrev_b32_e32 v49, 16, v49
	v_cvt_f32_f16_e32 v29, v28
	v_lshrrev_b32_e32 v28, 16, v28
	s_delay_alu instid0(VALU_DEP_3) | instskip(NEXT) | instid1(VALU_DEP_2)
	v_cvt_f32_f16_e32 v49, v49
	v_cvt_f32_f16_e32 v28, v28
	s_delay_alu instid0(VALU_DEP_1) | instskip(NEXT) | instid1(VALU_DEP_1)
	v_dual_add_f32 v49, v50, v49 :: v_dual_add_f32 v28, v29, v28
	v_dual_fmac_f32 v8, v49, v17 :: v_dual_fmac_f32 v9, v28, v19
	ds_load_2addr_b32 v[28:29], v4 offset0:68 offset1:69
	s_waitcnt lgkmcnt(0)
	v_pk_fma_f16 v5, v5, v28, 0
	s_delay_alu instid0(VALU_DEP_1) | instskip(NEXT) | instid1(VALU_DEP_1)
	v_pk_fma_f16 v5, v34, v29, v5
	v_pk_fma_f16 v5, v35, v30, v5
	s_delay_alu instid0(VALU_DEP_1) | instskip(NEXT) | instid1(VALU_DEP_1)
	v_pk_fma_f16 v5, v36, v31, v5
	v_cvt_f32_f16_e32 v34, v5
	v_lshrrev_b32_e32 v5, 16, v5
	s_delay_alu instid0(VALU_DEP_1) | instskip(NEXT) | instid1(VALU_DEP_1)
	v_cvt_f32_f16_e32 v5, v5
	v_add_f32_e32 v5, v34, v5
	s_delay_alu instid0(VALU_DEP_1) | instskip(SKIP_1) | instid1(VALU_DEP_1)
	v_fmac_f32_e32 v10, v5, v16
	v_pk_fma_f16 v5, v39, v28, 0
	v_pk_fma_f16 v5, v37, v29, v5
	s_delay_alu instid0(VALU_DEP_1) | instskip(NEXT) | instid1(VALU_DEP_1)
	v_pk_fma_f16 v5, v38, v30, v5
	v_pk_fma_f16 v5, v40, v31, v5
	s_delay_alu instid0(VALU_DEP_1) | instskip(SKIP_1) | instid1(VALU_DEP_1)
	v_cvt_f32_f16_e32 v34, v5
	v_lshrrev_b32_e32 v5, 16, v5
	v_cvt_f32_f16_e32 v5, v5
	s_delay_alu instid0(VALU_DEP_1) | instskip(NEXT) | instid1(VALU_DEP_1)
	v_add_f32_e32 v5, v34, v5
	v_fmac_f32_e32 v11, v5, v18
	v_pk_fma_f16 v5, v42, v28, 0
	s_delay_alu instid0(VALU_DEP_1) | instskip(NEXT) | instid1(VALU_DEP_1)
	v_pk_fma_f16 v5, v43, v29, v5
	v_pk_fma_f16 v5, v41, v30, v5
	s_delay_alu instid0(VALU_DEP_1) | instskip(NEXT) | instid1(VALU_DEP_1)
	v_pk_fma_f16 v5, v44, v31, v5
	v_cvt_f32_f16_e32 v34, v5
	v_lshrrev_b32_e32 v5, 16, v5
	s_delay_alu instid0(VALU_DEP_1) | instskip(NEXT) | instid1(VALU_DEP_1)
	v_cvt_f32_f16_e32 v5, v5
	v_add_f32_e32 v5, v34, v5
	s_delay_alu instid0(VALU_DEP_1) | instskip(SKIP_1) | instid1(VALU_DEP_1)
	v_fmac_f32_e32 v12, v5, v17
	v_pk_fma_f16 v5, v45, v28, 0
	v_pk_fma_f16 v5, v46, v29, v5
	s_delay_alu instid0(VALU_DEP_1) | instskip(NEXT) | instid1(VALU_DEP_1)
	v_pk_fma_f16 v5, v47, v30, v5
	v_pk_fma_f16 v5, v48, v31, v5
	s_delay_alu instid0(VALU_DEP_1) | instskip(SKIP_1) | instid1(VALU_DEP_1)
	v_cvt_f32_f16_e32 v28, v5
	v_lshrrev_b32_e32 v5, 16, v5
	v_cvt_f32_f16_e32 v5, v5
	s_delay_alu instid0(VALU_DEP_1)
	v_add_f32_e32 v5, v28, v5
	global_load_b128 v[28:31], v[32:33], off
	v_fmac_f32_e32 v15, v5, v19
	s_waitcnt vmcnt(0)
	v_and_or_b32 v5, v28, s5, 0x64006400
	v_and_or_b32 v34, v28, s17, 0x64006400
	v_lshrrev_b32_e32 v28, 8, v28
	v_and_or_b32 v37, v29, s17, 0x64006400
	s_delay_alu instid0(VALU_DEP_4) | instskip(NEXT) | instid1(VALU_DEP_4)
	v_pk_add_f16 v5, v20, v5
	v_pk_fma_f16 v34, 0x2c00, v34, v24 op_sel_hi:[0,1,1]
	s_delay_alu instid0(VALU_DEP_4) | instskip(SKIP_2) | instid1(VALU_DEP_3)
	v_and_or_b32 v35, v28, s5, 0x64006400
	v_and_or_b32 v28, v28, s17, 0x64006400
	v_pk_fma_f16 v37, 0x2c00, v37, v27 op_sel_hi:[0,1,1]
	v_pk_add_f16 v35, v20, v35
	s_delay_alu instid0(VALU_DEP_3) | instskip(SKIP_2) | instid1(VALU_DEP_2)
	v_pk_fma_f16 v36, 0x2c00, v28, v24 op_sel_hi:[0,1,1]
	v_and_or_b32 v28, v29, s5, 0x64006400
	v_lshrrev_b32_e32 v29, 8, v29
	v_pk_add_f16 v39, v23, v28
	s_delay_alu instid0(VALU_DEP_2) | instskip(SKIP_2) | instid1(VALU_DEP_3)
	v_and_or_b32 v38, v29, s5, 0x64006400
	v_and_or_b32 v29, v29, s17, 0x64006400
	;; [unrolled: 1-line block ×3, first 2 shown]
	v_pk_add_f16 v38, v23, v38
	s_delay_alu instid0(VALU_DEP_3) | instskip(SKIP_1) | instid1(VALU_DEP_4)
	v_pk_fma_f16 v40, 0x2c00, v29, v27 op_sel_hi:[0,1,1]
	v_and_or_b32 v29, v30, s17, 0x64006400
	v_pk_add_f16 v42, v21, v28
	v_and_or_b32 v28, v31, s5, 0x64006400
	v_lshrrev_b32_e32 v30, 8, v30
	s_delay_alu instid0(VALU_DEP_4) | instskip(SKIP_1) | instid1(VALU_DEP_4)
	v_pk_fma_f16 v43, 0x2c00, v29, v26 op_sel_hi:[0,1,1]
	v_and_or_b32 v29, v31, s17, 0x64006400
	v_pk_add_f16 v45, v22, v28
	s_delay_alu instid0(VALU_DEP_4) | instskip(SKIP_1) | instid1(VALU_DEP_4)
	v_and_or_b32 v41, v30, s5, 0x64006400
	v_and_or_b32 v30, v30, s17, 0x64006400
	v_pk_fma_f16 v46, 0x2c00, v29, v25 op_sel_hi:[0,1,1]
	ds_load_2addr_b32 v[28:29], v4 offset0:8 offset1:9
	v_pk_add_f16 v41, v21, v41
	v_pk_fma_f16 v44, 0x2c00, v30, v26 op_sel_hi:[0,1,1]
	v_lshrrev_b32_e32 v30, 8, v31
	s_delay_alu instid0(VALU_DEP_1) | instskip(SKIP_1) | instid1(VALU_DEP_2)
	v_and_or_b32 v31, v30, s5, 0x64006400
	v_and_or_b32 v30, v30, s17, 0x64006400
	v_pk_add_f16 v47, v22, v31
	s_delay_alu instid0(VALU_DEP_2) | instskip(SKIP_2) | instid1(VALU_DEP_1)
	v_pk_fma_f16 v48, 0x2c00, v30, v25 op_sel_hi:[0,1,1]
	s_waitcnt lgkmcnt(0)
	v_pk_fma_f16 v30, v5, v28, 0
	v_pk_fma_f16 v49, v34, v29, v30
	ds_load_2addr_b32 v[30:31], v4 offset0:10 offset1:11
	s_waitcnt lgkmcnt(0)
	v_pk_fma_f16 v49, v35, v30, v49
	s_delay_alu instid0(VALU_DEP_1) | instskip(NEXT) | instid1(VALU_DEP_1)
	v_pk_fma_f16 v49, v36, v31, v49
	v_cvt_f32_f16_e32 v50, v49
	v_lshrrev_b32_e32 v49, 16, v49
	s_delay_alu instid0(VALU_DEP_1) | instskip(NEXT) | instid1(VALU_DEP_1)
	v_cvt_f32_f16_e32 v49, v49
	v_add_f32_e32 v49, v50, v49
	s_delay_alu instid0(VALU_DEP_1) | instskip(SKIP_1) | instid1(VALU_DEP_1)
	v_fmac_f32_e32 v0, v49, v16
	v_pk_fma_f16 v49, v39, v28, 0
	v_pk_fma_f16 v49, v37, v29, v49
	s_delay_alu instid0(VALU_DEP_1) | instskip(NEXT) | instid1(VALU_DEP_1)
	v_pk_fma_f16 v49, v38, v30, v49
	v_pk_fma_f16 v49, v40, v31, v49
	s_delay_alu instid0(VALU_DEP_1) | instskip(SKIP_1) | instid1(VALU_DEP_1)
	v_cvt_f32_f16_e32 v50, v49
	v_lshrrev_b32_e32 v49, 16, v49
	v_cvt_f32_f16_e32 v49, v49
	s_delay_alu instid0(VALU_DEP_1) | instskip(NEXT) | instid1(VALU_DEP_1)
	v_add_f32_e32 v49, v50, v49
	v_fmac_f32_e32 v7, v49, v18
	v_pk_fma_f16 v49, v42, v28, 0
	v_pk_fma_f16 v28, v45, v28, 0
	s_delay_alu instid0(VALU_DEP_2) | instskip(NEXT) | instid1(VALU_DEP_2)
	v_pk_fma_f16 v49, v43, v29, v49
	v_pk_fma_f16 v28, v46, v29, v28
	s_delay_alu instid0(VALU_DEP_2) | instskip(NEXT) | instid1(VALU_DEP_2)
	;; [unrolled: 3-line block ×3, first 2 shown]
	v_pk_fma_f16 v49, v44, v31, v49
	v_pk_fma_f16 v28, v48, v31, v28
	ds_load_2addr_b32 v[30:31], v4 offset0:74 offset1:75
	v_cvt_f32_f16_e32 v50, v49
	v_cvt_f32_f16_e32 v29, v28
	v_lshrrev_b32_e32 v28, 16, v28
	v_lshrrev_b32_e32 v49, 16, v49
	s_delay_alu instid0(VALU_DEP_2) | instskip(NEXT) | instid1(VALU_DEP_2)
	v_cvt_f32_f16_e32 v28, v28
	v_cvt_f32_f16_e32 v49, v49
	s_delay_alu instid0(VALU_DEP_1) | instskip(NEXT) | instid1(VALU_DEP_1)
	v_dual_add_f32 v28, v29, v28 :: v_dual_add_f32 v49, v50, v49
	v_fmac_f32_e32 v9, v28, v19
	ds_load_2addr_b32 v[28:29], v4 offset0:72 offset1:73
	s_waitcnt lgkmcnt(0)
	v_pk_fma_f16 v5, v5, v28, 0
	s_delay_alu instid0(VALU_DEP_1) | instskip(NEXT) | instid1(VALU_DEP_1)
	v_pk_fma_f16 v5, v34, v29, v5
	v_pk_fma_f16 v5, v35, v30, v5
	s_delay_alu instid0(VALU_DEP_1) | instskip(NEXT) | instid1(VALU_DEP_1)
	v_pk_fma_f16 v5, v36, v31, v5
	v_cvt_f32_f16_e32 v34, v5
	v_lshrrev_b32_e32 v5, 16, v5
	s_delay_alu instid0(VALU_DEP_1) | instskip(NEXT) | instid1(VALU_DEP_1)
	v_cvt_f32_f16_e32 v5, v5
	v_add_f32_e32 v5, v34, v5
	s_delay_alu instid0(VALU_DEP_1) | instskip(SKIP_1) | instid1(VALU_DEP_1)
	v_fmac_f32_e32 v10, v5, v16
	v_pk_fma_f16 v5, v39, v28, 0
	v_pk_fma_f16 v5, v37, v29, v5
	s_delay_alu instid0(VALU_DEP_1) | instskip(NEXT) | instid1(VALU_DEP_1)
	v_pk_fma_f16 v5, v38, v30, v5
	v_pk_fma_f16 v5, v40, v31, v5
	s_delay_alu instid0(VALU_DEP_1) | instskip(SKIP_1) | instid1(VALU_DEP_1)
	v_cvt_f32_f16_e32 v34, v5
	v_lshrrev_b32_e32 v5, 16, v5
	v_cvt_f32_f16_e32 v5, v5
	s_delay_alu instid0(VALU_DEP_1) | instskip(NEXT) | instid1(VALU_DEP_1)
	v_add_f32_e32 v5, v34, v5
	v_fmac_f32_e32 v11, v5, v18
	v_pk_fma_f16 v5, v42, v28, 0
	s_delay_alu instid0(VALU_DEP_1) | instskip(NEXT) | instid1(VALU_DEP_1)
	v_pk_fma_f16 v5, v43, v29, v5
	v_pk_fma_f16 v5, v41, v30, v5
	s_delay_alu instid0(VALU_DEP_1) | instskip(NEXT) | instid1(VALU_DEP_1)
	v_pk_fma_f16 v5, v44, v31, v5
	v_cvt_f32_f16_e32 v34, v5
	v_lshrrev_b32_e32 v5, 16, v5
	s_delay_alu instid0(VALU_DEP_1) | instskip(NEXT) | instid1(VALU_DEP_1)
	v_cvt_f32_f16_e32 v5, v5
	v_add_f32_e32 v5, v34, v5
	s_delay_alu instid0(VALU_DEP_1) | instskip(SKIP_1) | instid1(VALU_DEP_1)
	v_fmac_f32_e32 v12, v5, v17
	v_pk_fma_f16 v5, v45, v28, 0
	v_pk_fma_f16 v5, v46, v29, v5
	s_delay_alu instid0(VALU_DEP_1) | instskip(NEXT) | instid1(VALU_DEP_1)
	v_pk_fma_f16 v5, v47, v30, v5
	v_pk_fma_f16 v5, v48, v31, v5
	s_delay_alu instid0(VALU_DEP_1) | instskip(SKIP_1) | instid1(VALU_DEP_1)
	v_cvt_f32_f16_e32 v28, v5
	v_lshrrev_b32_e32 v5, 16, v5
	v_cvt_f32_f16_e32 v5, v5
	s_delay_alu instid0(VALU_DEP_1) | instskip(SKIP_2) | instid1(VALU_DEP_3)
	v_add_f32_e32 v5, v28, v5
	v_add_co_u32 v28, vcc_lo, v32, s2
	v_add_co_ci_u32_e32 v29, vcc_lo, s3, v33, vcc_lo
	v_fmac_f32_e32 v15, v5, v19
	v_add_co_u32 v2, vcc_lo, v2, s0
	global_load_b128 v[28:31], v[28:29], off
	v_add_co_ci_u32_e32 v3, vcc_lo, s1, v3, vcc_lo
	s_waitcnt vmcnt(0)
	v_and_or_b32 v5, v28, s5, 0x64006400
	v_and_or_b32 v32, v28, s17, 0x64006400
	v_lshrrev_b32_e32 v28, 8, v28
	s_delay_alu instid0(VALU_DEP_3) | instskip(NEXT) | instid1(VALU_DEP_3)
	v_pk_add_f16 v5, v20, v5
	v_pk_fma_f16 v44, 0x2c00, v32, v24 op_sel_hi:[0,1,1]
	s_delay_alu instid0(VALU_DEP_3) | instskip(SKIP_2) | instid1(VALU_DEP_3)
	v_and_or_b32 v33, v28, s5, 0x64006400
	v_and_or_b32 v28, v28, s17, 0x64006400
	;; [unrolled: 1-line block ×3, first 2 shown]
	v_pk_add_f16 v45, v20, v33
	s_delay_alu instid0(VALU_DEP_3) | instskip(SKIP_3) | instid1(VALU_DEP_3)
	v_pk_fma_f16 v46, 0x2c00, v28, v24 op_sel_hi:[0,1,1]
	v_and_or_b32 v28, v29, s5, 0x64006400
	v_lshrrev_b32_e32 v29, 8, v29
	v_pk_fma_f16 v37, 0x2c00, v32, v27 op_sel_hi:[0,1,1]
	v_pk_add_f16 v36, v23, v28
	s_delay_alu instid0(VALU_DEP_3) | instskip(SKIP_2) | instid1(VALU_DEP_3)
	v_and_or_b32 v33, v29, s5, 0x64006400
	v_and_or_b32 v29, v29, s17, 0x64006400
	;; [unrolled: 1-line block ×3, first 2 shown]
	v_pk_add_f16 v38, v23, v33
	s_delay_alu instid0(VALU_DEP_3) | instskip(SKIP_4) | instid1(VALU_DEP_4)
	v_pk_fma_f16 v39, 0x2c00, v29, v27 op_sel_hi:[0,1,1]
	v_and_or_b32 v29, v30, s17, 0x64006400
	v_lshrrev_b32_e32 v30, 8, v30
	v_pk_add_f16 v32, v21, v28
	v_and_or_b32 v28, v31, s5, 0x64006400
	v_pk_fma_f16 v33, 0x2c00, v29, v26 op_sel_hi:[0,1,1]
	s_delay_alu instid0(VALU_DEP_4) | instskip(SKIP_2) | instid1(VALU_DEP_3)
	v_and_or_b32 v34, v30, s5, 0x64006400
	v_and_or_b32 v30, v30, s17, 0x64006400
	;; [unrolled: 1-line block ×3, first 2 shown]
	v_pk_add_f16 v34, v21, v34
	s_delay_alu instid0(VALU_DEP_3) | instskip(SKIP_2) | instid1(VALU_DEP_2)
	v_pk_fma_f16 v35, 0x2c00, v30, v26 op_sel_hi:[0,1,1]
	v_lshrrev_b32_e32 v30, 8, v31
	v_pk_add_f16 v31, v22, v28
	v_and_or_b32 v40, v30, s5, 0x64006400
	v_and_or_b32 v41, v30, s17, 0x64006400
	v_pk_fma_f16 v30, 0x2c00, v29, v25 op_sel_hi:[0,1,1]
	s_delay_alu instid0(VALU_DEP_3) | instskip(NEXT) | instid1(VALU_DEP_3)
	v_pk_add_f16 v29, v22, v40
	v_pk_fma_f16 v28, 0x2c00, v41, v25 op_sel_hi:[0,1,1]
	ds_load_2addr_b32 v[40:41], v4 offset0:12 offset1:13
	s_waitcnt lgkmcnt(0)
	v_pk_fma_f16 v42, v5, v40, 0
	s_delay_alu instid0(VALU_DEP_1) | instskip(SKIP_3) | instid1(VALU_DEP_1)
	v_pk_fma_f16 v47, v44, v41, v42
	ds_load_2addr_b32 v[42:43], v4 offset0:14 offset1:15
	s_waitcnt lgkmcnt(0)
	v_pk_fma_f16 v47, v45, v42, v47
	v_pk_fma_f16 v47, v46, v43, v47
	s_delay_alu instid0(VALU_DEP_1) | instskip(SKIP_1) | instid1(VALU_DEP_1)
	v_cvt_f32_f16_e32 v48, v47
	v_lshrrev_b32_e32 v47, 16, v47
	v_cvt_f32_f16_e32 v47, v47
	s_delay_alu instid0(VALU_DEP_1) | instskip(NEXT) | instid1(VALU_DEP_1)
	v_dual_fmac_f32 v8, v49, v17 :: v_dual_add_f32 v47, v48, v47
	v_fmac_f32_e32 v0, v47, v16
	v_pk_fma_f16 v47, v36, v40, 0
	s_delay_alu instid0(VALU_DEP_1) | instskip(NEXT) | instid1(VALU_DEP_1)
	v_pk_fma_f16 v47, v37, v41, v47
	v_pk_fma_f16 v47, v38, v42, v47
	s_delay_alu instid0(VALU_DEP_1) | instskip(NEXT) | instid1(VALU_DEP_1)
	v_pk_fma_f16 v47, v39, v43, v47
	v_cvt_f32_f16_e32 v48, v47
	v_lshrrev_b32_e32 v47, 16, v47
	s_delay_alu instid0(VALU_DEP_1) | instskip(NEXT) | instid1(VALU_DEP_1)
	v_cvt_f32_f16_e32 v47, v47
	v_add_f32_e32 v47, v48, v47
	s_delay_alu instid0(VALU_DEP_1) | instskip(SKIP_2) | instid1(VALU_DEP_2)
	v_fmac_f32_e32 v7, v47, v18
	v_pk_fma_f16 v47, v32, v40, 0
	v_pk_fma_f16 v40, v31, v40, 0
	;; [unrolled: 1-line block ×3, first 2 shown]
	s_delay_alu instid0(VALU_DEP_2) | instskip(NEXT) | instid1(VALU_DEP_2)
	v_pk_fma_f16 v40, v30, v41, v40
	v_pk_fma_f16 v47, v34, v42, v47
	s_delay_alu instid0(VALU_DEP_2) | instskip(NEXT) | instid1(VALU_DEP_2)
	v_pk_fma_f16 v40, v29, v42, v40
	v_pk_fma_f16 v47, v35, v43, v47
	s_delay_alu instid0(VALU_DEP_2) | instskip(NEXT) | instid1(VALU_DEP_2)
	v_pk_fma_f16 v40, v28, v43, v40
	v_cvt_f32_f16_e32 v48, v47
	s_delay_alu instid0(VALU_DEP_2) | instskip(SKIP_2) | instid1(VALU_DEP_2)
	v_cvt_f32_f16_e32 v41, v40
	v_lshrrev_b32_e32 v40, 16, v40
	v_lshrrev_b32_e32 v47, 16, v47
	v_cvt_f32_f16_e32 v40, v40
	s_delay_alu instid0(VALU_DEP_2) | instskip(NEXT) | instid1(VALU_DEP_1)
	v_cvt_f32_f16_e32 v47, v47
	v_dual_add_f32 v40, v41, v40 :: v_dual_add_f32 v47, v48, v47
	s_delay_alu instid0(VALU_DEP_1)
	v_fmac_f32_e32 v9, v40, v19
	ds_load_2addr_b32 v[40:41], v4 offset0:76 offset1:77
	v_fmac_f32_e32 v8, v47, v17
	s_waitcnt lgkmcnt(0)
	v_pk_fma_f16 v5, v5, v40, 0
	v_pk_fma_f16 v36, v36, v40, 0
	;; [unrolled: 1-line block ×4, first 2 shown]
	s_delay_alu instid0(VALU_DEP_4)
	v_pk_fma_f16 v42, v44, v41, v5
	ds_load_2addr_b32 v[4:5], v4 offset0:78 offset1:79
	v_pk_fma_f16 v36, v37, v41, v36
	v_pk_fma_f16 v32, v33, v41, v32
	;; [unrolled: 1-line block ×3, first 2 shown]
	s_waitcnt lgkmcnt(0)
	v_pk_fma_f16 v42, v45, v4, v42
	v_pk_fma_f16 v36, v38, v4, v36
	;; [unrolled: 1-line block ×4, first 2 shown]
	s_delay_alu instid0(VALU_DEP_4) | instskip(NEXT) | instid1(VALU_DEP_4)
	v_pk_fma_f16 v42, v46, v5, v42
	v_pk_fma_f16 v36, v39, v5, v36
	s_delay_alu instid0(VALU_DEP_4) | instskip(NEXT) | instid1(VALU_DEP_4)
	v_pk_fma_f16 v32, v35, v5, v32
	v_pk_fma_f16 v4, v28, v5, v4
	s_delay_alu instid0(VALU_DEP_4)
	v_cvt_f32_f16_e32 v43, v42
	v_lshrrev_b32_e32 v42, 16, v42
	v_cvt_f32_f16_e32 v37, v36
	v_lshrrev_b32_e32 v36, 16, v36
	;; [unrolled: 2-line block ×4, first 2 shown]
	v_cvt_f32_f16_e32 v42, v42
	v_cvt_f32_f16_e32 v36, v36
	;; [unrolled: 1-line block ×3, first 2 shown]
	s_delay_alu instid0(VALU_DEP_4) | instskip(NEXT) | instid1(VALU_DEP_4)
	v_cvt_f32_f16_e32 v4, v4
	v_add_f32_e32 v42, v43, v42
	s_delay_alu instid0(VALU_DEP_4) | instskip(NEXT) | instid1(VALU_DEP_4)
	v_add_f32_e32 v36, v37, v36
	v_add_f32_e32 v32, v33, v32
	s_delay_alu instid0(VALU_DEP_4) | instskip(NEXT) | instid1(VALU_DEP_3)
	v_add_f32_e32 v4, v5, v4
	v_dual_fmac_f32 v10, v42, v16 :: v_dual_fmac_f32 v11, v36, v18
	s_delay_alu instid0(VALU_DEP_3) | instskip(NEXT) | instid1(VALU_DEP_3)
	v_fmac_f32_e32 v12, v32, v17
	v_fmac_f32_e32 v15, v4, v19
	s_cbranch_scc1 .LBB21_12
.LBB21_10:                              ; =>This Inner Loop Header: Depth=1
	s_cmp_lg_u32 s15, s4
	s_cbranch_scc1 .LBB21_9
; %bb.11:                               ;   in Loop: Header=BB21_10 Depth=1
	s_add_i32 s18, s18, 1
	s_add_i32 s4, s4, s14
	s_mul_i32 s19, s18, s16
	s_delay_alu instid0(SALU_CYCLE_1) | instskip(SKIP_2) | instid1(SALU_CYCLE_1)
	s_ashr_i32 s21, s19, 31
	v_add_nc_u32_e32 v4, s19, v1
	s_lshr_b32 s21, s21, 29
	s_add_i32 s19, s19, s21
	s_delay_alu instid0(VALU_DEP_1) | instskip(SKIP_1) | instid1(SALU_CYCLE_1)
	v_ashrrev_i32_e32 v5, 31, v4
	s_ashr_i32 s19, s19, 3
	v_add_nc_u32_e32 v16, s19, v6
	s_delay_alu instid0(VALU_DEP_2) | instskip(NEXT) | instid1(VALU_DEP_2)
	v_lshlrev_b64 v[4:5], 1, v[4:5]
	v_ashrrev_i32_e32 v17, 31, v16
	s_delay_alu instid0(VALU_DEP_2) | instskip(NEXT) | instid1(VALU_DEP_2)
	v_add_co_u32 v4, vcc_lo, s8, v4
	v_lshlrev_b64 v[16:17], 2, v[16:17]
	s_delay_alu instid0(VALU_DEP_4) | instskip(NEXT) | instid1(VALU_DEP_2)
	v_add_co_ci_u32_e32 v5, vcc_lo, s9, v5, vcc_lo
	v_add_co_u32 v16, vcc_lo, s6, v16
	s_delay_alu instid0(VALU_DEP_3)
	v_add_co_ci_u32_e32 v17, vcc_lo, s7, v17, vcc_lo
	global_load_b64 v[4:5], v[4:5], off
	global_load_b32 v17, v[16:17], off
	s_waitcnt vmcnt(1)
	v_cvt_f32_f16_e32 v16, v4
	v_lshrrev_b32_e32 v4, 16, v4
	s_waitcnt vmcnt(0)
	v_bfe_u32 v19, v17, v13, 4
	v_lshrrev_b32_e32 v20, 16, v5
	v_lshrrev_b32_e32 v21, v13, v17
	v_cvt_f32_f16_e32 v17, v5
	v_cvt_f32_f16_e32 v18, v4
	v_add_nc_u32_e32 v4, v19, v14
	v_cvt_f32_f16_e32 v19, v20
	v_bfe_u32 v5, v21, 4, 4
	v_bfe_u32 v20, v21, 8, 4
	;; [unrolled: 1-line block ×3, first 2 shown]
	v_cvt_f32_ubyte0_e32 v22, v4
	v_or_b32_e32 v4, 0xffffe400, v4
	v_add_nc_u32_e32 v5, v5, v14
	v_add_nc_u32_e32 v23, v20, v14
	;; [unrolled: 1-line block ×3, first 2 shown]
	v_cvt_f16_f32_e32 v22, v22
	v_perm_b32 v20, v4, v4, 0x5040100
	v_or_b32_e32 v4, 0xffffe400, v5
	v_cvt_f32_ubyte0_e32 v5, v5
	v_or_b32_e32 v24, 0xffffe400, v23
	v_cvt_f32_ubyte0_e32 v23, v23
	v_cvt_f32_ubyte0_e32 v25, v21
	v_sub_f16_e32 v27, 0xd400, v22
	v_cvt_f16_f32_e32 v5, v5
	v_or_b32_e32 v26, 0xffffe400, v21
	v_cvt_f16_f32_e32 v22, v23
	v_cvt_f16_f32_e32 v25, v25
	v_perm_b32 v23, v4, v4, 0x5040100
	v_sub_f16_e32 v4, 0xd400, v5
	v_perm_b32 v21, v24, v24, 0x5040100
	v_sub_f16_e32 v5, 0xd400, v22
	v_sub_f16_e32 v25, 0xd400, v25
	v_perm_b32 v22, v26, v26, 0x5040100
	v_pack_b32_f16 v24, v27, v27
	v_pack_b32_f16 v27, v4, v4
	;; [unrolled: 1-line block ×4, first 2 shown]
	s_branch .LBB21_9
.LBB21_12:
	v_cvt_f16_f32_e32 v16, v0
	v_cvt_f16_f32_e32 v14, v7
	;; [unrolled: 1-line block ×8, first 2 shown]
.LBB21_13:
	v_mad_u64_u32 v[2:3], null, s12, s16, v[1:2]
	v_perm_b32 v10, v14, v16, 0x5040100
	s_mov_b32 s0, 0
	s_delay_alu instid0(VALU_DEP_2) | instskip(NEXT) | instid1(VALU_DEP_1)
	v_ashrrev_i32_e32 v3, 31, v2
	v_lshlrev_b64 v[0:1], 1, v[2:3]
	s_delay_alu instid0(VALU_DEP_1) | instskip(NEXT) | instid1(VALU_DEP_2)
	v_add_co_u32 v0, vcc_lo, s10, v0
	v_add_co_ci_u32_e32 v1, vcc_lo, s11, v1, vcc_lo
	global_load_b32 v4, v[0:1], off
.LBB21_14:                              ; =>This Inner Loop Header: Depth=1
	s_waitcnt vmcnt(0)
	v_pk_add_f16 v3, v10, v4
	global_atomic_cmpswap_b32 v3, v[0:1], v[3:4], off glc
	s_waitcnt vmcnt(0)
	v_cmp_eq_u32_e32 vcc_lo, v4, v3
	v_mov_b32_e32 v4, v3
	s_or_b32 s0, vcc_lo, s0
	s_delay_alu instid0(SALU_CYCLE_1)
	s_and_not1_b32 exec_lo, exec_lo, s0
	s_cbranch_execnz .LBB21_14
; %bb.15:
	s_or_b32 exec_lo, exec_lo, s0
	global_load_b32 v4, v[0:1], off offset:4
	v_perm_b32 v9, v9, v13, 0x5040100
	s_mov_b32 s0, 0
.LBB21_16:                              ; =>This Inner Loop Header: Depth=1
	s_waitcnt vmcnt(0)
	s_delay_alu instid0(VALU_DEP_1)
	v_pk_add_f16 v3, v9, v4
	global_atomic_cmpswap_b32 v3, v[0:1], v[3:4], off offset:4 glc
	s_waitcnt vmcnt(0)
	v_cmp_eq_u32_e32 vcc_lo, v4, v3
	v_mov_b32_e32 v4, v3
	s_or_b32 s0, vcc_lo, s0
	s_delay_alu instid0(SALU_CYCLE_1)
	s_and_not1_b32 exec_lo, exec_lo, s0
	s_cbranch_execnz .LBB21_16
; %bb.17:
	s_or_b32 exec_lo, exec_lo, s0
	v_add_nc_u32_e32 v0, s16, v2
	v_perm_b32 v4, v7, v8, 0x5040100
	s_mov_b32 s0, 0
	s_delay_alu instid0(VALU_DEP_2) | instskip(NEXT) | instid1(VALU_DEP_1)
	v_ashrrev_i32_e32 v1, 31, v0
	v_lshlrev_b64 v[0:1], 1, v[0:1]
	s_delay_alu instid0(VALU_DEP_1) | instskip(NEXT) | instid1(VALU_DEP_2)
	v_add_co_u32 v0, vcc_lo, s10, v0
	v_add_co_ci_u32_e32 v1, vcc_lo, s11, v1, vcc_lo
	global_load_b32 v3, v[0:1], off
.LBB21_18:                              ; =>This Inner Loop Header: Depth=1
	s_waitcnt vmcnt(0)
	v_pk_add_f16 v2, v4, v3
	global_atomic_cmpswap_b32 v2, v[0:1], v[2:3], off glc
	s_waitcnt vmcnt(0)
	v_cmp_eq_u32_e32 vcc_lo, v3, v2
	v_mov_b32_e32 v3, v2
	s_or_b32 s0, vcc_lo, s0
	s_delay_alu instid0(SALU_CYCLE_1)
	s_and_not1_b32 exec_lo, exec_lo, s0
	s_cbranch_execnz .LBB21_18
; %bb.19:
	s_or_b32 exec_lo, exec_lo, s0
	global_load_b32 v3, v[0:1], off offset:4
	v_perm_b32 v4, v5, v6, 0x5040100
	s_mov_b32 s0, 0
.LBB21_20:                              ; =>This Inner Loop Header: Depth=1
	s_waitcnt vmcnt(0)
	s_delay_alu instid0(VALU_DEP_1)
	v_pk_add_f16 v2, v4, v3
	global_atomic_cmpswap_b32 v2, v[0:1], v[2:3], off offset:4 glc
	s_waitcnt vmcnt(0)
	v_cmp_eq_u32_e32 vcc_lo, v3, v2
	v_mov_b32_e32 v3, v2
	s_or_b32 s0, vcc_lo, s0
	s_delay_alu instid0(SALU_CYCLE_1)
	s_and_not1_b32 exec_lo, exec_lo, s0
	s_cbranch_execnz .LBB21_20
.LBB21_21:
	s_endpgm
	.section	.rodata,"a",@progbits
	.p2align	6, 0x0
	.amdhsa_kernel _ZN4vllm4gptq33gemm_half_q_half_gptq_4bit_kernelILb1ELi2EEEvPK6__halfPKjS6_S4_PS2_iiiibPKi
		.amdhsa_group_segment_fixed_size 512
		.amdhsa_private_segment_fixed_size 0
		.amdhsa_kernarg_size 72
		.amdhsa_user_sgpr_count 13
		.amdhsa_user_sgpr_dispatch_ptr 0
		.amdhsa_user_sgpr_queue_ptr 0
		.amdhsa_user_sgpr_kernarg_segment_ptr 1
		.amdhsa_user_sgpr_dispatch_id 0
		.amdhsa_user_sgpr_private_segment_size 0
		.amdhsa_wavefront_size32 1
		.amdhsa_uses_dynamic_stack 0
		.amdhsa_enable_private_segment 0
		.amdhsa_system_sgpr_workgroup_id_x 1
		.amdhsa_system_sgpr_workgroup_id_y 1
		.amdhsa_system_sgpr_workgroup_id_z 1
		.amdhsa_system_sgpr_workgroup_info 0
		.amdhsa_system_vgpr_workitem_id 0
		.amdhsa_next_free_vgpr 51
		.amdhsa_next_free_sgpr 24
		.amdhsa_reserve_vcc 1
		.amdhsa_float_round_mode_32 0
		.amdhsa_float_round_mode_16_64 0
		.amdhsa_float_denorm_mode_32 3
		.amdhsa_float_denorm_mode_16_64 3
		.amdhsa_dx10_clamp 1
		.amdhsa_ieee_mode 1
		.amdhsa_fp16_overflow 0
		.amdhsa_workgroup_processor_mode 1
		.amdhsa_memory_ordered 1
		.amdhsa_forward_progress 0
		.amdhsa_shared_vgpr_count 0
		.amdhsa_exception_fp_ieee_invalid_op 0
		.amdhsa_exception_fp_denorm_src 0
		.amdhsa_exception_fp_ieee_div_zero 0
		.amdhsa_exception_fp_ieee_overflow 0
		.amdhsa_exception_fp_ieee_underflow 0
		.amdhsa_exception_fp_ieee_inexact 0
		.amdhsa_exception_int_div_zero 0
	.end_amdhsa_kernel
	.section	.text._ZN4vllm4gptq33gemm_half_q_half_gptq_4bit_kernelILb1ELi2EEEvPK6__halfPKjS6_S4_PS2_iiiibPKi,"axG",@progbits,_ZN4vllm4gptq33gemm_half_q_half_gptq_4bit_kernelILb1ELi2EEEvPK6__halfPKjS6_S4_PS2_iiiibPKi,comdat
.Lfunc_end21:
	.size	_ZN4vllm4gptq33gemm_half_q_half_gptq_4bit_kernelILb1ELi2EEEvPK6__halfPKjS6_S4_PS2_iiiibPKi, .Lfunc_end21-_ZN4vllm4gptq33gemm_half_q_half_gptq_4bit_kernelILb1ELi2EEEvPK6__halfPKjS6_S4_PS2_iiiibPKi
                                        ; -- End function
	.section	.AMDGPU.csdata,"",@progbits
; Kernel info:
; codeLenInByte = 5976
; NumSgprs: 26
; NumVgprs: 51
; ScratchSize: 0
; MemoryBound: 0
; FloatMode: 240
; IeeeMode: 1
; LDSByteSize: 512 bytes/workgroup (compile time only)
; SGPRBlocks: 3
; VGPRBlocks: 6
; NumSGPRsForWavesPerEU: 26
; NumVGPRsForWavesPerEU: 51
; Occupancy: 16
; WaveLimiterHint : 0
; COMPUTE_PGM_RSRC2:SCRATCH_EN: 0
; COMPUTE_PGM_RSRC2:USER_SGPR: 13
; COMPUTE_PGM_RSRC2:TRAP_HANDLER: 0
; COMPUTE_PGM_RSRC2:TGID_X_EN: 1
; COMPUTE_PGM_RSRC2:TGID_Y_EN: 1
; COMPUTE_PGM_RSRC2:TGID_Z_EN: 1
; COMPUTE_PGM_RSRC2:TIDIG_COMP_CNT: 0
	.section	.text._ZN4vllm4gptq33gemm_half_q_half_gptq_8bit_kernelILb1ELi2EEEvPK6__halfPKjS6_S4_PS2_iiiibPKi,"axG",@progbits,_ZN4vllm4gptq33gemm_half_q_half_gptq_8bit_kernelILb1ELi2EEEvPK6__halfPKjS6_S4_PS2_iiiibPKi,comdat
	.protected	_ZN4vllm4gptq33gemm_half_q_half_gptq_8bit_kernelILb1ELi2EEEvPK6__halfPKjS6_S4_PS2_iiiibPKi ; -- Begin function _ZN4vllm4gptq33gemm_half_q_half_gptq_8bit_kernelILb1ELi2EEEvPK6__halfPKjS6_S4_PS2_iiiibPKi
	.globl	_ZN4vllm4gptq33gemm_half_q_half_gptq_8bit_kernelILb1ELi2EEEvPK6__halfPKjS6_S4_PS2_iiiibPKi
	.p2align	8
	.type	_ZN4vllm4gptq33gemm_half_q_half_gptq_8bit_kernelILb1ELi2EEEvPK6__halfPKjS6_S4_PS2_iiiibPKi,@function
_ZN4vllm4gptq33gemm_half_q_half_gptq_8bit_kernelILb1ELi2EEEvPK6__halfPKjS6_S4_PS2_iiiibPKi: ; @_ZN4vllm4gptq33gemm_half_q_half_gptq_8bit_kernelILb1ELi2EEEvPK6__halfPKjS6_S4_PS2_iiiibPKi
; %bb.0:
	s_load_b128 s[16:19], s[0:1], 0x2c
	s_lshl_b32 s15, s15, 7
	s_load_b256 s[4:11], s[0:1], 0x8
	s_add_i32 s2, s15, 0x80
	s_lshl_b32 s12, s14, 1
	v_cvt_f64_u32_e32 v[1:2], s2
	s_mov_b32 s14, exec_lo
	s_waitcnt lgkmcnt(0)
	v_cvt_f64_i32_e32 v[3:4], s17
	s_delay_alu instid0(VALU_DEP_1) | instskip(NEXT) | instid1(VALU_DEP_1)
	v_min_f64 v[1:2], v[1:2], v[3:4]
	v_cvt_i32_f64_e32 v2, v[1:2]
	v_add_nc_u32_e32 v1, s15, v0
	s_delay_alu instid0(VALU_DEP_2) | instskip(NEXT) | instid1(VALU_DEP_2)
	v_readfirstlane_b32 s20, v2
	v_cmpx_lt_u32_e64 v1, v2
	s_cbranch_execz .LBB22_6
; %bb.1:
	s_clause 0x1
	s_load_b64 s[2:3], s[0:1], 0x40
	s_load_b64 s[0:1], s[0:1], 0x0
	v_mov_b32_e32 v2, 0
	s_delay_alu instid0(VALU_DEP_1) | instskip(SKIP_2) | instid1(VALU_DEP_2)
	v_lshlrev_b64 v[3:4], 2, v[1:2]
	v_dual_mov_b32 v6, v2 :: v_dual_mov_b32 v5, v1
	s_waitcnt lgkmcnt(0)
	v_add_co_u32 v3, vcc_lo, s2, v3
	s_delay_alu instid0(VALU_DEP_3)
	v_add_co_ci_u32_e32 v4, vcc_lo, s3, v4, vcc_lo
	s_cmp_lg_u64 s[2:3], 0
	s_cselect_b32 s21, -1, 0
	s_cmp_eq_u64 s[2:3], 0
	s_cbranch_scc1 .LBB22_3
; %bb.2:
	global_load_b32 v5, v[3:4], off
	s_waitcnt vmcnt(0)
	v_ashrrev_i32_e32 v6, 31, v5
.LBB22_3:
	s_mul_i32 s2, s12, s17
	s_delay_alu instid0(VALU_DEP_1) | instskip(SKIP_1) | instid1(SALU_CYCLE_1)
	v_lshlrev_b64 v[5:6], 1, v[5:6]
	s_ashr_i32 s3, s2, 31
	s_lshl_b64 s[22:23], s[2:3], 1
	s_delay_alu instid0(SALU_CYCLE_1) | instskip(SKIP_1) | instid1(VALU_DEP_1)
	s_add_u32 s3, s0, s22
	s_addc_u32 s22, s1, s23
	v_add_co_u32 v5, vcc_lo, s3, v5
	v_add_co_ci_u32_e32 v6, vcc_lo, s22, v6, vcc_lo
	s_and_not1_b32 vcc_lo, exec_lo, s21
	global_load_u16 v6, v[5:6], off
	v_lshlrev_b32_e32 v5, 1, v0
	s_waitcnt vmcnt(0)
	ds_store_b16 v5, v6
	s_cbranch_vccnz .LBB22_5
; %bb.4:
	global_load_b32 v1, v[3:4], off
	s_waitcnt vmcnt(0)
	v_ashrrev_i32_e32 v2, 31, v1
.LBB22_5:
	s_add_i32 s2, s2, s17
	s_delay_alu instid0(VALU_DEP_1) | instskip(SKIP_1) | instid1(SALU_CYCLE_1)
	v_lshlrev_b64 v[1:2], 1, v[1:2]
	s_ashr_i32 s3, s2, 31
	s_lshl_b64 s[2:3], s[2:3], 1
	s_delay_alu instid0(SALU_CYCLE_1) | instskip(SKIP_1) | instid1(VALU_DEP_1)
	s_add_u32 s0, s0, s2
	s_addc_u32 s1, s1, s3
	v_add_co_u32 v1, vcc_lo, s0, v1
	v_add_co_ci_u32_e32 v2, vcc_lo, s1, v2, vcc_lo
	global_load_u16 v1, v[1:2], off
	s_waitcnt vmcnt(0)
	ds_store_b16 v5, v1 offset:256
.LBB22_6:
	s_or_b32 exec_lo, exec_lo, s14
	v_lshlrev_b32_e32 v0, 2, v0
	s_mov_b32 s0, exec_lo
	s_delay_alu instid0(VALU_DEP_1) | instskip(NEXT) | instid1(VALU_DEP_1)
	v_lshl_add_u32 v12, s13, 9, v0
	v_cmpx_gt_i32_e64 s16, v12
	s_cbranch_execz .LBB22_20
; %bb.7:
	s_abs_i32 s0, s18
	v_dual_mov_b32 v36, 0 :: v_dual_mov_b32 v37, 0
	v_cvt_f32_u32_e32 v0, s0
	v_dual_mov_b32 v38, 0 :: v_dual_mov_b32 v33, 0
	v_dual_mov_b32 v32, 0 :: v_dual_mov_b32 v35, 0
	s_delay_alu instid0(VALU_DEP_3)
	v_rcp_iflag_f32_e32 v0, v0
	v_mov_b32_e32 v34, 0
	s_cmp_ge_i32 s15, s20
	s_mov_b32 s13, 0
	s_waitcnt lgkmcnt(0)
	s_barrier
	buffer_gl0_inv
	v_dual_mov_b32 v39, 0 :: v_dual_mul_f32 v0, 0x4f7ffffe, v0
	s_delay_alu instid0(VALU_DEP_1) | instskip(NEXT) | instid1(VALU_DEP_1)
	v_cvt_u32_f32_e32 v0, v0
	v_readfirstlane_b32 s1, v0
	s_cbranch_scc1 .LBB22_12
; %bb.8:
	s_sub_i32 s2, 0, s0
	s_abs_i32 s3, s17
	s_delay_alu instid0(VALU_DEP_1)
	s_mul_i32 s2, s2, s1
	s_ashr_i32 s14, s18, 31
	s_mul_hi_u32 s2, s1, s2
	v_ashrrev_i32_e32 v20, 2, v12
	s_add_i32 s1, s1, s2
	s_ashr_i32 s2, s17, 31
	s_mul_hi_u32 s1, s3, s1
	s_xor_b32 s2, s2, s14
	s_mul_i32 s17, s1, s0
	s_add_i32 s14, s1, 1
	s_sub_i32 s3, s3, s17
	v_ashrrev_i32_e32 v13, 31, v12
	s_sub_i32 s17, s3, s0
	s_cmp_ge_u32 s3, s0
	v_dual_mov_b32 v34, 0 :: v_dual_mov_b32 v39, 0
	s_cselect_b32 s1, s14, s1
	s_cselect_b32 s3, s17, s3
	s_add_i32 s14, s1, 1
	s_cmp_ge_u32 s3, s0
	v_mov_b32_e32 v32, 0
	s_cselect_b32 s0, s14, s1
	v_mov_b32_e32 v38, 0
	s_xor_b32 s0, s0, s2
	v_mov_b32_e32 v36, 0
	s_sub_i32 s14, s0, s2
	s_bitcmp1_b32 s19, 0
	v_cvt_f32_u32_e32 v0, s14
	s_cselect_b32 s1, -1, 0
	s_sub_i32 s2, 0, s14
	s_xor_b32 s3, s1, -1
	v_mov_b32_e32 v35, 0
	v_rcp_iflag_f32_e32 v0, v0
	v_mov_b32_e32 v33, 0
	s_waitcnt_depctr 0xfff
	v_dual_mov_b32 v37, 0 :: v_dual_mul_f32 v0, 0x4f7ffffe, v0
	s_delay_alu instid0(VALU_DEP_1) | instskip(NEXT) | instid1(VALU_DEP_1)
	v_cvt_u32_f32_e32 v0, v0
	v_readfirstlane_b32 s0, v0
	s_delay_alu instid0(VALU_DEP_1) | instskip(NEXT) | instid1(SALU_CYCLE_1)
	s_mul_i32 s2, s2, s0
	s_mul_hi_u32 s2, s0, s2
	s_delay_alu instid0(SALU_CYCLE_1) | instskip(NEXT) | instid1(SALU_CYCLE_1)
	s_add_i32 s0, s0, s2
	s_mul_hi_u32 s0, s15, s0
	s_delay_alu instid0(SALU_CYCLE_1) | instskip(NEXT) | instid1(SALU_CYCLE_1)
	s_mul_i32 s2, s0, s14
	s_sub_i32 s1, s15, s2
	s_add_i32 s2, s0, 1
	s_sub_i32 s17, s1, s14
	s_cmp_ge_u32 s1, s14
	s_cselect_b32 s0, s2, s0
	s_cselect_b32 s1, s17, s1
	s_add_i32 s2, s0, 1
	s_cmp_ge_u32 s1, s14
	s_cselect_b32 s18, s2, s0
	s_delay_alu instid0(SALU_CYCLE_1) | instskip(NEXT) | instid1(SALU_CYCLE_1)
	s_mul_i32 s0, s18, s16
	s_ashr_i32 s1, s0, 31
	v_add_nc_u32_e32 v0, s0, v12
	s_lshr_b32 s1, s1, 30
	s_delay_alu instid0(SALU_CYCLE_1) | instskip(NEXT) | instid1(SALU_CYCLE_1)
	s_add_i32 s0, s0, s1
	s_ashr_i32 s0, s0, 2
	s_delay_alu instid0(VALU_DEP_1) | instskip(SKIP_2) | instid1(SALU_CYCLE_1)
	v_ashrrev_i32_e32 v1, 31, v0
	v_add_nc_u32_e32 v2, s0, v20
	s_lshr_b32 s0, s15, 2
	s_mul_i32 s0, s0, s16
	s_delay_alu instid0(VALU_DEP_2) | instskip(NEXT) | instid1(VALU_DEP_2)
	v_lshlrev_b64 v[0:1], 1, v[0:1]
	v_ashrrev_i32_e32 v3, 31, v2
	s_ashr_i32 s1, s0, 31
	s_delay_alu instid0(SALU_CYCLE_1) | instskip(NEXT) | instid1(VALU_DEP_1)
	s_lshl_b64 s[0:1], s[0:1], 2
	v_lshlrev_b64 v[2:3], 2, v[2:3]
	s_delay_alu instid0(VALU_DEP_3) | instskip(SKIP_2) | instid1(VALU_DEP_3)
	v_add_co_u32 v0, vcc_lo, s8, v0
	v_add_co_ci_u32_e32 v1, vcc_lo, s9, v1, vcc_lo
	s_add_u32 s0, s4, s0
	v_add_co_u32 v2, vcc_lo, s6, v2
	s_delay_alu instid0(VALU_DEP_4)
	v_add_co_ci_u32_e32 v3, vcc_lo, s7, v3, vcc_lo
	s_addc_u32 s1, s5, s1
	global_load_b64 v[14:15], v[0:1], off
	global_load_b32 v2, v[2:3], off
	v_lshlrev_b64 v[0:1], 2, v[12:13]
	v_cndmask_b32_e64 v13, 0, 1, s3
	s_ashr_i32 s17, s16, 31
	s_add_i32 s4, s14, s15
	s_lshl_b64 s[2:3], s[16:17], 2
	s_delay_alu instid0(VALU_DEP_2)
	v_add_co_u32 v16, vcc_lo, s0, v0
	v_add_co_ci_u32_e32 v17, vcc_lo, s1, v1, vcc_lo
	s_lshl_b64 s[0:1], s[16:17], 5
	s_waitcnt vmcnt(1)
	v_lshrrev_b32_e32 v24, 16, v15
	v_lshrrev_b32_e32 v21, 16, v14
	s_waitcnt vmcnt(0)
	v_and_b32_e32 v22, 0xff, v2
	v_bfe_u32 v23, v2, 8, 8
	v_bfe_u32 v25, v2, 16, 8
	v_lshrrev_b32_e32 v26, 24, v2
	s_branch .LBB22_10
.LBB22_9:                               ;   in Loop: Header=BB22_10 Depth=1
	global_load_b128 v[0:3], v[16:17], off
	v_add_co_u32 v18, vcc_lo, v16, s2
	v_add_co_ci_u32_e32 v19, vcc_lo, s3, v17, vcc_lo
	v_add_nc_u32_e32 v31, v22, v13
	v_dual_mov_b32 v27, s13 :: v_dual_add_nc_u32 v30, v23, v13
	global_load_b128 v[4:7], v[18:19], off
	v_add_nc_u32_e32 v29, v25, v13
	v_add_nc_u32_e32 v28, v26, v13
	v_add_co_u32 v18, vcc_lo, v18, s2
	v_add_co_ci_u32_e32 v19, vcc_lo, s3, v19, vcc_lo
	s_add_i32 s15, s15, 32
	s_add_i32 s13, s13, 64
	s_cmp_ge_i32 s15, s20
	s_waitcnt vmcnt(1)
	v_and_b32_e32 v8, 0xff, v0
	s_delay_alu instid0(VALU_DEP_1) | instskip(NEXT) | instid1(VALU_DEP_1)
	v_sub_nc_u32_e32 v8, v8, v31
	v_cvt_f32_i32_e32 v8, v8
	s_delay_alu instid0(VALU_DEP_1) | instskip(SKIP_1) | instid1(VALU_DEP_1)
	v_cvt_f16_f32_e32 v46, v8
	v_bfe_u32 v8, v0, 8, 8
	v_sub_nc_u32_e32 v8, v8, v31
	s_delay_alu instid0(VALU_DEP_1) | instskip(NEXT) | instid1(VALU_DEP_1)
	v_cvt_f32_i32_e32 v8, v8
	v_cvt_f16_f32_e32 v47, v8
	v_bfe_u32 v8, v0, 16, 8
	v_lshrrev_b32_e32 v0, 24, v0
	s_delay_alu instid0(VALU_DEP_2) | instskip(NEXT) | instid1(VALU_DEP_2)
	v_sub_nc_u32_e32 v8, v8, v31
	v_sub_nc_u32_e32 v0, v0, v31
	s_delay_alu instid0(VALU_DEP_2) | instskip(NEXT) | instid1(VALU_DEP_2)
	v_cvt_f32_i32_e32 v8, v8
	v_cvt_f32_i32_e32 v0, v0
	s_delay_alu instid0(VALU_DEP_2) | instskip(NEXT) | instid1(VALU_DEP_2)
	v_cvt_f16_f32_e32 v48, v8
	v_cvt_f16_f32_e32 v49, v0
	s_waitcnt vmcnt(0)
	v_and_b32_e32 v0, 0xff, v4
	s_delay_alu instid0(VALU_DEP_1) | instskip(NEXT) | instid1(VALU_DEP_1)
	v_sub_nc_u32_e32 v0, v0, v31
	v_cvt_f32_i32_e32 v0, v0
	s_delay_alu instid0(VALU_DEP_1) | instskip(SKIP_1) | instid1(VALU_DEP_1)
	v_cvt_f16_f32_e32 v50, v0
	v_bfe_u32 v0, v4, 8, 8
	v_sub_nc_u32_e32 v0, v0, v31
	s_delay_alu instid0(VALU_DEP_1) | instskip(NEXT) | instid1(VALU_DEP_1)
	v_cvt_f32_i32_e32 v0, v0
	v_cvt_f16_f32_e32 v51, v0
	v_bfe_u32 v0, v4, 16, 8
	s_delay_alu instid0(VALU_DEP_1) | instskip(NEXT) | instid1(VALU_DEP_1)
	v_sub_nc_u32_e32 v0, v0, v31
	v_cvt_f32_i32_e32 v0, v0
	s_delay_alu instid0(VALU_DEP_1) | instskip(SKIP_1) | instid1(VALU_DEP_1)
	v_cvt_f16_f32_e32 v52, v0
	v_lshrrev_b32_e32 v0, 24, v4
	v_sub_nc_u32_e32 v0, v0, v31
	s_delay_alu instid0(VALU_DEP_1) | instskip(NEXT) | instid1(VALU_DEP_1)
	v_cvt_f32_i32_e32 v0, v0
	v_cvt_f16_f32_e32 v53, v0
	v_and_b32_e32 v0, 0xff, v1
	s_delay_alu instid0(VALU_DEP_1) | instskip(NEXT) | instid1(VALU_DEP_1)
	v_sub_nc_u32_e32 v0, v0, v30
	v_cvt_f32_i32_e32 v0, v0
	s_delay_alu instid0(VALU_DEP_1) | instskip(SKIP_1) | instid1(VALU_DEP_1)
	v_cvt_f16_f32_e32 v54, v0
	v_bfe_u32 v0, v1, 8, 8
	v_sub_nc_u32_e32 v0, v0, v30
	s_delay_alu instid0(VALU_DEP_1) | instskip(NEXT) | instid1(VALU_DEP_1)
	v_cvt_f32_i32_e32 v0, v0
	v_cvt_f16_f32_e32 v55, v0
	v_bfe_u32 v0, v1, 16, 8
	s_delay_alu instid0(VALU_DEP_1) | instskip(NEXT) | instid1(VALU_DEP_1)
	v_sub_nc_u32_e32 v0, v0, v30
	v_cvt_f32_i32_e32 v0, v0
	s_delay_alu instid0(VALU_DEP_1) | instskip(SKIP_1) | instid1(VALU_DEP_1)
	v_cvt_f16_f32_e32 v56, v0
	v_lshrrev_b32_e32 v0, 24, v1
	v_sub_nc_u32_e32 v0, v0, v30
	s_delay_alu instid0(VALU_DEP_1) | instskip(NEXT) | instid1(VALU_DEP_1)
	v_cvt_f32_i32_e32 v0, v0
	v_cvt_f16_f32_e32 v57, v0
	;; [unrolled: 22-line block ×7, first 2 shown]
	ds_load_b128 v[41:44], v27
	ds_load_b128 v[8:11], v27 offset:16
	ds_load_b128 v[4:7], v27 offset:32
	;; [unrolled: 1-line block ×3, first 2 shown]
	s_waitcnt lgkmcnt(3)
	v_fma_mix_f32 v40, v46, v41, 0 op_sel_hi:[1,1,0]
	s_delay_alu instid0(VALU_DEP_1) | instskip(NEXT) | instid1(VALU_DEP_1)
	v_fma_mix_f32 v40, v47, v41, v40 op_sel:[0,1,0] op_sel_hi:[1,1,0]
	v_fma_mix_f32 v40, v48, v42, v40 op_sel_hi:[1,1,0]
	s_delay_alu instid0(VALU_DEP_1) | instskip(NEXT) | instid1(VALU_DEP_1)
	v_fma_mix_f32 v40, v49, v42, v40 op_sel:[0,1,0] op_sel_hi:[1,1,0]
	;; [unrolled: 3-line block ×4, first 2 shown]
	v_fma_mixlo_f16 v40, v40, v14, 0 op_sel_hi:[0,1,0]
	s_delay_alu instid0(VALU_DEP_1) | instskip(SKIP_1) | instid1(VALU_DEP_1)
	v_add_f16_e32 v34, v34, v40
	v_fma_mix_f32 v40, v54, v41, 0 op_sel_hi:[1,1,0]
	v_fma_mix_f32 v40, v55, v41, v40 op_sel:[0,1,0] op_sel_hi:[1,1,0]
	s_delay_alu instid0(VALU_DEP_1) | instskip(NEXT) | instid1(VALU_DEP_1)
	v_fma_mix_f32 v40, v56, v42, v40 op_sel_hi:[1,1,0]
	v_fma_mix_f32 v40, v57, v42, v40 op_sel:[0,1,0] op_sel_hi:[1,1,0]
	s_delay_alu instid0(VALU_DEP_1) | instskip(NEXT) | instid1(VALU_DEP_1)
	v_fma_mix_f32 v40, v58, v43, v40 op_sel_hi:[1,1,0]
	v_fma_mix_f32 v40, v59, v43, v40 op_sel:[0,1,0] op_sel_hi:[1,1,0]
	s_delay_alu instid0(VALU_DEP_1) | instskip(NEXT) | instid1(VALU_DEP_1)
	v_fma_mix_f32 v40, v60, v44, v40 op_sel_hi:[1,1,0]
	v_fma_mix_f32 v40, v61, v44, v40 op_sel:[0,1,0] op_sel_hi:[1,1,0]
	s_delay_alu instid0(VALU_DEP_1) | instskip(NEXT) | instid1(VALU_DEP_1)
	v_fma_mixlo_f16 v40, v40, v21, 0 op_sel_hi:[0,1,0]
	v_add_f16_e32 v35, v35, v40
	v_fma_mix_f32 v40, v62, v41, 0 op_sel_hi:[1,1,0]
	s_delay_alu instid0(VALU_DEP_1) | instskip(NEXT) | instid1(VALU_DEP_1)
	v_fma_mix_f32 v40, v63, v41, v40 op_sel:[0,1,0] op_sel_hi:[1,1,0]
	v_fma_mix_f32 v40, v64, v42, v40 op_sel_hi:[1,1,0]
	s_delay_alu instid0(VALU_DEP_1) | instskip(NEXT) | instid1(VALU_DEP_1)
	v_fma_mix_f32 v40, v65, v42, v40 op_sel:[0,1,0] op_sel_hi:[1,1,0]
	;; [unrolled: 3-line block ×4, first 2 shown]
	v_fma_mixlo_f16 v40, v40, v15, 0 op_sel_hi:[0,1,0]
	s_delay_alu instid0(VALU_DEP_1) | instskip(SKIP_1) | instid1(VALU_DEP_1)
	v_add_f16_e32 v40, v33, v40
	v_fma_mix_f32 v33, v70, v41, 0 op_sel_hi:[1,1,0]
	v_fma_mix_f32 v33, v71, v41, v33 op_sel:[0,1,0] op_sel_hi:[1,1,0]
	s_delay_alu instid0(VALU_DEP_1) | instskip(NEXT) | instid1(VALU_DEP_1)
	v_fma_mix_f32 v33, v72, v42, v33 op_sel_hi:[1,1,0]
	v_fma_mix_f32 v33, v73, v42, v33 op_sel:[0,1,0] op_sel_hi:[1,1,0]
	s_delay_alu instid0(VALU_DEP_1) | instskip(NEXT) | instid1(VALU_DEP_1)
	;; [unrolled: 3-line block ×3, first 2 shown]
	v_fma_mix_f32 v33, v76, v44, v33 op_sel_hi:[1,1,0]
	v_fma_mix_f32 v33, v77, v44, v33 op_sel:[0,1,0] op_sel_hi:[1,1,0]
	ds_load_b128 v[42:45], v27 offset:256
	v_fma_mixlo_f16 v33, v33, v24, 0 op_sel_hi:[0,1,0]
	s_delay_alu instid0(VALU_DEP_1) | instskip(SKIP_2) | instid1(VALU_DEP_1)
	v_add_f16_e32 v41, v32, v33
	s_waitcnt lgkmcnt(0)
	v_fma_mix_f32 v32, v46, v42, 0 op_sel_hi:[1,1,0]
	v_fma_mix_f32 v32, v47, v42, v32 op_sel:[0,1,0] op_sel_hi:[1,1,0]
	s_delay_alu instid0(VALU_DEP_1) | instskip(NEXT) | instid1(VALU_DEP_1)
	v_fma_mix_f32 v32, v48, v43, v32 op_sel_hi:[1,1,0]
	v_fma_mix_f32 v32, v49, v43, v32 op_sel:[0,1,0] op_sel_hi:[1,1,0]
	s_delay_alu instid0(VALU_DEP_1) | instskip(NEXT) | instid1(VALU_DEP_1)
	;; [unrolled: 3-line block ×4, first 2 shown]
	v_fma_mixlo_f16 v32, v32, v14, 0 op_sel_hi:[0,1,0]
	v_add_f16_e32 v37, v37, v32
	v_fma_mix_f32 v32, v54, v42, 0 op_sel_hi:[1,1,0]
	s_delay_alu instid0(VALU_DEP_1) | instskip(NEXT) | instid1(VALU_DEP_1)
	v_fma_mix_f32 v32, v55, v42, v32 op_sel:[0,1,0] op_sel_hi:[1,1,0]
	v_fma_mix_f32 v32, v56, v43, v32 op_sel_hi:[1,1,0]
	s_delay_alu instid0(VALU_DEP_1) | instskip(NEXT) | instid1(VALU_DEP_1)
	v_fma_mix_f32 v32, v57, v43, v32 op_sel:[0,1,0] op_sel_hi:[1,1,0]
	;; [unrolled: 3-line block ×4, first 2 shown]
	v_fma_mixlo_f16 v32, v32, v21, 0 op_sel_hi:[0,1,0]
	s_delay_alu instid0(VALU_DEP_1) | instskip(SKIP_1) | instid1(VALU_DEP_1)
	v_add_f16_e32 v38, v38, v32
	v_fma_mix_f32 v32, v62, v42, 0 op_sel_hi:[1,1,0]
	v_fma_mix_f32 v32, v63, v42, v32 op_sel:[0,1,0] op_sel_hi:[1,1,0]
	s_delay_alu instid0(VALU_DEP_1) | instskip(NEXT) | instid1(VALU_DEP_1)
	v_fma_mix_f32 v32, v64, v43, v32 op_sel_hi:[1,1,0]
	v_fma_mix_f32 v32, v65, v43, v32 op_sel:[0,1,0] op_sel_hi:[1,1,0]
	s_delay_alu instid0(VALU_DEP_1) | instskip(NEXT) | instid1(VALU_DEP_1)
	;; [unrolled: 3-line block ×4, first 2 shown]
	v_fma_mixlo_f16 v32, v32, v15, 0 op_sel_hi:[0,1,0]
	v_add_f16_e32 v36, v36, v32
	v_fma_mix_f32 v32, v70, v42, 0 op_sel_hi:[1,1,0]
	s_delay_alu instid0(VALU_DEP_1) | instskip(NEXT) | instid1(VALU_DEP_1)
	v_fma_mix_f32 v32, v71, v42, v32 op_sel:[0,1,0] op_sel_hi:[1,1,0]
	v_fma_mix_f32 v32, v72, v43, v32 op_sel_hi:[1,1,0]
	s_delay_alu instid0(VALU_DEP_1) | instskip(NEXT) | instid1(VALU_DEP_1)
	v_fma_mix_f32 v32, v73, v43, v32 op_sel:[0,1,0] op_sel_hi:[1,1,0]
	;; [unrolled: 3-line block ×3, first 2 shown]
	v_fma_mix_f32 v32, v76, v45, v32 op_sel_hi:[1,1,0]
	s_delay_alu instid0(VALU_DEP_1)
	v_fma_mix_f32 v32, v77, v45, v32 op_sel:[0,1,0] op_sel_hi:[1,1,0]
	global_load_b128 v[42:45], v[18:19], off
	v_add_co_u32 v18, vcc_lo, v18, s2
	v_add_co_ci_u32_e32 v19, vcc_lo, s3, v19, vcc_lo
	v_fma_mixlo_f16 v32, v32, v24, 0 op_sel_hi:[0,1,0]
	global_load_b128 v[46:49], v[18:19], off
	v_add_f16_e32 v39, v39, v32
	s_waitcnt vmcnt(1)
	v_and_b32_e32 v32, 0xff, v42
	s_delay_alu instid0(VALU_DEP_1) | instskip(NEXT) | instid1(VALU_DEP_1)
	v_sub_nc_u32_e32 v32, v32, v31
	v_cvt_f32_i32_e32 v32, v32
	s_delay_alu instid0(VALU_DEP_1) | instskip(SKIP_1) | instid1(VALU_DEP_1)
	v_cvt_f16_f32_e32 v50, v32
	v_bfe_u32 v32, v42, 8, 8
	v_sub_nc_u32_e32 v32, v32, v31
	s_delay_alu instid0(VALU_DEP_1) | instskip(NEXT) | instid1(VALU_DEP_1)
	v_cvt_f32_i32_e32 v32, v32
	v_cvt_f16_f32_e32 v51, v32
	v_bfe_u32 v32, v42, 16, 8
	s_delay_alu instid0(VALU_DEP_1) | instskip(NEXT) | instid1(VALU_DEP_1)
	v_sub_nc_u32_e32 v32, v32, v31
	v_cvt_f32_i32_e32 v32, v32
	s_delay_alu instid0(VALU_DEP_1) | instskip(SKIP_1) | instid1(VALU_DEP_1)
	v_cvt_f16_f32_e32 v52, v32
	v_lshrrev_b32_e32 v32, 24, v42
	v_sub_nc_u32_e32 v32, v32, v31
	s_delay_alu instid0(VALU_DEP_1) | instskip(NEXT) | instid1(VALU_DEP_1)
	v_cvt_f32_i32_e32 v32, v32
	v_cvt_f16_f32_e32 v53, v32
	s_waitcnt vmcnt(0)
	v_and_b32_e32 v32, 0xff, v46
	s_delay_alu instid0(VALU_DEP_1) | instskip(NEXT) | instid1(VALU_DEP_1)
	v_sub_nc_u32_e32 v32, v32, v31
	v_cvt_f32_i32_e32 v32, v32
	s_delay_alu instid0(VALU_DEP_1) | instskip(SKIP_1) | instid1(VALU_DEP_1)
	v_cvt_f16_f32_e32 v54, v32
	v_bfe_u32 v32, v46, 8, 8
	v_sub_nc_u32_e32 v32, v32, v31
	s_delay_alu instid0(VALU_DEP_1) | instskip(NEXT) | instid1(VALU_DEP_1)
	v_cvt_f32_i32_e32 v32, v32
	v_cvt_f16_f32_e32 v55, v32
	v_bfe_u32 v32, v46, 16, 8
	s_delay_alu instid0(VALU_DEP_1) | instskip(NEXT) | instid1(VALU_DEP_1)
	v_sub_nc_u32_e32 v32, v32, v31
	v_cvt_f32_i32_e32 v32, v32
	s_delay_alu instid0(VALU_DEP_1) | instskip(SKIP_1) | instid1(VALU_DEP_1)
	v_cvt_f16_f32_e32 v56, v32
	v_lshrrev_b32_e32 v32, 24, v46
	v_sub_nc_u32_e32 v32, v32, v31
	s_delay_alu instid0(VALU_DEP_1) | instskip(NEXT) | instid1(VALU_DEP_1)
	v_cvt_f32_i32_e32 v32, v32
	v_cvt_f16_f32_e32 v46, v32
	v_and_b32_e32 v32, 0xff, v43
	s_delay_alu instid0(VALU_DEP_1) | instskip(NEXT) | instid1(VALU_DEP_1)
	v_sub_nc_u32_e32 v32, v32, v30
	v_cvt_f32_i32_e32 v32, v32
	s_delay_alu instid0(VALU_DEP_1) | instskip(SKIP_1) | instid1(VALU_DEP_2)
	v_cvt_f16_f32_e32 v57, v32
	v_bfe_u32 v32, v43, 8, 8
	v_fma_mix_f32 v33, v57, v8, 0 op_sel_hi:[1,1,0]
	s_delay_alu instid0(VALU_DEP_2) | instskip(NEXT) | instid1(VALU_DEP_1)
	v_sub_nc_u32_e32 v32, v32, v30
	v_cvt_f32_i32_e32 v32, v32
	s_delay_alu instid0(VALU_DEP_1) | instskip(SKIP_1) | instid1(VALU_DEP_2)
	v_cvt_f16_f32_e32 v58, v32
	v_bfe_u32 v32, v43, 16, 8
	v_fma_mix_f32 v33, v58, v8, v33 op_sel:[0,1,0] op_sel_hi:[1,1,0]
	s_delay_alu instid0(VALU_DEP_2) | instskip(NEXT) | instid1(VALU_DEP_1)
	v_sub_nc_u32_e32 v32, v32, v30
	v_cvt_f32_i32_e32 v32, v32
	s_delay_alu instid0(VALU_DEP_1) | instskip(SKIP_1) | instid1(VALU_DEP_2)
	v_cvt_f16_f32_e32 v59, v32
	v_lshrrev_b32_e32 v32, 24, v43
	v_fma_mix_f32 v33, v59, v9, v33 op_sel_hi:[1,1,0]
	s_delay_alu instid0(VALU_DEP_2) | instskip(NEXT) | instid1(VALU_DEP_1)
	v_sub_nc_u32_e32 v32, v32, v30
	v_cvt_f32_i32_e32 v32, v32
	s_delay_alu instid0(VALU_DEP_1) | instskip(SKIP_1) | instid1(VALU_DEP_2)
	v_cvt_f16_f32_e32 v60, v32
	v_and_b32_e32 v32, 0xff, v47
	v_fma_mix_f32 v33, v60, v9, v33 op_sel:[0,1,0] op_sel_hi:[1,1,0]
	s_delay_alu instid0(VALU_DEP_2) | instskip(NEXT) | instid1(VALU_DEP_1)
	v_sub_nc_u32_e32 v32, v32, v30
	v_cvt_f32_i32_e32 v32, v32
	s_delay_alu instid0(VALU_DEP_1) | instskip(SKIP_1) | instid1(VALU_DEP_2)
	v_cvt_f16_f32_e32 v61, v32
	v_bfe_u32 v32, v47, 8, 8
	v_fma_mix_f32 v33, v61, v10, v33 op_sel_hi:[1,1,0]
	s_delay_alu instid0(VALU_DEP_2) | instskip(NEXT) | instid1(VALU_DEP_1)
	v_sub_nc_u32_e32 v32, v32, v30
	v_cvt_f32_i32_e32 v32, v32
	s_delay_alu instid0(VALU_DEP_1) | instskip(SKIP_1) | instid1(VALU_DEP_2)
	v_cvt_f16_f32_e32 v62, v32
	v_bfe_u32 v32, v47, 16, 8
	v_fma_mix_f32 v33, v62, v10, v33 op_sel:[0,1,0] op_sel_hi:[1,1,0]
	s_delay_alu instid0(VALU_DEP_2) | instskip(NEXT) | instid1(VALU_DEP_1)
	v_sub_nc_u32_e32 v32, v32, v30
	v_cvt_f32_i32_e32 v32, v32
	s_delay_alu instid0(VALU_DEP_1) | instskip(SKIP_1) | instid1(VALU_DEP_2)
	v_cvt_f16_f32_e32 v63, v32
	v_lshrrev_b32_e32 v32, 24, v47
	v_fma_mix_f32 v33, v63, v11, v33 op_sel_hi:[1,1,0]
	s_delay_alu instid0(VALU_DEP_2) | instskip(NEXT) | instid1(VALU_DEP_1)
	v_sub_nc_u32_e32 v32, v32, v30
	v_cvt_f32_i32_e32 v32, v32
	s_delay_alu instid0(VALU_DEP_1) | instskip(SKIP_1) | instid1(VALU_DEP_2)
	v_cvt_f16_f32_e32 v47, v32
	v_and_b32_e32 v32, 0xff, v44
	v_fma_mix_f32 v33, v47, v11, v33 op_sel:[0,1,0] op_sel_hi:[1,1,0]
	s_delay_alu instid0(VALU_DEP_2) | instskip(NEXT) | instid1(VALU_DEP_2)
	v_sub_nc_u32_e32 v32, v32, v29
	v_fma_mixlo_f16 v33, v33, v21, 0 op_sel_hi:[0,1,0]
	s_delay_alu instid0(VALU_DEP_2) | instskip(NEXT) | instid1(VALU_DEP_2)
	v_cvt_f32_i32_e32 v32, v32
	v_add_f16_e32 v33, v35, v33
	s_delay_alu instid0(VALU_DEP_2) | instskip(SKIP_1) | instid1(VALU_DEP_1)
	v_cvt_f16_f32_e32 v64, v32
	v_bfe_u32 v32, v44, 8, 8
	v_sub_nc_u32_e32 v32, v32, v29
	s_delay_alu instid0(VALU_DEP_1) | instskip(NEXT) | instid1(VALU_DEP_1)
	v_cvt_f32_i32_e32 v32, v32
	v_cvt_f16_f32_e32 v65, v32
	v_bfe_u32 v32, v44, 16, 8
	s_delay_alu instid0(VALU_DEP_1) | instskip(NEXT) | instid1(VALU_DEP_1)
	v_sub_nc_u32_e32 v32, v32, v29
	v_cvt_f32_i32_e32 v32, v32
	s_delay_alu instid0(VALU_DEP_1) | instskip(SKIP_1) | instid1(VALU_DEP_1)
	v_cvt_f16_f32_e32 v66, v32
	v_lshrrev_b32_e32 v32, 24, v44
	v_sub_nc_u32_e32 v32, v32, v29
	s_delay_alu instid0(VALU_DEP_1) | instskip(NEXT) | instid1(VALU_DEP_1)
	v_cvt_f32_i32_e32 v32, v32
	v_cvt_f16_f32_e32 v44, v32
	v_and_b32_e32 v32, 0xff, v48
	s_delay_alu instid0(VALU_DEP_1) | instskip(NEXT) | instid1(VALU_DEP_1)
	v_sub_nc_u32_e32 v32, v32, v29
	v_cvt_f32_i32_e32 v32, v32
	s_delay_alu instid0(VALU_DEP_1) | instskip(SKIP_1) | instid1(VALU_DEP_1)
	v_cvt_f16_f32_e32 v67, v32
	v_bfe_u32 v32, v48, 8, 8
	v_sub_nc_u32_e32 v32, v32, v29
	s_delay_alu instid0(VALU_DEP_1) | instskip(NEXT) | instid1(VALU_DEP_1)
	v_cvt_f32_i32_e32 v32, v32
	v_cvt_f16_f32_e32 v68, v32
	v_bfe_u32 v32, v48, 16, 8
	s_delay_alu instid0(VALU_DEP_1) | instskip(NEXT) | instid1(VALU_DEP_1)
	v_sub_nc_u32_e32 v32, v32, v29
	v_cvt_f32_i32_e32 v32, v32
	s_delay_alu instid0(VALU_DEP_1) | instskip(SKIP_1) | instid1(VALU_DEP_1)
	v_cvt_f16_f32_e32 v69, v32
	v_lshrrev_b32_e32 v32, 24, v48
	v_sub_nc_u32_e32 v32, v32, v29
	s_delay_alu instid0(VALU_DEP_1) | instskip(NEXT) | instid1(VALU_DEP_1)
	v_cvt_f32_i32_e32 v32, v32
	v_cvt_f16_f32_e32 v48, v32
	v_and_b32_e32 v32, 0xff, v45
	s_delay_alu instid0(VALU_DEP_1) | instskip(NEXT) | instid1(VALU_DEP_1)
	v_sub_nc_u32_e32 v32, v32, v28
	v_cvt_f32_i32_e32 v32, v32
	s_delay_alu instid0(VALU_DEP_1) | instskip(SKIP_1) | instid1(VALU_DEP_2)
	v_cvt_f16_f32_e32 v70, v32
	v_bfe_u32 v32, v45, 8, 8
	v_fma_mix_f32 v35, v70, v8, 0 op_sel_hi:[1,1,0]
	s_delay_alu instid0(VALU_DEP_2) | instskip(NEXT) | instid1(VALU_DEP_1)
	v_sub_nc_u32_e32 v32, v32, v28
	v_cvt_f32_i32_e32 v32, v32
	s_delay_alu instid0(VALU_DEP_1) | instskip(SKIP_1) | instid1(VALU_DEP_1)
	v_cvt_f16_f32_e32 v71, v32
	v_bfe_u32 v32, v45, 16, 8
	v_sub_nc_u32_e32 v32, v32, v28
	s_delay_alu instid0(VALU_DEP_1) | instskip(NEXT) | instid1(VALU_DEP_1)
	v_cvt_f32_i32_e32 v32, v32
	v_cvt_f16_f32_e32 v72, v32
	v_lshrrev_b32_e32 v32, 24, v45
	s_delay_alu instid0(VALU_DEP_1) | instskip(NEXT) | instid1(VALU_DEP_1)
	v_sub_nc_u32_e32 v32, v32, v28
	v_cvt_f32_i32_e32 v32, v32
	s_delay_alu instid0(VALU_DEP_1) | instskip(SKIP_1) | instid1(VALU_DEP_1)
	v_cvt_f16_f32_e32 v45, v32
	v_and_b32_e32 v32, 0xff, v49
	v_sub_nc_u32_e32 v32, v32, v28
	s_delay_alu instid0(VALU_DEP_1) | instskip(NEXT) | instid1(VALU_DEP_1)
	v_cvt_f32_i32_e32 v32, v32
	v_cvt_f16_f32_e32 v73, v32
	v_bfe_u32 v32, v49, 8, 8
	s_delay_alu instid0(VALU_DEP_1) | instskip(NEXT) | instid1(VALU_DEP_1)
	v_sub_nc_u32_e32 v32, v32, v28
	v_cvt_f32_i32_e32 v32, v32
	s_delay_alu instid0(VALU_DEP_1) | instskip(SKIP_1) | instid1(VALU_DEP_1)
	v_cvt_f16_f32_e32 v74, v32
	v_bfe_u32 v32, v49, 16, 8
	v_sub_nc_u32_e32 v32, v32, v28
	s_delay_alu instid0(VALU_DEP_1) | instskip(NEXT) | instid1(VALU_DEP_1)
	v_cvt_f32_i32_e32 v32, v32
	v_cvt_f16_f32_e32 v75, v32
	v_lshrrev_b32_e32 v32, 24, v49
	s_delay_alu instid0(VALU_DEP_1) | instskip(NEXT) | instid1(VALU_DEP_1)
	v_sub_nc_u32_e32 v32, v32, v28
	v_cvt_f32_i32_e32 v32, v32
	s_delay_alu instid0(VALU_DEP_1) | instskip(SKIP_1) | instid1(VALU_DEP_1)
	v_cvt_f16_f32_e32 v49, v32
	v_fma_mix_f32 v32, v50, v8, 0 op_sel_hi:[1,1,0]
	v_fma_mix_f32 v32, v51, v8, v32 op_sel:[0,1,0] op_sel_hi:[1,1,0]
	s_delay_alu instid0(VALU_DEP_1) | instskip(NEXT) | instid1(VALU_DEP_1)
	v_fma_mix_f32 v32, v52, v9, v32 op_sel_hi:[1,1,0]
	v_fma_mix_f32 v32, v53, v9, v32 op_sel:[0,1,0] op_sel_hi:[1,1,0]
	s_delay_alu instid0(VALU_DEP_1) | instskip(NEXT) | instid1(VALU_DEP_1)
	;; [unrolled: 3-line block ×4, first 2 shown]
	v_fma_mixlo_f16 v32, v32, v14, 0 op_sel_hi:[0,1,0]
	v_add_f16_e32 v32, v34, v32
	v_fma_mix_f32 v34, v64, v8, 0 op_sel_hi:[1,1,0]
	s_delay_alu instid0(VALU_DEP_1) | instskip(SKIP_1) | instid1(VALU_DEP_2)
	v_fma_mix_f32 v34, v65, v8, v34 op_sel:[0,1,0] op_sel_hi:[1,1,0]
	v_fma_mix_f32 v8, v71, v8, v35 op_sel:[0,1,0] op_sel_hi:[1,1,0]
	v_fma_mix_f32 v34, v66, v9, v34 op_sel_hi:[1,1,0]
	s_delay_alu instid0(VALU_DEP_2) | instskip(NEXT) | instid1(VALU_DEP_2)
	v_fma_mix_f32 v8, v72, v9, v8 op_sel_hi:[1,1,0]
	v_fma_mix_f32 v34, v44, v9, v34 op_sel:[0,1,0] op_sel_hi:[1,1,0]
	s_delay_alu instid0(VALU_DEP_2) | instskip(NEXT) | instid1(VALU_DEP_2)
	v_fma_mix_f32 v8, v45, v9, v8 op_sel:[0,1,0] op_sel_hi:[1,1,0]
	v_fma_mix_f32 v34, v67, v10, v34 op_sel_hi:[1,1,0]
	s_delay_alu instid0(VALU_DEP_2) | instskip(NEXT) | instid1(VALU_DEP_2)
	v_fma_mix_f32 v8, v73, v10, v8 op_sel_hi:[1,1,0]
	v_fma_mix_f32 v34, v68, v10, v34 op_sel:[0,1,0] op_sel_hi:[1,1,0]
	s_delay_alu instid0(VALU_DEP_2) | instskip(NEXT) | instid1(VALU_DEP_2)
	;; [unrolled: 6-line block ×3, first 2 shown]
	v_fma_mix_f32 v8, v49, v11, v8 op_sel:[0,1,0] op_sel_hi:[1,1,0]
	v_fma_mixlo_f16 v34, v34, v15, 0 op_sel_hi:[0,1,0]
	s_delay_alu instid0(VALU_DEP_2) | instskip(NEXT) | instid1(VALU_DEP_2)
	v_fma_mixlo_f16 v8, v8, v24, 0 op_sel_hi:[0,1,0]
	v_add_f16_e32 v34, v40, v34
	s_delay_alu instid0(VALU_DEP_2) | instskip(SKIP_3) | instid1(VALU_DEP_1)
	v_add_f16_e32 v10, v41, v8
	ds_load_b128 v[40:43], v27 offset:272
	s_waitcnt lgkmcnt(0)
	v_fma_mix_f32 v8, v50, v40, 0 op_sel_hi:[1,1,0]
	v_fma_mix_f32 v8, v51, v40, v8 op_sel:[0,1,0] op_sel_hi:[1,1,0]
	s_delay_alu instid0(VALU_DEP_1) | instskip(NEXT) | instid1(VALU_DEP_1)
	v_fma_mix_f32 v8, v52, v41, v8 op_sel_hi:[1,1,0]
	v_fma_mix_f32 v8, v53, v41, v8 op_sel:[0,1,0] op_sel_hi:[1,1,0]
	s_delay_alu instid0(VALU_DEP_1) | instskip(NEXT) | instid1(VALU_DEP_1)
	;; [unrolled: 3-line block ×4, first 2 shown]
	v_fma_mixlo_f16 v8, v8, v14, 0 op_sel_hi:[0,1,0]
	v_add_f16_e32 v11, v37, v8
	v_fma_mix_f32 v8, v57, v40, 0 op_sel_hi:[1,1,0]
	s_delay_alu instid0(VALU_DEP_1) | instskip(NEXT) | instid1(VALU_DEP_1)
	v_fma_mix_f32 v8, v58, v40, v8 op_sel:[0,1,0] op_sel_hi:[1,1,0]
	v_fma_mix_f32 v8, v59, v41, v8 op_sel_hi:[1,1,0]
	s_delay_alu instid0(VALU_DEP_1) | instskip(NEXT) | instid1(VALU_DEP_1)
	v_fma_mix_f32 v8, v60, v41, v8 op_sel:[0,1,0] op_sel_hi:[1,1,0]
	;; [unrolled: 3-line block ×4, first 2 shown]
	v_fma_mixlo_f16 v8, v8, v21, 0 op_sel_hi:[0,1,0]
	s_delay_alu instid0(VALU_DEP_1) | instskip(SKIP_1) | instid1(VALU_DEP_1)
	v_add_f16_e32 v35, v38, v8
	v_fma_mix_f32 v8, v64, v40, 0 op_sel_hi:[1,1,0]
	v_fma_mix_f32 v8, v65, v40, v8 op_sel:[0,1,0] op_sel_hi:[1,1,0]
	s_delay_alu instid0(VALU_DEP_1) | instskip(NEXT) | instid1(VALU_DEP_1)
	v_fma_mix_f32 v8, v66, v41, v8 op_sel_hi:[1,1,0]
	v_fma_mix_f32 v8, v44, v41, v8 op_sel:[0,1,0] op_sel_hi:[1,1,0]
	s_delay_alu instid0(VALU_DEP_1) | instskip(NEXT) | instid1(VALU_DEP_1)
	;; [unrolled: 3-line block ×4, first 2 shown]
	v_fma_mixlo_f16 v8, v8, v15, 0 op_sel_hi:[0,1,0]
	v_add_f16_e32 v36, v36, v8
	v_fma_mix_f32 v8, v70, v40, 0 op_sel_hi:[1,1,0]
	s_delay_alu instid0(VALU_DEP_1) | instskip(NEXT) | instid1(VALU_DEP_1)
	v_fma_mix_f32 v8, v71, v40, v8 op_sel:[0,1,0] op_sel_hi:[1,1,0]
	v_fma_mix_f32 v8, v72, v41, v8 op_sel_hi:[1,1,0]
	s_delay_alu instid0(VALU_DEP_1) | instskip(NEXT) | instid1(VALU_DEP_1)
	v_fma_mix_f32 v8, v45, v41, v8 op_sel:[0,1,0] op_sel_hi:[1,1,0]
	;; [unrolled: 3-line block ×4, first 2 shown]
	v_fma_mixlo_f16 v8, v8, v24, 0 op_sel_hi:[0,1,0]
	s_delay_alu instid0(VALU_DEP_1)
	v_add_f16_e32 v37, v39, v8
	v_add_co_u32 v8, vcc_lo, v18, s2
	v_add_co_ci_u32_e32 v9, vcc_lo, s3, v19, vcc_lo
	global_load_b128 v[38:41], v[8:9], off
	v_add_co_u32 v8, vcc_lo, v8, s2
	v_add_co_ci_u32_e32 v9, vcc_lo, s3, v9, vcc_lo
	global_load_b128 v[42:45], v[8:9], off
	v_add_co_u32 v8, vcc_lo, v8, s2
	v_add_co_ci_u32_e32 v9, vcc_lo, s3, v9, vcc_lo
	s_waitcnt vmcnt(1)
	v_and_b32_e32 v18, 0xff, v38
	v_bfe_u32 v19, v38, 8, 8
	v_bfe_u32 v46, v38, 16, 8
	v_lshrrev_b32_e32 v38, 24, v38
	s_delay_alu instid0(VALU_DEP_4) | instskip(NEXT) | instid1(VALU_DEP_4)
	v_sub_nc_u32_e32 v18, v18, v31
	v_sub_nc_u32_e32 v19, v19, v31
	s_delay_alu instid0(VALU_DEP_4) | instskip(NEXT) | instid1(VALU_DEP_4)
	v_sub_nc_u32_e32 v46, v46, v31
	v_sub_nc_u32_e32 v38, v38, v31
	s_delay_alu instid0(VALU_DEP_4) | instskip(NEXT) | instid1(VALU_DEP_4)
	v_cvt_f32_i32_e32 v18, v18
	v_cvt_f32_i32_e32 v19, v19
	s_delay_alu instid0(VALU_DEP_4) | instskip(NEXT) | instid1(VALU_DEP_4)
	v_cvt_f32_i32_e32 v46, v46
	v_cvt_f32_i32_e32 v38, v38
	s_delay_alu instid0(VALU_DEP_4) | instskip(NEXT) | instid1(VALU_DEP_4)
	v_cvt_f16_f32_e32 v18, v18
	v_cvt_f16_f32_e32 v19, v19
	s_delay_alu instid0(VALU_DEP_4) | instskip(NEXT) | instid1(VALU_DEP_4)
	v_cvt_f16_f32_e32 v46, v46
	v_cvt_f16_f32_e32 v47, v38
	s_waitcnt vmcnt(0)
	v_and_b32_e32 v38, 0xff, v42
	s_delay_alu instid0(VALU_DEP_1) | instskip(NEXT) | instid1(VALU_DEP_1)
	v_sub_nc_u32_e32 v38, v38, v31
	v_cvt_f32_i32_e32 v38, v38
	s_delay_alu instid0(VALU_DEP_1) | instskip(SKIP_1) | instid1(VALU_DEP_1)
	v_cvt_f16_f32_e32 v48, v38
	v_bfe_u32 v38, v42, 8, 8
	v_sub_nc_u32_e32 v38, v38, v31
	s_delay_alu instid0(VALU_DEP_1) | instskip(NEXT) | instid1(VALU_DEP_1)
	v_cvt_f32_i32_e32 v38, v38
	v_cvt_f16_f32_e32 v49, v38
	v_bfe_u32 v38, v42, 16, 8
	s_delay_alu instid0(VALU_DEP_1) | instskip(NEXT) | instid1(VALU_DEP_1)
	v_sub_nc_u32_e32 v38, v38, v31
	v_cvt_f32_i32_e32 v38, v38
	s_delay_alu instid0(VALU_DEP_1) | instskip(SKIP_1) | instid1(VALU_DEP_1)
	v_cvt_f16_f32_e32 v50, v38
	v_lshrrev_b32_e32 v38, 24, v42
	v_sub_nc_u32_e32 v38, v38, v31
	s_delay_alu instid0(VALU_DEP_1) | instskip(NEXT) | instid1(VALU_DEP_1)
	v_cvt_f32_i32_e32 v38, v38
	v_cvt_f16_f32_e32 v42, v38
	v_and_b32_e32 v38, 0xff, v39
	s_delay_alu instid0(VALU_DEP_1) | instskip(NEXT) | instid1(VALU_DEP_1)
	v_sub_nc_u32_e32 v38, v38, v30
	v_cvt_f32_i32_e32 v38, v38
	s_delay_alu instid0(VALU_DEP_1) | instskip(SKIP_1) | instid1(VALU_DEP_1)
	v_cvt_f16_f32_e32 v51, v38
	v_bfe_u32 v38, v39, 8, 8
	v_sub_nc_u32_e32 v38, v38, v30
	s_delay_alu instid0(VALU_DEP_1) | instskip(NEXT) | instid1(VALU_DEP_1)
	v_cvt_f32_i32_e32 v38, v38
	v_cvt_f16_f32_e32 v52, v38
	v_bfe_u32 v38, v39, 16, 8
	s_delay_alu instid0(VALU_DEP_1) | instskip(NEXT) | instid1(VALU_DEP_1)
	v_sub_nc_u32_e32 v38, v38, v30
	v_cvt_f32_i32_e32 v38, v38
	s_delay_alu instid0(VALU_DEP_1) | instskip(SKIP_1) | instid1(VALU_DEP_1)
	v_cvt_f16_f32_e32 v53, v38
	v_lshrrev_b32_e32 v38, 24, v39
	v_sub_nc_u32_e32 v38, v38, v30
	s_delay_alu instid0(VALU_DEP_1) | instskip(NEXT) | instid1(VALU_DEP_1)
	v_cvt_f32_i32_e32 v38, v38
	v_cvt_f16_f32_e32 v54, v38
	;; [unrolled: 22-line block ×7, first 2 shown]
	v_fma_mix_f32 v38, v18, v4, 0 op_sel_hi:[1,1,0]
	s_delay_alu instid0(VALU_DEP_1) | instskip(NEXT) | instid1(VALU_DEP_1)
	v_fma_mix_f32 v38, v19, v4, v38 op_sel:[0,1,0] op_sel_hi:[1,1,0]
	v_fma_mix_f32 v38, v46, v5, v38 op_sel_hi:[1,1,0]
	s_delay_alu instid0(VALU_DEP_1) | instskip(NEXT) | instid1(VALU_DEP_1)
	v_fma_mix_f32 v38, v47, v5, v38 op_sel:[0,1,0] op_sel_hi:[1,1,0]
	;; [unrolled: 3-line block ×4, first 2 shown]
	v_fma_mixlo_f16 v38, v38, v14, 0 op_sel_hi:[0,1,0]
	s_delay_alu instid0(VALU_DEP_1) | instskip(SKIP_1) | instid1(VALU_DEP_1)
	v_add_f16_e32 v32, v32, v38
	v_fma_mix_f32 v38, v51, v4, 0 op_sel_hi:[1,1,0]
	v_fma_mix_f32 v38, v52, v4, v38 op_sel:[0,1,0] op_sel_hi:[1,1,0]
	s_delay_alu instid0(VALU_DEP_1) | instskip(NEXT) | instid1(VALU_DEP_1)
	v_fma_mix_f32 v38, v53, v5, v38 op_sel_hi:[1,1,0]
	v_fma_mix_f32 v38, v54, v5, v38 op_sel:[0,1,0] op_sel_hi:[1,1,0]
	s_delay_alu instid0(VALU_DEP_1) | instskip(NEXT) | instid1(VALU_DEP_1)
	;; [unrolled: 3-line block ×4, first 2 shown]
	v_fma_mixlo_f16 v38, v38, v21, 0 op_sel_hi:[0,1,0]
	v_add_f16_e32 v33, v33, v38
	v_fma_mix_f32 v38, v60, v4, 0 op_sel_hi:[1,1,0]
	s_delay_alu instid0(VALU_DEP_1) | instskip(NEXT) | instid1(VALU_DEP_1)
	v_fma_mix_f32 v38, v61, v4, v38 op_sel:[0,1,0] op_sel_hi:[1,1,0]
	v_fma_mix_f32 v38, v62, v5, v38 op_sel_hi:[1,1,0]
	s_delay_alu instid0(VALU_DEP_1) | instskip(NEXT) | instid1(VALU_DEP_1)
	v_fma_mix_f32 v38, v63, v5, v38 op_sel:[0,1,0] op_sel_hi:[1,1,0]
	;; [unrolled: 3-line block ×4, first 2 shown]
	v_fma_mixlo_f16 v38, v38, v15, 0 op_sel_hi:[0,1,0]
	s_delay_alu instid0(VALU_DEP_1) | instskip(SKIP_3) | instid1(VALU_DEP_1)
	v_add_f16_e32 v58, v34, v38
	v_fma_mix_f32 v34, v67, v4, 0 op_sel_hi:[1,1,0]
	ds_load_b128 v[38:41], v27 offset:288
	v_fma_mix_f32 v4, v68, v4, v34 op_sel:[0,1,0] op_sel_hi:[1,1,0]
	v_fma_mix_f32 v4, v69, v5, v4 op_sel_hi:[1,1,0]
	s_delay_alu instid0(VALU_DEP_1) | instskip(NEXT) | instid1(VALU_DEP_1)
	v_fma_mix_f32 v4, v70, v5, v4 op_sel:[0,1,0] op_sel_hi:[1,1,0]
	v_fma_mix_f32 v4, v71, v6, v4 op_sel_hi:[1,1,0]
	s_delay_alu instid0(VALU_DEP_1) | instskip(NEXT) | instid1(VALU_DEP_1)
	;; [unrolled: 3-line block ×3, first 2 shown]
	v_fma_mix_f32 v4, v45, v7, v4 op_sel:[0,1,0] op_sel_hi:[1,1,0]
	v_fma_mixlo_f16 v4, v4, v24, 0 op_sel_hi:[0,1,0]
	s_delay_alu instid0(VALU_DEP_1) | instskip(SKIP_2) | instid1(VALU_DEP_1)
	v_add_f16_e32 v59, v10, v4
	s_waitcnt lgkmcnt(0)
	v_fma_mix_f32 v4, v18, v38, 0 op_sel_hi:[1,1,0]
	v_fma_mix_f32 v4, v19, v38, v4 op_sel:[0,1,0] op_sel_hi:[1,1,0]
	s_delay_alu instid0(VALU_DEP_1) | instskip(NEXT) | instid1(VALU_DEP_1)
	v_fma_mix_f32 v4, v46, v39, v4 op_sel_hi:[1,1,0]
	v_fma_mix_f32 v4, v47, v39, v4 op_sel:[0,1,0] op_sel_hi:[1,1,0]
	s_delay_alu instid0(VALU_DEP_1) | instskip(NEXT) | instid1(VALU_DEP_1)
	v_fma_mix_f32 v4, v48, v40, v4 op_sel_hi:[1,1,0]
	v_fma_mix_f32 v4, v49, v40, v4 op_sel:[0,1,0] op_sel_hi:[1,1,0]
	global_load_b128 v[46:49], v[8:9], off
	v_add_co_u32 v8, vcc_lo, v8, s2
	v_add_co_ci_u32_e32 v9, vcc_lo, s3, v9, vcc_lo
	v_fma_mix_f32 v4, v50, v41, v4 op_sel_hi:[1,1,0]
	v_add_co_u32 v16, vcc_lo, v16, s0
	v_add_co_ci_u32_e32 v17, vcc_lo, s1, v17, vcc_lo
	s_delay_alu instid0(VALU_DEP_3) | instskip(NEXT) | instid1(VALU_DEP_1)
	v_fma_mix_f32 v4, v42, v41, v4 op_sel:[0,1,0] op_sel_hi:[1,1,0]
	v_fma_mixlo_f16 v4, v4, v14, 0 op_sel_hi:[0,1,0]
	s_delay_alu instid0(VALU_DEP_1) | instskip(SKIP_1) | instid1(VALU_DEP_1)
	v_add_f16_e32 v7, v11, v4
	v_fma_mix_f32 v4, v51, v38, 0 op_sel_hi:[1,1,0]
	v_fma_mix_f32 v4, v52, v38, v4 op_sel:[0,1,0] op_sel_hi:[1,1,0]
	s_delay_alu instid0(VALU_DEP_1) | instskip(NEXT) | instid1(VALU_DEP_1)
	v_fma_mix_f32 v4, v53, v39, v4 op_sel_hi:[1,1,0]
	v_fma_mix_f32 v4, v54, v39, v4 op_sel:[0,1,0] op_sel_hi:[1,1,0]
	s_delay_alu instid0(VALU_DEP_1) | instskip(NEXT) | instid1(VALU_DEP_1)
	;; [unrolled: 3-line block ×4, first 2 shown]
	v_fma_mixlo_f16 v4, v4, v21, 0 op_sel_hi:[0,1,0]
	v_add_f16_e32 v6, v35, v4
	v_fma_mix_f32 v4, v60, v38, 0 op_sel_hi:[1,1,0]
	s_delay_alu instid0(VALU_DEP_1) | instskip(NEXT) | instid1(VALU_DEP_1)
	v_fma_mix_f32 v4, v61, v38, v4 op_sel:[0,1,0] op_sel_hi:[1,1,0]
	v_fma_mix_f32 v4, v62, v39, v4 op_sel_hi:[1,1,0]
	s_delay_alu instid0(VALU_DEP_1) | instskip(SKIP_2) | instid1(VALU_DEP_1)
	v_fma_mix_f32 v4, v63, v39, v4 op_sel:[0,1,0] op_sel_hi:[1,1,0]
	global_load_b128 v[60:63], v[8:9], off
	v_fma_mix_f32 v4, v64, v40, v4 op_sel_hi:[1,1,0]
	v_fma_mix_f32 v4, v65, v40, v4 op_sel:[0,1,0] op_sel_hi:[1,1,0]
	s_delay_alu instid0(VALU_DEP_1) | instskip(NEXT) | instid1(VALU_DEP_1)
	v_fma_mix_f32 v4, v66, v41, v4 op_sel_hi:[1,1,0]
	v_fma_mix_f32 v4, v44, v41, v4 op_sel:[0,1,0] op_sel_hi:[1,1,0]
	s_delay_alu instid0(VALU_DEP_1) | instskip(NEXT) | instid1(VALU_DEP_1)
	v_fma_mixlo_f16 v4, v4, v15, 0 op_sel_hi:[0,1,0]
	v_add_f16_e32 v5, v36, v4
	v_fma_mix_f32 v4, v67, v38, 0 op_sel_hi:[1,1,0]
	s_delay_alu instid0(VALU_DEP_1) | instskip(NEXT) | instid1(VALU_DEP_1)
	v_fma_mix_f32 v4, v68, v38, v4 op_sel:[0,1,0] op_sel_hi:[1,1,0]
	v_fma_mix_f32 v4, v69, v39, v4 op_sel_hi:[1,1,0]
	s_delay_alu instid0(VALU_DEP_1) | instskip(NEXT) | instid1(VALU_DEP_1)
	v_fma_mix_f32 v4, v70, v39, v4 op_sel:[0,1,0] op_sel_hi:[1,1,0]
	;; [unrolled: 3-line block ×4, first 2 shown]
	v_fma_mixlo_f16 v4, v4, v24, 0 op_sel_hi:[0,1,0]
	s_delay_alu instid0(VALU_DEP_1)
	v_add_f16_e32 v4, v37, v4
	s_waitcnt vmcnt(1)
	v_bfe_u32 v34, v47, 16, 8
	v_and_b32_e32 v8, 0xff, v46
	v_bfe_u32 v9, v46, 8, 8
	v_bfe_u32 v10, v46, 16, 8
	v_lshrrev_b32_e32 v11, 24, v46
	v_sub_nc_u32_e32 v34, v34, v30
	v_sub_nc_u32_e32 v8, v8, v31
	;; [unrolled: 1-line block ×5, first 2 shown]
	v_cvt_f32_i32_e32 v34, v34
	v_cvt_f32_i32_e32 v8, v8
	;; [unrolled: 1-line block ×5, first 2 shown]
	v_cvt_f16_f32_e32 v38, v34
	v_lshrrev_b32_e32 v34, 24, v47
	v_cvt_f16_f32_e32 v8, v8
	v_cvt_f16_f32_e32 v9, v9
	v_cvt_f16_f32_e32 v10, v10
	v_cvt_f16_f32_e32 v11, v11
	v_sub_nc_u32_e32 v34, v34, v30
	s_delay_alu instid0(VALU_DEP_1) | instskip(NEXT) | instid1(VALU_DEP_1)
	v_cvt_f32_i32_e32 v34, v34
	v_cvt_f16_f32_e32 v40, v34
	s_waitcnt vmcnt(0)
	v_bfe_u32 v19, v60, 8, 8
	v_and_b32_e32 v34, 0xff, v61
	v_and_b32_e32 v18, 0xff, v60
	s_delay_alu instid0(VALU_DEP_3) | instskip(NEXT) | instid1(VALU_DEP_3)
	v_sub_nc_u32_e32 v19, v19, v31
	v_sub_nc_u32_e32 v34, v34, v30
	s_delay_alu instid0(VALU_DEP_3) | instskip(NEXT) | instid1(VALU_DEP_3)
	v_sub_nc_u32_e32 v18, v18, v31
	v_cvt_f32_i32_e32 v19, v19
	s_delay_alu instid0(VALU_DEP_3) | instskip(NEXT) | instid1(VALU_DEP_3)
	v_cvt_f32_i32_e32 v34, v34
	v_cvt_f32_i32_e32 v18, v18
	s_delay_alu instid0(VALU_DEP_3) | instskip(SKIP_1) | instid1(VALU_DEP_4)
	v_cvt_f16_f32_e32 v36, v19
	v_bfe_u32 v19, v60, 16, 8
	v_cvt_f16_f32_e32 v41, v34
	v_bfe_u32 v34, v61, 8, 8
	v_cvt_f16_f32_e32 v18, v18
	s_delay_alu instid0(VALU_DEP_4) | instskip(NEXT) | instid1(VALU_DEP_3)
	v_sub_nc_u32_e32 v19, v19, v31
	v_sub_nc_u32_e32 v34, v34, v30
	s_delay_alu instid0(VALU_DEP_2) | instskip(NEXT) | instid1(VALU_DEP_2)
	v_cvt_f32_i32_e32 v19, v19
	v_cvt_f32_i32_e32 v34, v34
	s_delay_alu instid0(VALU_DEP_2) | instskip(SKIP_1) | instid1(VALU_DEP_3)
	v_cvt_f16_f32_e32 v37, v19
	v_lshrrev_b32_e32 v19, 24, v60
	v_cvt_f16_f32_e32 v42, v34
	v_bfe_u32 v34, v61, 16, 8
	s_delay_alu instid0(VALU_DEP_3) | instskip(SKIP_1) | instid1(VALU_DEP_3)
	v_sub_nc_u32_e32 v19, v19, v31
	v_bfe_u32 v31, v47, 8, 8
	v_sub_nc_u32_e32 v34, v34, v30
	s_delay_alu instid0(VALU_DEP_3) | instskip(NEXT) | instid1(VALU_DEP_3)
	v_cvt_f32_i32_e32 v19, v19
	v_sub_nc_u32_e32 v31, v31, v30
	s_delay_alu instid0(VALU_DEP_3) | instskip(NEXT) | instid1(VALU_DEP_3)
	v_cvt_f32_i32_e32 v34, v34
	v_cvt_f16_f32_e32 v39, v19
	v_and_b32_e32 v19, 0xff, v47
	s_delay_alu instid0(VALU_DEP_3) | instskip(SKIP_2) | instid1(VALU_DEP_4)
	v_cvt_f16_f32_e32 v44, v34
	v_lshrrev_b32_e32 v34, 24, v61
	v_cvt_f32_i32_e32 v31, v31
	v_sub_nc_u32_e32 v19, v19, v30
	s_delay_alu instid0(VALU_DEP_3) | instskip(SKIP_1) | instid1(VALU_DEP_4)
	v_sub_nc_u32_e32 v30, v34, v30
	v_bfe_u32 v34, v48, 8, 8
	v_cvt_f16_f32_e32 v31, v31
	s_delay_alu instid0(VALU_DEP_4) | instskip(NEXT) | instid1(VALU_DEP_4)
	v_cvt_f32_i32_e32 v19, v19
	v_cvt_f32_i32_e32 v30, v30
	s_delay_alu instid0(VALU_DEP_4) | instskip(NEXT) | instid1(VALU_DEP_3)
	v_sub_nc_u32_e32 v34, v34, v29
	v_cvt_f16_f32_e32 v19, v19
	s_delay_alu instid0(VALU_DEP_3) | instskip(NEXT) | instid1(VALU_DEP_3)
	v_cvt_f16_f32_e32 v46, v30
	v_cvt_f32_i32_e32 v34, v34
	v_and_b32_e32 v30, 0xff, v48
	s_delay_alu instid0(VALU_DEP_2) | instskip(SKIP_1) | instid1(VALU_DEP_3)
	v_cvt_f16_f32_e32 v43, v34
	v_bfe_u32 v34, v48, 16, 8
	v_sub_nc_u32_e32 v30, v30, v29
	s_delay_alu instid0(VALU_DEP_2) | instskip(NEXT) | instid1(VALU_DEP_2)
	v_sub_nc_u32_e32 v34, v34, v29
	v_cvt_f32_i32_e32 v30, v30
	s_delay_alu instid0(VALU_DEP_2) | instskip(NEXT) | instid1(VALU_DEP_2)
	v_cvt_f32_i32_e32 v34, v34
	v_cvt_f16_f32_e32 v30, v30
	s_delay_alu instid0(VALU_DEP_2) | instskip(SKIP_1) | instid1(VALU_DEP_1)
	v_cvt_f16_f32_e32 v45, v34
	v_lshrrev_b32_e32 v34, 24, v48
	v_sub_nc_u32_e32 v34, v34, v29
	s_delay_alu instid0(VALU_DEP_1) | instskip(NEXT) | instid1(VALU_DEP_1)
	v_cvt_f32_i32_e32 v34, v34
	v_cvt_f16_f32_e32 v48, v34
	v_and_b32_e32 v34, 0xff, v62
	s_delay_alu instid0(VALU_DEP_1) | instskip(NEXT) | instid1(VALU_DEP_1)
	v_sub_nc_u32_e32 v34, v34, v29
	v_cvt_f32_i32_e32 v34, v34
	s_delay_alu instid0(VALU_DEP_1) | instskip(SKIP_1) | instid1(VALU_DEP_1)
	v_cvt_f16_f32_e32 v52, v34
	v_bfe_u32 v34, v62, 8, 8
	v_sub_nc_u32_e32 v34, v34, v29
	s_delay_alu instid0(VALU_DEP_1) | instskip(NEXT) | instid1(VALU_DEP_1)
	v_cvt_f32_i32_e32 v34, v34
	v_cvt_f16_f32_e32 v55, v34
	v_bfe_u32 v34, v62, 16, 8
	s_delay_alu instid0(VALU_DEP_1) | instskip(NEXT) | instid1(VALU_DEP_1)
	v_sub_nc_u32_e32 v34, v34, v29
	v_cvt_f32_i32_e32 v34, v34
	s_delay_alu instid0(VALU_DEP_1) | instskip(SKIP_1) | instid1(VALU_DEP_1)
	v_cvt_f16_f32_e32 v56, v34
	v_lshrrev_b32_e32 v34, 24, v62
	v_sub_nc_u32_e32 v29, v34, v29
	v_lshrrev_b32_e32 v34, 24, v63
	s_delay_alu instid0(VALU_DEP_2) | instskip(NEXT) | instid1(VALU_DEP_1)
	v_cvt_f32_i32_e32 v29, v29
	v_cvt_f16_f32_e32 v57, v29
	v_and_b32_e32 v29, 0xff, v49
	s_delay_alu instid0(VALU_DEP_1) | instskip(NEXT) | instid1(VALU_DEP_1)
	v_sub_nc_u32_e32 v29, v29, v28
	v_cvt_f32_i32_e32 v29, v29
	s_delay_alu instid0(VALU_DEP_1) | instskip(SKIP_1) | instid1(VALU_DEP_1)
	v_cvt_f16_f32_e32 v54, v29
	v_bfe_u32 v29, v49, 8, 8
	v_sub_nc_u32_e32 v29, v29, v28
	s_delay_alu instid0(VALU_DEP_1) | instskip(NEXT) | instid1(VALU_DEP_1)
	v_cvt_f32_i32_e32 v29, v29
	v_cvt_f16_f32_e32 v53, v29
	v_bfe_u32 v29, v49, 16, 8
	s_delay_alu instid0(VALU_DEP_1) | instskip(NEXT) | instid1(VALU_DEP_1)
	v_sub_nc_u32_e32 v29, v29, v28
	v_cvt_f32_i32_e32 v29, v29
	s_delay_alu instid0(VALU_DEP_1) | instskip(SKIP_1) | instid1(VALU_DEP_1)
	v_cvt_f16_f32_e32 v51, v29
	v_lshrrev_b32_e32 v29, 24, v49
	v_sub_nc_u32_e32 v29, v29, v28
	s_delay_alu instid0(VALU_DEP_1) | instskip(NEXT) | instid1(VALU_DEP_1)
	v_cvt_f32_i32_e32 v29, v29
	v_cvt_f16_f32_e32 v50, v29
	v_and_b32_e32 v29, 0xff, v63
	s_delay_alu instid0(VALU_DEP_1) | instskip(NEXT) | instid1(VALU_DEP_1)
	v_sub_nc_u32_e32 v29, v29, v28
	v_cvt_f32_i32_e32 v29, v29
	s_delay_alu instid0(VALU_DEP_1) | instskip(SKIP_1) | instid1(VALU_DEP_1)
	v_cvt_f16_f32_e32 v49, v29
	v_bfe_u32 v29, v63, 8, 8
	v_sub_nc_u32_e32 v29, v29, v28
	s_delay_alu instid0(VALU_DEP_1) | instskip(NEXT) | instid1(VALU_DEP_1)
	v_cvt_f32_i32_e32 v29, v29
	v_cvt_f16_f32_e32 v47, v29
	v_bfe_u32 v29, v63, 16, 8
	s_delay_alu instid0(VALU_DEP_1) | instskip(SKIP_2) | instid1(VALU_DEP_3)
	v_sub_nc_u32_e32 v29, v29, v28
	v_sub_nc_u32_e32 v28, v34, v28
	v_fma_mix_f32 v34, v8, v0, 0 op_sel_hi:[1,1,0]
	v_cvt_f32_i32_e32 v29, v29
	s_delay_alu instid0(VALU_DEP_3) | instskip(NEXT) | instid1(VALU_DEP_3)
	v_cvt_f32_i32_e32 v28, v28
	v_fma_mix_f32 v34, v9, v0, v34 op_sel:[0,1,0] op_sel_hi:[1,1,0]
	s_delay_alu instid0(VALU_DEP_3) | instskip(NEXT) | instid1(VALU_DEP_3)
	v_cvt_f16_f32_e32 v29, v29
	v_cvt_f16_f32_e32 v28, v28
	s_delay_alu instid0(VALU_DEP_3) | instskip(NEXT) | instid1(VALU_DEP_1)
	v_fma_mix_f32 v34, v10, v1, v34 op_sel_hi:[1,1,0]
	v_fma_mix_f32 v34, v11, v1, v34 op_sel:[0,1,0] op_sel_hi:[1,1,0]
	s_delay_alu instid0(VALU_DEP_1) | instskip(NEXT) | instid1(VALU_DEP_1)
	v_fma_mix_f32 v34, v18, v2, v34 op_sel_hi:[1,1,0]
	v_fma_mix_f32 v34, v36, v2, v34 op_sel:[0,1,0] op_sel_hi:[1,1,0]
	s_delay_alu instid0(VALU_DEP_1) | instskip(NEXT) | instid1(VALU_DEP_1)
	;; [unrolled: 3-line block ×3, first 2 shown]
	v_fma_mixlo_f16 v34, v34, v14, 0 op_sel_hi:[0,1,0]
	v_add_f16_e32 v34, v32, v34
	v_fma_mix_f32 v32, v19, v0, 0 op_sel_hi:[1,1,0]
	s_delay_alu instid0(VALU_DEP_1) | instskip(NEXT) | instid1(VALU_DEP_1)
	v_fma_mix_f32 v32, v31, v0, v32 op_sel:[0,1,0] op_sel_hi:[1,1,0]
	v_fma_mix_f32 v32, v38, v1, v32 op_sel_hi:[1,1,0]
	s_delay_alu instid0(VALU_DEP_1) | instskip(NEXT) | instid1(VALU_DEP_1)
	v_fma_mix_f32 v32, v40, v1, v32 op_sel:[0,1,0] op_sel_hi:[1,1,0]
	;; [unrolled: 3-line block ×4, first 2 shown]
	v_fma_mixlo_f16 v32, v32, v21, 0 op_sel_hi:[0,1,0]
	s_delay_alu instid0(VALU_DEP_1) | instskip(SKIP_1) | instid1(VALU_DEP_1)
	v_add_f16_e32 v35, v33, v32
	v_fma_mix_f32 v32, v30, v0, 0 op_sel_hi:[1,1,0]
	v_fma_mix_f32 v32, v43, v0, v32 op_sel:[0,1,0] op_sel_hi:[1,1,0]
	s_delay_alu instid0(VALU_DEP_1) | instskip(NEXT) | instid1(VALU_DEP_1)
	v_fma_mix_f32 v32, v45, v1, v32 op_sel_hi:[1,1,0]
	v_fma_mix_f32 v32, v48, v1, v32 op_sel:[0,1,0] op_sel_hi:[1,1,0]
	s_delay_alu instid0(VALU_DEP_1) | instskip(NEXT) | instid1(VALU_DEP_1)
	;; [unrolled: 3-line block ×4, first 2 shown]
	v_fma_mixlo_f16 v32, v32, v15, 0 op_sel_hi:[0,1,0]
	v_add_f16_e32 v33, v58, v32
	v_fma_mix_f32 v32, v54, v0, 0 op_sel_hi:[1,1,0]
	s_delay_alu instid0(VALU_DEP_1) | instskip(NEXT) | instid1(VALU_DEP_1)
	v_fma_mix_f32 v0, v53, v0, v32 op_sel:[0,1,0] op_sel_hi:[1,1,0]
	v_fma_mix_f32 v0, v51, v1, v0 op_sel_hi:[1,1,0]
	s_delay_alu instid0(VALU_DEP_1) | instskip(NEXT) | instid1(VALU_DEP_1)
	v_fma_mix_f32 v0, v50, v1, v0 op_sel:[0,1,0] op_sel_hi:[1,1,0]
	;; [unrolled: 3-line block ×4, first 2 shown]
	v_fma_mixlo_f16 v0, v0, v24, 0 op_sel_hi:[0,1,0]
	s_delay_alu instid0(VALU_DEP_1) | instskip(SKIP_3) | instid1(VALU_DEP_1)
	v_add_f16_e32 v32, v59, v0
	ds_load_b128 v[0:3], v27 offset:304
	s_waitcnt lgkmcnt(0)
	v_fma_mix_f32 v8, v8, v0, 0 op_sel_hi:[1,1,0]
	v_fma_mix_f32 v8, v9, v0, v8 op_sel:[0,1,0] op_sel_hi:[1,1,0]
	s_delay_alu instid0(VALU_DEP_1) | instskip(NEXT) | instid1(VALU_DEP_1)
	v_fma_mix_f32 v8, v10, v1, v8 op_sel_hi:[1,1,0]
	v_fma_mix_f32 v8, v11, v1, v8 op_sel:[0,1,0] op_sel_hi:[1,1,0]
	s_delay_alu instid0(VALU_DEP_1) | instskip(NEXT) | instid1(VALU_DEP_1)
	;; [unrolled: 3-line block ×4, first 2 shown]
	v_fma_mixlo_f16 v8, v8, v14, 0 op_sel_hi:[0,1,0]
	v_add_f16_e32 v37, v7, v8
	v_fma_mix_f32 v7, v19, v0, 0 op_sel_hi:[1,1,0]
	s_delay_alu instid0(VALU_DEP_1) | instskip(NEXT) | instid1(VALU_DEP_1)
	v_fma_mix_f32 v7, v31, v0, v7 op_sel:[0,1,0] op_sel_hi:[1,1,0]
	v_fma_mix_f32 v7, v38, v1, v7 op_sel_hi:[1,1,0]
	s_delay_alu instid0(VALU_DEP_1) | instskip(NEXT) | instid1(VALU_DEP_1)
	v_fma_mix_f32 v7, v40, v1, v7 op_sel:[0,1,0] op_sel_hi:[1,1,0]
	;; [unrolled: 3-line block ×4, first 2 shown]
	v_fma_mixlo_f16 v7, v7, v21, 0 op_sel_hi:[0,1,0]
	s_delay_alu instid0(VALU_DEP_1) | instskip(SKIP_1) | instid1(VALU_DEP_1)
	v_add_f16_e32 v38, v6, v7
	v_fma_mix_f32 v6, v30, v0, 0 op_sel_hi:[1,1,0]
	v_fma_mix_f32 v6, v43, v0, v6 op_sel:[0,1,0] op_sel_hi:[1,1,0]
	s_delay_alu instid0(VALU_DEP_1) | instskip(NEXT) | instid1(VALU_DEP_1)
	v_fma_mix_f32 v6, v45, v1, v6 op_sel_hi:[1,1,0]
	v_fma_mix_f32 v6, v48, v1, v6 op_sel:[0,1,0] op_sel_hi:[1,1,0]
	s_delay_alu instid0(VALU_DEP_1) | instskip(NEXT) | instid1(VALU_DEP_1)
	;; [unrolled: 3-line block ×4, first 2 shown]
	v_fma_mixlo_f16 v6, v6, v15, 0 op_sel_hi:[0,1,0]
	v_add_f16_e32 v36, v5, v6
	v_fma_mix_f32 v5, v54, v0, 0 op_sel_hi:[1,1,0]
	s_delay_alu instid0(VALU_DEP_1) | instskip(NEXT) | instid1(VALU_DEP_1)
	v_fma_mix_f32 v0, v53, v0, v5 op_sel:[0,1,0] op_sel_hi:[1,1,0]
	v_fma_mix_f32 v0, v51, v1, v0 op_sel_hi:[1,1,0]
	s_delay_alu instid0(VALU_DEP_1) | instskip(NEXT) | instid1(VALU_DEP_1)
	v_fma_mix_f32 v0, v50, v1, v0 op_sel:[0,1,0] op_sel_hi:[1,1,0]
	;; [unrolled: 3-line block ×4, first 2 shown]
	v_fma_mixlo_f16 v0, v0, v24, 0 op_sel_hi:[0,1,0]
	s_delay_alu instid0(VALU_DEP_1)
	v_add_f16_e32 v39, v4, v0
	s_cbranch_scc1 .LBB22_12
.LBB22_10:                              ; =>This Inner Loop Header: Depth=1
	s_cmp_lg_u32 s15, s4
	s_cbranch_scc1 .LBB22_9
; %bb.11:                               ;   in Loop: Header=BB22_10 Depth=1
	s_add_i32 s18, s18, 1
	s_add_i32 s4, s4, s14
	s_mul_i32 s5, s18, s16
	s_delay_alu instid0(SALU_CYCLE_1) | instskip(SKIP_2) | instid1(SALU_CYCLE_1)
	s_ashr_i32 s17, s5, 31
	v_add_nc_u32_e32 v0, s5, v12
	s_lshr_b32 s17, s17, 30
	s_add_i32 s5, s5, s17
	s_delay_alu instid0(VALU_DEP_1) | instskip(SKIP_1) | instid1(SALU_CYCLE_1)
	v_ashrrev_i32_e32 v1, 31, v0
	s_ashr_i32 s5, s5, 2
	v_add_nc_u32_e32 v2, s5, v20
	s_delay_alu instid0(VALU_DEP_2) | instskip(NEXT) | instid1(VALU_DEP_2)
	v_lshlrev_b64 v[0:1], 1, v[0:1]
	v_ashrrev_i32_e32 v3, 31, v2
	s_delay_alu instid0(VALU_DEP_2) | instskip(NEXT) | instid1(VALU_DEP_2)
	v_add_co_u32 v0, vcc_lo, s8, v0
	v_lshlrev_b64 v[2:3], 2, v[2:3]
	s_delay_alu instid0(VALU_DEP_4) | instskip(NEXT) | instid1(VALU_DEP_2)
	v_add_co_ci_u32_e32 v1, vcc_lo, s9, v1, vcc_lo
	v_add_co_u32 v2, vcc_lo, s6, v2
	s_delay_alu instid0(VALU_DEP_3)
	v_add_co_ci_u32_e32 v3, vcc_lo, s7, v3, vcc_lo
	global_load_b64 v[14:15], v[0:1], off
	global_load_b32 v0, v[2:3], off
	s_waitcnt vmcnt(1)
	v_lshrrev_b32_e32 v21, 16, v14
	s_waitcnt vmcnt(0)
	v_and_b32_e32 v22, 0xff, v0
	v_bfe_u32 v23, v0, 8, 8
	v_bfe_u32 v25, v0, 16, 8
	v_lshrrev_b32_e32 v26, 24, v0
	v_lshrrev_b32_e32 v24, 16, v15
	s_branch .LBB22_9
.LBB22_12:
	v_mad_u64_u32 v[0:1], null, s12, s16, v[12:13]
	v_perm_b32 v5, v35, v34, 0x5040100
	s_mov_b32 s0, 0
	s_delay_alu instid0(VALU_DEP_2) | instskip(NEXT) | instid1(VALU_DEP_1)
	v_ashrrev_i32_e32 v1, 31, v0
	v_lshlrev_b64 v[1:2], 1, v[0:1]
	s_delay_alu instid0(VALU_DEP_1) | instskip(NEXT) | instid1(VALU_DEP_2)
	v_add_co_u32 v1, vcc_lo, s10, v1
	v_add_co_ci_u32_e32 v2, vcc_lo, s11, v2, vcc_lo
	global_load_b32 v4, v[1:2], off
.LBB22_13:                              ; =>This Inner Loop Header: Depth=1
	s_waitcnt vmcnt(0)
	v_pk_add_f16 v3, v5, v4
	global_atomic_cmpswap_b32 v3, v[1:2], v[3:4], off glc
	s_waitcnt vmcnt(0)
	v_cmp_eq_u32_e32 vcc_lo, v4, v3
	v_mov_b32_e32 v4, v3
	s_or_b32 s0, vcc_lo, s0
	s_delay_alu instid0(SALU_CYCLE_1)
	s_and_not1_b32 exec_lo, exec_lo, s0
	s_cbranch_execnz .LBB22_13
; %bb.14:
	s_or_b32 exec_lo, exec_lo, s0
	global_load_b32 v4, v[1:2], off offset:4
	v_perm_b32 v5, v32, v33, 0x5040100
	s_mov_b32 s0, 0
.LBB22_15:                              ; =>This Inner Loop Header: Depth=1
	s_waitcnt vmcnt(0)
	s_delay_alu instid0(VALU_DEP_1)
	v_pk_add_f16 v3, v5, v4
	global_atomic_cmpswap_b32 v3, v[1:2], v[3:4], off offset:4 glc
	s_waitcnt vmcnt(0)
	v_cmp_eq_u32_e32 vcc_lo, v4, v3
	v_mov_b32_e32 v4, v3
	s_or_b32 s0, vcc_lo, s0
	s_delay_alu instid0(SALU_CYCLE_1)
	s_and_not1_b32 exec_lo, exec_lo, s0
	s_cbranch_execnz .LBB22_15
; %bb.16:
	s_or_b32 exec_lo, exec_lo, s0
	v_add_nc_u32_e32 v0, s16, v0
	v_perm_b32 v4, v38, v37, 0x5040100
	s_mov_b32 s0, 0
	s_delay_alu instid0(VALU_DEP_2) | instskip(NEXT) | instid1(VALU_DEP_1)
	v_ashrrev_i32_e32 v1, 31, v0
	v_lshlrev_b64 v[0:1], 1, v[0:1]
	s_delay_alu instid0(VALU_DEP_1) | instskip(NEXT) | instid1(VALU_DEP_2)
	v_add_co_u32 v0, vcc_lo, s10, v0
	v_add_co_ci_u32_e32 v1, vcc_lo, s11, v1, vcc_lo
	global_load_b32 v3, v[0:1], off
.LBB22_17:                              ; =>This Inner Loop Header: Depth=1
	s_waitcnt vmcnt(0)
	v_pk_add_f16 v2, v4, v3
	global_atomic_cmpswap_b32 v2, v[0:1], v[2:3], off glc
	s_waitcnt vmcnt(0)
	v_cmp_eq_u32_e32 vcc_lo, v3, v2
	v_mov_b32_e32 v3, v2
	s_or_b32 s0, vcc_lo, s0
	s_delay_alu instid0(SALU_CYCLE_1)
	s_and_not1_b32 exec_lo, exec_lo, s0
	s_cbranch_execnz .LBB22_17
; %bb.18:
	s_or_b32 exec_lo, exec_lo, s0
	global_load_b32 v3, v[0:1], off offset:4
	v_perm_b32 v4, v39, v36, 0x5040100
	s_mov_b32 s0, 0
.LBB22_19:                              ; =>This Inner Loop Header: Depth=1
	s_waitcnt vmcnt(0)
	s_delay_alu instid0(VALU_DEP_1)
	v_pk_add_f16 v2, v4, v3
	global_atomic_cmpswap_b32 v2, v[0:1], v[2:3], off offset:4 glc
	s_waitcnt vmcnt(0)
	v_cmp_eq_u32_e32 vcc_lo, v3, v2
	v_mov_b32_e32 v3, v2
	s_or_b32 s0, vcc_lo, s0
	s_delay_alu instid0(SALU_CYCLE_1)
	s_and_not1_b32 exec_lo, exec_lo, s0
	s_cbranch_execnz .LBB22_19
.LBB22_20:
	s_endpgm
	.section	.rodata,"a",@progbits
	.p2align	6, 0x0
	.amdhsa_kernel _ZN4vllm4gptq33gemm_half_q_half_gptq_8bit_kernelILb1ELi2EEEvPK6__halfPKjS6_S4_PS2_iiiibPKi
		.amdhsa_group_segment_fixed_size 512
		.amdhsa_private_segment_fixed_size 0
		.amdhsa_kernarg_size 72
		.amdhsa_user_sgpr_count 13
		.amdhsa_user_sgpr_dispatch_ptr 0
		.amdhsa_user_sgpr_queue_ptr 0
		.amdhsa_user_sgpr_kernarg_segment_ptr 1
		.amdhsa_user_sgpr_dispatch_id 0
		.amdhsa_user_sgpr_private_segment_size 0
		.amdhsa_wavefront_size32 1
		.amdhsa_uses_dynamic_stack 0
		.amdhsa_enable_private_segment 0
		.amdhsa_system_sgpr_workgroup_id_x 1
		.amdhsa_system_sgpr_workgroup_id_y 1
		.amdhsa_system_sgpr_workgroup_id_z 1
		.amdhsa_system_sgpr_workgroup_info 0
		.amdhsa_system_vgpr_workitem_id 0
		.amdhsa_next_free_vgpr 78
		.amdhsa_next_free_sgpr 24
		.amdhsa_reserve_vcc 1
		.amdhsa_float_round_mode_32 0
		.amdhsa_float_round_mode_16_64 0
		.amdhsa_float_denorm_mode_32 3
		.amdhsa_float_denorm_mode_16_64 3
		.amdhsa_dx10_clamp 1
		.amdhsa_ieee_mode 1
		.amdhsa_fp16_overflow 0
		.amdhsa_workgroup_processor_mode 1
		.amdhsa_memory_ordered 1
		.amdhsa_forward_progress 0
		.amdhsa_shared_vgpr_count 0
		.amdhsa_exception_fp_ieee_invalid_op 0
		.amdhsa_exception_fp_denorm_src 0
		.amdhsa_exception_fp_ieee_div_zero 0
		.amdhsa_exception_fp_ieee_overflow 0
		.amdhsa_exception_fp_ieee_underflow 0
		.amdhsa_exception_fp_ieee_inexact 0
		.amdhsa_exception_int_div_zero 0
	.end_amdhsa_kernel
	.section	.text._ZN4vllm4gptq33gemm_half_q_half_gptq_8bit_kernelILb1ELi2EEEvPK6__halfPKjS6_S4_PS2_iiiibPKi,"axG",@progbits,_ZN4vllm4gptq33gemm_half_q_half_gptq_8bit_kernelILb1ELi2EEEvPK6__halfPKjS6_S4_PS2_iiiibPKi,comdat
.Lfunc_end22:
	.size	_ZN4vllm4gptq33gemm_half_q_half_gptq_8bit_kernelILb1ELi2EEEvPK6__halfPKjS6_S4_PS2_iiiibPKi, .Lfunc_end22-_ZN4vllm4gptq33gemm_half_q_half_gptq_8bit_kernelILb1ELi2EEEvPK6__halfPKjS6_S4_PS2_iiiibPKi
                                        ; -- End function
	.section	.AMDGPU.csdata,"",@progbits
; Kernel info:
; codeLenInByte = 8012
; NumSgprs: 26
; NumVgprs: 78
; ScratchSize: 0
; MemoryBound: 0
; FloatMode: 240
; IeeeMode: 1
; LDSByteSize: 512 bytes/workgroup (compile time only)
; SGPRBlocks: 3
; VGPRBlocks: 9
; NumSGPRsForWavesPerEU: 26
; NumVGPRsForWavesPerEU: 78
; Occupancy: 16
; WaveLimiterHint : 0
; COMPUTE_PGM_RSRC2:SCRATCH_EN: 0
; COMPUTE_PGM_RSRC2:USER_SGPR: 13
; COMPUTE_PGM_RSRC2:TRAP_HANDLER: 0
; COMPUTE_PGM_RSRC2:TGID_X_EN: 1
; COMPUTE_PGM_RSRC2:TGID_Y_EN: 1
; COMPUTE_PGM_RSRC2:TGID_Z_EN: 1
; COMPUTE_PGM_RSRC2:TIDIG_COMP_CNT: 0
	.section	.text._ZN4vllm4gptq33gemm_half_q_half_gptq_2bit_kernelILb1ELi3EEEvPK6__halfPKjS6_S4_PS2_iiiibPKi,"axG",@progbits,_ZN4vllm4gptq33gemm_half_q_half_gptq_2bit_kernelILb1ELi3EEEvPK6__halfPKjS6_S4_PS2_iiiibPKi,comdat
	.protected	_ZN4vllm4gptq33gemm_half_q_half_gptq_2bit_kernelILb1ELi3EEEvPK6__halfPKjS6_S4_PS2_iiiibPKi ; -- Begin function _ZN4vllm4gptq33gemm_half_q_half_gptq_2bit_kernelILb1ELi3EEEvPK6__halfPKjS6_S4_PS2_iiiibPKi
	.globl	_ZN4vllm4gptq33gemm_half_q_half_gptq_2bit_kernelILb1ELi3EEEvPK6__halfPKjS6_S4_PS2_iiiibPKi
	.p2align	8
	.type	_ZN4vllm4gptq33gemm_half_q_half_gptq_2bit_kernelILb1ELi3EEEvPK6__halfPKjS6_S4_PS2_iiiibPKi,@function
_ZN4vllm4gptq33gemm_half_q_half_gptq_2bit_kernelILb1ELi3EEEvPK6__halfPKjS6_S4_PS2_iiiibPKi: ; @_ZN4vllm4gptq33gemm_half_q_half_gptq_2bit_kernelILb1ELi3EEEvPK6__halfPKjS6_S4_PS2_iiiibPKi
; %bb.0:
	s_load_b128 s[16:19], s[0:1], 0x2c
	s_lshl_b32 s15, s15, 7
	s_load_b256 s[4:11], s[0:1], 0x8
	s_add_i32 s2, s15, 0x80
	s_mul_i32 s12, s14, 3
	v_cvt_f64_u32_e32 v[1:2], s2
	s_mov_b32 s14, exec_lo
	s_waitcnt lgkmcnt(0)
	v_cvt_f64_i32_e32 v[3:4], s17
	s_delay_alu instid0(VALU_DEP_1) | instskip(NEXT) | instid1(VALU_DEP_1)
	v_min_f64 v[1:2], v[1:2], v[3:4]
	v_cvt_i32_f64_e32 v2, v[1:2]
	v_add_nc_u32_e32 v1, s15, v0
	s_delay_alu instid0(VALU_DEP_2) | instskip(NEXT) | instid1(VALU_DEP_2)
	v_readfirstlane_b32 s20, v2
	v_cmpx_lt_u32_e64 v1, v2
	s_cbranch_execz .LBB23_8
; %bb.1:
	s_clause 0x1
	s_load_b64 s[2:3], s[0:1], 0x40
	s_load_b64 s[0:1], s[0:1], 0x0
	v_mov_b32_e32 v2, 0
	s_delay_alu instid0(VALU_DEP_1) | instskip(SKIP_2) | instid1(VALU_DEP_2)
	v_lshlrev_b64 v[3:4], 2, v[1:2]
	v_dual_mov_b32 v6, v2 :: v_dual_mov_b32 v5, v1
	s_waitcnt lgkmcnt(0)
	v_add_co_u32 v3, vcc_lo, s2, v3
	s_delay_alu instid0(VALU_DEP_3)
	v_add_co_ci_u32_e32 v4, vcc_lo, s3, v4, vcc_lo
	s_cmp_lg_u64 s[2:3], 0
	s_cselect_b32 s21, -1, 0
	s_cmp_eq_u64 s[2:3], 0
	s_cbranch_scc1 .LBB23_3
; %bb.2:
	global_load_b32 v5, v[3:4], off
	s_waitcnt vmcnt(0)
	v_ashrrev_i32_e32 v6, 31, v5
.LBB23_3:
	s_mul_i32 s2, s12, s17
	s_delay_alu instid0(VALU_DEP_1)
	v_lshlrev_b64 v[5:6], 1, v[5:6]
	s_ashr_i32 s3, s2, 31
	v_lshlrev_b32_e32 v7, 1, v0
	s_lshl_b64 s[22:23], s[2:3], 1
	v_cndmask_b32_e64 v8, 0, 1, s21
	s_add_u32 s3, s0, s22
	s_addc_u32 s22, s1, s23
	v_add_co_u32 v5, vcc_lo, s3, v5
	v_add_co_ci_u32_e32 v6, vcc_lo, s22, v6, vcc_lo
	s_and_not1_b32 vcc_lo, exec_lo, s21
	global_load_u16 v9, v[5:6], off
	v_dual_mov_b32 v6, v2 :: v_dual_mov_b32 v5, v1
	s_waitcnt vmcnt(0)
	ds_store_b16 v7, v9
	s_cbranch_vccnz .LBB23_5
; %bb.4:
	global_load_b32 v5, v[3:4], off
	s_waitcnt vmcnt(0)
	v_ashrrev_i32_e32 v6, 31, v5
.LBB23_5:
	s_add_i32 s2, s2, s17
	s_delay_alu instid0(VALU_DEP_1) | instskip(SKIP_1) | instid1(SALU_CYCLE_1)
	v_lshlrev_b64 v[5:6], 1, v[5:6]
	s_ashr_i32 s3, s2, 31
	s_lshl_b64 s[22:23], s[2:3], 1
	s_delay_alu instid0(SALU_CYCLE_1) | instskip(SKIP_1) | instid1(VALU_DEP_1)
	s_add_u32 s3, s0, s22
	s_addc_u32 s21, s1, s23
	v_add_co_u32 v5, vcc_lo, s3, v5
	v_add_co_ci_u32_e32 v6, vcc_lo, s21, v6, vcc_lo
	v_cmp_ne_u32_e32 vcc_lo, 1, v8
	global_load_u16 v5, v[5:6], off
	s_waitcnt vmcnt(0)
	ds_store_b16 v7, v5 offset:256
	s_cbranch_vccnz .LBB23_7
; %bb.6:
	global_load_b32 v1, v[3:4], off
	s_waitcnt vmcnt(0)
	v_ashrrev_i32_e32 v2, 31, v1
.LBB23_7:
	s_add_i32 s2, s2, s17
	s_delay_alu instid0(VALU_DEP_1) | instskip(SKIP_1) | instid1(SALU_CYCLE_1)
	v_lshlrev_b64 v[1:2], 1, v[1:2]
	s_ashr_i32 s3, s2, 31
	s_lshl_b64 s[2:3], s[2:3], 1
	s_delay_alu instid0(SALU_CYCLE_1) | instskip(SKIP_1) | instid1(VALU_DEP_1)
	s_add_u32 s0, s0, s2
	s_addc_u32 s1, s1, s3
	v_add_co_u32 v1, vcc_lo, s0, v1
	v_add_co_ci_u32_e32 v2, vcc_lo, s1, v2, vcc_lo
	global_load_u16 v1, v[1:2], off
	s_waitcnt vmcnt(0)
	ds_store_b16 v7, v1 offset:512
.LBB23_8:
	s_or_b32 exec_lo, exec_lo, s14
	v_lshlrev_b32_e32 v1, 2, v0
	s_mov_b32 s0, exec_lo
	s_delay_alu instid0(VALU_DEP_1) | instskip(NEXT) | instid1(VALU_DEP_1)
	v_lshl_add_u32 v1, s13, 9, v1
	v_cmpx_gt_i32_e64 s16, v1
	s_cbranch_execz .LBB23_26
; %bb.9:
	s_abs_i32 s0, s18
	v_dual_mov_b32 v11, 0 :: v_dual_mov_b32 v10, 0
	v_cvt_f32_u32_e32 v2, s0
	v_dual_mov_b32 v9, 0 :: v_dual_mov_b32 v8, 0
	v_mov_b32_e32 v7, 0
	s_cmp_ge_i32 s15, s20
	s_delay_alu instid0(VALU_DEP_3)
	v_rcp_iflag_f32_e32 v2, v2
	s_mov_b32 s2, 0
	s_waitcnt lgkmcnt(0)
	s_barrier
	buffer_gl0_inv
	v_dual_mov_b32 v13, 0 :: v_dual_mul_f32 v2, 0x4f7ffffe, v2
	s_delay_alu instid0(VALU_DEP_1) | instskip(NEXT) | instid1(VALU_DEP_1)
	v_cvt_u32_f32_e32 v2, v2
	v_readfirstlane_b32 s1, v2
	s_cbranch_scc1 .LBB23_14
; %bb.10:
	s_sub_i32 s3, 0, s0
	s_abs_i32 s13, s17
	s_delay_alu instid0(VALU_DEP_1)
	s_mul_i32 s3, s3, s1
	s_ashr_i32 s14, s18, 31
	s_mul_hi_u32 s3, s1, s3
	v_dual_mov_b32 v7, 0 :: v_dual_lshlrev_b32 v14, 3, v0
	s_add_i32 s1, s1, s3
	s_ashr_i32 s3, s17, 31
	s_mul_hi_u32 s1, s13, s1
	s_xor_b32 s3, s3, s14
	s_mul_i32 s17, s1, s0
	s_add_i32 s14, s1, 1
	s_sub_i32 s13, s13, s17
	v_dual_mov_b32 v9, 0 :: v_dual_and_b32 v0, 24, v14
	s_sub_i32 s17, s13, s0
	s_cmp_ge_u32 s13, s0
	v_mov_b32_e32 v11, 0
	s_cselect_b32 s1, s14, s1
	s_cselect_b32 s13, s17, s13
	s_add_i32 s14, s1, 1
	s_cmp_ge_u32 s13, s0
	v_mov_b32_e32 v10, 0
	s_cselect_b32 s0, s14, s1
	v_mov_b32_e32 v8, 0
	s_xor_b32 s0, s0, s3
	s_delay_alu instid0(SALU_CYCLE_1)
	s_sub_i32 s3, s0, s3
	s_bitcmp1_b32 s19, 0
	v_cvt_f32_u32_e32 v2, s3
	s_cselect_b32 s1, -1, 0
	s_sub_i32 s13, 0, s3
	s_xor_b32 s1, s1, -1
	s_delay_alu instid0(VALU_DEP_1) | instskip(SKIP_2) | instid1(VALU_DEP_1)
	v_rcp_iflag_f32_e32 v2, v2
	s_waitcnt_depctr 0xfff
	v_mul_f32_e32 v2, 0x4f7ffffe, v2
	v_cvt_u32_f32_e32 v2, v2
	s_delay_alu instid0(VALU_DEP_1) | instskip(SKIP_1) | instid1(VALU_DEP_2)
	v_readfirstlane_b32 s0, v2
	v_ashrrev_i32_e32 v2, 31, v1
	s_mul_i32 s13, s13, s0
	s_delay_alu instid0(VALU_DEP_1) | instskip(SKIP_1) | instid1(SALU_CYCLE_1)
	v_lshrrev_b32_e32 v3, 28, v2
	s_mul_hi_u32 s13, s0, s13
	s_add_i32 s0, s0, s13
	s_delay_alu instid0(VALU_DEP_1) | instskip(SKIP_1) | instid1(SALU_CYCLE_1)
	v_add_nc_u32_e32 v3, v1, v3
	s_mul_hi_u32 s0, s15, s0
	s_mul_i32 s13, s0, s3
	s_add_i32 s14, s0, 1
	s_sub_i32 s13, s15, s13
	v_ashrrev_i32_e32 v12, 4, v3
	s_sub_i32 s17, s13, s3
	s_cmp_ge_u32 s13, s3
	s_cselect_b32 s0, s14, s0
	s_cselect_b32 s13, s17, s13
	s_add_i32 s14, s0, 1
	s_cmp_ge_u32 s13, s3
	s_cselect_b32 s13, s14, s0
	s_add_i32 s18, s3, s15
	s_mul_i32 s0, s13, s16
	s_ashr_i32 s17, s16, 31
	s_ashr_i32 s14, s0, 31
	v_add_nc_u32_e32 v5, s0, v1
	s_lshr_b32 s14, s14, 28
	s_delay_alu instid0(SALU_CYCLE_1)
	s_add_i32 s14, s0, s14
	s_lshr_b32 s0, s15, 4
	s_ashr_i32 s14, s14, 4
	v_ashrrev_i32_e32 v6, 31, v5
	v_add_nc_u32_e32 v3, s14, v12
	s_mul_i32 s0, s0, s16
	s_mov_b32 s14, 0x30003
	s_delay_alu instid0(VALU_DEP_1) | instskip(NEXT) | instid1(VALU_DEP_1)
	v_ashrrev_i32_e32 v4, 31, v3
	v_lshlrev_b64 v[3:4], 2, v[3:4]
	s_delay_alu instid0(VALU_DEP_1) | instskip(NEXT) | instid1(VALU_DEP_2)
	v_add_co_u32 v3, vcc_lo, s6, v3
	v_add_co_ci_u32_e32 v4, vcc_lo, s7, v4, vcc_lo
	global_load_b32 v13, v[3:4], off
	v_lshlrev_b64 v[3:4], 1, v[5:6]
	v_lshlrev_b64 v[5:6], 2, v[1:2]
	v_cndmask_b32_e64 v2, 0, 1, s1
	s_ashr_i32 s1, s0, 31
	s_delay_alu instid0(SALU_CYCLE_1) | instskip(NEXT) | instid1(VALU_DEP_3)
	s_lshl_b64 s[0:1], s[0:1], 2
	v_add_co_u32 v3, vcc_lo, s8, v3
	v_add_co_ci_u32_e32 v4, vcc_lo, s9, v4, vcc_lo
	s_add_u32 s4, s4, s0
	s_addc_u32 s5, s5, s1
	v_add_co_u32 v5, vcc_lo, s4, v5
	global_load_b64 v[3:4], v[3:4], off
	v_add_co_ci_u32_e32 v6, vcc_lo, s5, v6, vcc_lo
	v_add_co_u32 v5, vcc_lo, v5, 8
	s_lshl_b64 s[0:1], s[16:17], 2
	s_delay_alu instid0(VALU_DEP_2)
	v_add_co_ci_u32_e32 v6, vcc_lo, 0, v6, vcc_lo
	s_mov_b32 s4, 0xc000c
	s_mov_b32 s5, 0x300030
	;; [unrolled: 1-line block ×3, first 2 shown]
	s_waitcnt vmcnt(1)
	v_lshrrev_b32_e32 v17, v14, v13
	v_bfe_u32 v14, v13, v0, 2
	v_mov_b32_e32 v13, 0
	s_delay_alu instid0(VALU_DEP_3)
	v_bfe_u32 v15, v17, 2, 2
	v_bfe_u32 v16, v17, 4, 2
	;; [unrolled: 1-line block ×3, first 2 shown]
	s_branch .LBB23_12
.LBB23_11:                              ;   in Loop: Header=BB23_12 Depth=1
	global_load_b128 v[18:21], v[5:6], off offset:-8
	v_add_nc_u32_e32 v22, v14, v2
	v_dual_mov_b32 v44, s2 :: v_dual_add_nc_u32 v23, v15, v2
	v_add_nc_u32_e32 v24, v16, v2
	v_add_nc_u32_e32 v25, v17, v2
	s_delay_alu instid0(VALU_DEP_4)
	v_cvt_f32_i32_e32 v38, v22
	v_or_b32_e32 v46, 0xffffe400, v22
	v_or_b32_e32 v47, 0xffffe400, v23
	v_cvt_f32_i32_e32 v48, v23
	v_or_b32_e32 v49, 0xffffe400, v24
	v_cvt_f32_i32_e32 v50, v24
	;; [unrolled: 2-line block ×3, first 2 shown]
	ds_load_2addr_b32 v[22:23], v44 offset1:1
	ds_load_2addr_b32 v[24:25], v44 offset0:2 offset1:3
	ds_load_2addr_b32 v[26:27], v44 offset0:4 offset1:5
	;; [unrolled: 1-line block ×7, first 2 shown]
	v_cvt_f16_f32_e32 v53, v38
	ds_load_2addr_b32 v[38:39], v44 offset0:128 offset1:129
	ds_load_2addr_b32 v[40:41], v44 offset0:130 offset1:131
	;; [unrolled: 1-line block ×4, first 2 shown]
	v_cvt_f16_f32_e32 v48, v48
	v_cvt_f16_f32_e32 v50, v50
	;; [unrolled: 1-line block ×3, first 2 shown]
	v_sub_f16_e32 v54, 0xdc00, v53
	v_sub_f16_e32 v55, 0xd400, v53
	;; [unrolled: 1-line block ×12, first 2 shown]
	v_add_co_u32 v5, vcc_lo, v5, s0
	v_add_co_ci_u32_e32 v6, vcc_lo, s1, v6, vcc_lo
	s_add_i32 s15, s15, 16
	s_add_i32 s2, s2, 32
	s_cmp_ge_i32 s15, s20
	s_waitcnt vmcnt(0)
	v_and_or_b32 v62, v18, s14, 0x64006400
	v_and_or_b32 v63, v18, s4, 0x64006400
	v_and_or_b32 v64, v18, s5, 0x64006400
	v_and_or_b32 v65, v18, s17, 0x64006400
	v_lshrrev_b32_e32 v18, 8, v18
	v_and_or_b32 v66, v19, s14, 0x64006400
	v_and_or_b32 v67, v19, s4, 0x64006400
	v_and_or_b32 v68, v19, s5, 0x64006400
	v_and_or_b32 v69, v19, s17, 0x64006400
	v_lshrrev_b32_e32 v19, 8, v19
	;; [unrolled: 5-line block ×4, first 2 shown]
	v_and_or_b32 v78, v18, s14, 0x64006400
	v_and_or_b32 v79, v18, s4, 0x64006400
	v_and_or_b32 v80, v18, s5, 0x64006400
	v_and_or_b32 v18, v18, s17, 0x64006400
	v_pk_add_f16 v62, v46, v62 op_sel_hi:[0,1]
	v_and_or_b32 v81, v19, s14, 0x64006400
	v_and_or_b32 v82, v19, s4, 0x64006400
	v_and_or_b32 v83, v19, s5, 0x64006400
	v_and_or_b32 v19, v19, s17, 0x64006400
	v_pk_add_f16 v66, v47, v66 op_sel_hi:[0,1]
	;; [unrolled: 5-line block ×4, first 2 shown]
	v_pk_fma_f16 v63, 0x3400, v63, v54 op_sel_hi:[0,1,0]
	v_pk_fma_f16 v65, 0x2400, v65, v53 op_sel_hi:[0,1,0]
	;; [unrolled: 1-line block ×11, first 2 shown]
	v_pk_add_f16 v46, v46, v78 op_sel_hi:[0,1]
	v_pk_fma_f16 v54, 0x3400, v79, v54 op_sel_hi:[0,1,0]
	v_pk_fma_f16 v18, 0x2400, v18, v53 op_sel_hi:[0,1,0]
	;; [unrolled: 1-line block ×5, first 2 shown]
	v_pk_add_f16 v48, v49, v84 op_sel_hi:[0,1]
	v_pk_fma_f16 v49, 0x3400, v85, v58 op_sel_hi:[0,1,0]
	v_pk_fma_f16 v57, 0x2c00, v86, v59 op_sel_hi:[0,1,0]
	;; [unrolled: 1-line block ×3, first 2 shown]
	v_pk_add_f16 v50, v51, v87 op_sel_hi:[0,1]
	v_pk_fma_f16 v51, 0x3400, v88, v60 op_sel_hi:[0,1,0]
	v_pk_fma_f16 v58, 0x2c00, v89, v61 op_sel_hi:[0,1,0]
	;; [unrolled: 1-line block ×3, first 2 shown]
	s_waitcnt lgkmcnt(11)
	v_pk_fma_f16 v52, v62, v22, 0
	v_pk_fma_f16 v59, v66, v22, 0
	v_pk_fma_f16 v60, v70, v22, 0
	v_pk_fma_f16 v22, v74, v22, 0
	s_waitcnt lgkmcnt(7)
	v_pk_fma_f16 v61, v62, v30, 0
	v_pk_fma_f16 v78, v66, v30, 0
	v_pk_fma_f16 v79, v70, v30, 0
	v_pk_fma_f16 v30, v74, v30, 0
	;; [unrolled: 5-line block ×3, first 2 shown]
	v_pk_fma_f16 v64, 0x2c00, v64, v55 op_sel_hi:[0,1,0]
	v_pk_fma_f16 v52, v63, v23, v52
	v_pk_fma_f16 v59, v67, v23, v59
	;; [unrolled: 1-line block ×20, first 2 shown]
	s_waitcnt lgkmcnt(2)
	v_pk_fma_f16 v31, v64, v40, v31
	v_pk_fma_f16 v32, v68, v40, v62
	;; [unrolled: 1-line block ×4, first 2 shown]
	v_pk_add_f16 v47, v47, v81 op_sel_hi:[0,1]
	v_pk_fma_f16 v39, v65, v25, v39
	v_pk_fma_f16 v40, v69, v25, v52
	;; [unrolled: 1-line block ×20, first 2 shown]
	s_waitcnt lgkmcnt(1)
	v_pk_fma_f16 v30, v46, v42, v31
	v_pk_fma_f16 v31, v47, v42, v32
	;; [unrolled: 1-line block ×4, first 2 shown]
	v_pk_fma_f16 v55, 0x2c00, v80, v55 op_sel_hi:[0,1,0]
	v_pk_fma_f16 v34, v54, v27, v39
	v_pk_fma_f16 v38, v53, v27, v40
	;; [unrolled: 1-line block ×20, first 2 shown]
	s_waitcnt lgkmcnt(0)
	v_pk_fma_f16 v27, v55, v44, v27
	v_pk_fma_f16 v28, v56, v44, v30
	v_pk_fma_f16 v30, v57, v44, v31
	v_pk_fma_f16 v31, v58, v44, v32
	v_pk_fma_f16 v32, v18, v29, v33
	v_pk_fma_f16 v33, v19, v29, v34
	v_pk_fma_f16 v34, v20, v29, v35
	v_pk_fma_f16 v22, v21, v29, v22
	v_pk_fma_f16 v23, v18, v37, v23
	v_pk_fma_f16 v24, v19, v37, v24
	v_pk_fma_f16 v25, v20, v37, v25
	v_pk_fma_f16 v26, v21, v37, v26
	v_pk_fma_f16 v18, v18, v45, v27
	v_pk_fma_f16 v19, v19, v45, v28
	v_pk_fma_f16 v20, v20, v45, v30
	v_pk_fma_f16 v21, v21, v45, v31
	v_pack_b32_f16 v27, v32, v33
	v_perm_b32 v28, v33, v32, 0x7060302
	v_pack_b32_f16 v29, v34, v22
	v_perm_b32 v22, v22, v34, 0x7060302
	;; [unrolled: 2-line block ×6, first 2 shown]
	v_pk_add_f16 v21, v27, v28
	v_pk_add_f16 v22, v29, v22
	v_pk_add_f16 v23, v30, v23
	v_pk_add_f16 v24, v24, v25
	v_pk_add_f16 v18, v26, v18
	v_pk_add_f16 v19, v19, v20
	v_pk_fma_f16 v13, v21, v3, v13
	v_pk_fma_f16 v11, v22, v4, v11
	;; [unrolled: 1-line block ×6, first 2 shown]
	s_cbranch_scc1 .LBB23_14
.LBB23_12:                              ; =>This Inner Loop Header: Depth=1
	s_cmp_lg_u32 s15, s18
	s_cbranch_scc1 .LBB23_11
; %bb.13:                               ;   in Loop: Header=BB23_12 Depth=1
	s_add_i32 s13, s13, 1
	s_add_i32 s18, s18, s3
	s_mul_i32 s19, s13, s16
	s_delay_alu instid0(SALU_CYCLE_1) | instskip(SKIP_2) | instid1(SALU_CYCLE_1)
	s_ashr_i32 s21, s19, 31
	v_add_nc_u32_e32 v14, s19, v1
	s_lshr_b32 s21, s21, 28
	s_add_i32 s21, s19, s21
	s_delay_alu instid0(VALU_DEP_1) | instskip(SKIP_3) | instid1(VALU_DEP_2)
	v_ashrrev_i32_e32 v15, 31, v14
	s_ashr_i32 s21, s21, 4
	s_waitcnt vmcnt(0)
	v_add_nc_u32_e32 v3, s21, v12
	v_lshlrev_b64 v[14:15], 1, v[14:15]
	s_delay_alu instid0(VALU_DEP_2) | instskip(NEXT) | instid1(VALU_DEP_1)
	v_ashrrev_i32_e32 v4, 31, v3
	v_lshlrev_b64 v[3:4], 2, v[3:4]
	s_delay_alu instid0(VALU_DEP_1) | instskip(NEXT) | instid1(VALU_DEP_2)
	v_add_co_u32 v3, vcc_lo, s6, v3
	v_add_co_ci_u32_e32 v4, vcc_lo, s7, v4, vcc_lo
	global_load_b32 v16, v[3:4], off
	v_add_co_u32 v3, vcc_lo, s8, v14
	v_add_co_ci_u32_e32 v4, vcc_lo, s9, v15, vcc_lo
	global_load_b64 v[3:4], v[3:4], off
	s_waitcnt vmcnt(1)
	v_lshrrev_b32_e32 v17, v0, v16
	v_bfe_u32 v14, v16, v0, 2
	s_delay_alu instid0(VALU_DEP_2)
	v_bfe_u32 v15, v17, 2, 2
	v_bfe_u32 v16, v17, 4, 2
	v_bfe_u32 v17, v17, 6, 2
	s_branch .LBB23_11
.LBB23_14:
	v_mad_u64_u32 v[2:3], null, s12, s16, v[1:2]
	s_mov_b32 s0, 0
	s_delay_alu instid0(VALU_DEP_1) | instskip(NEXT) | instid1(VALU_DEP_1)
	v_ashrrev_i32_e32 v3, 31, v2
	v_lshlrev_b64 v[0:1], 1, v[2:3]
	s_delay_alu instid0(VALU_DEP_1) | instskip(NEXT) | instid1(VALU_DEP_2)
	v_add_co_u32 v0, vcc_lo, s10, v0
	v_add_co_ci_u32_e32 v1, vcc_lo, s11, v1, vcc_lo
	global_load_b32 v4, v[0:1], off
.LBB23_15:                              ; =>This Inner Loop Header: Depth=1
	s_waitcnt vmcnt(0)
	v_pk_add_f16 v3, v13, v4
	global_atomic_cmpswap_b32 v3, v[0:1], v[3:4], off glc
	s_waitcnt vmcnt(0)
	v_cmp_eq_u32_e32 vcc_lo, v4, v3
	v_mov_b32_e32 v4, v3
	s_or_b32 s0, vcc_lo, s0
	s_delay_alu instid0(SALU_CYCLE_1)
	s_and_not1_b32 exec_lo, exec_lo, s0
	s_cbranch_execnz .LBB23_15
; %bb.16:
	s_or_b32 exec_lo, exec_lo, s0
	global_load_b32 v4, v[0:1], off offset:4
	s_mov_b32 s0, 0
.LBB23_17:                              ; =>This Inner Loop Header: Depth=1
	s_waitcnt vmcnt(0)
	v_pk_add_f16 v3, v11, v4
	global_atomic_cmpswap_b32 v3, v[0:1], v[3:4], off offset:4 glc
	s_waitcnt vmcnt(0)
	v_cmp_eq_u32_e32 vcc_lo, v4, v3
	v_mov_b32_e32 v4, v3
	s_or_b32 s0, vcc_lo, s0
	s_delay_alu instid0(SALU_CYCLE_1)
	s_and_not1_b32 exec_lo, exec_lo, s0
	s_cbranch_execnz .LBB23_17
; %bb.18:
	s_or_b32 exec_lo, exec_lo, s0
	v_add_nc_u32_e32 v0, s16, v2
	s_mov_b32 s0, 0
	s_delay_alu instid0(VALU_DEP_1) | instskip(NEXT) | instid1(VALU_DEP_1)
	v_ashrrev_i32_e32 v1, 31, v0
	v_lshlrev_b64 v[1:2], 1, v[0:1]
	s_delay_alu instid0(VALU_DEP_1) | instskip(NEXT) | instid1(VALU_DEP_2)
	v_add_co_u32 v1, vcc_lo, s10, v1
	v_add_co_ci_u32_e32 v2, vcc_lo, s11, v2, vcc_lo
	global_load_b32 v4, v[1:2], off
.LBB23_19:                              ; =>This Inner Loop Header: Depth=1
	s_waitcnt vmcnt(0)
	v_pk_add_f16 v3, v10, v4
	global_atomic_cmpswap_b32 v3, v[1:2], v[3:4], off glc
	s_waitcnt vmcnt(0)
	v_cmp_eq_u32_e32 vcc_lo, v4, v3
	v_mov_b32_e32 v4, v3
	s_or_b32 s0, vcc_lo, s0
	s_delay_alu instid0(SALU_CYCLE_1)
	s_and_not1_b32 exec_lo, exec_lo, s0
	s_cbranch_execnz .LBB23_19
; %bb.20:
	s_or_b32 exec_lo, exec_lo, s0
	global_load_b32 v4, v[1:2], off offset:4
	s_mov_b32 s0, 0
.LBB23_21:                              ; =>This Inner Loop Header: Depth=1
	s_waitcnt vmcnt(0)
	v_pk_add_f16 v3, v9, v4
	global_atomic_cmpswap_b32 v3, v[1:2], v[3:4], off offset:4 glc
	s_waitcnt vmcnt(0)
	v_cmp_eq_u32_e32 vcc_lo, v4, v3
	v_mov_b32_e32 v4, v3
	s_or_b32 s0, vcc_lo, s0
	s_delay_alu instid0(SALU_CYCLE_1)
	s_and_not1_b32 exec_lo, exec_lo, s0
	s_cbranch_execnz .LBB23_21
; %bb.22:
	s_or_b32 exec_lo, exec_lo, s0
	v_add_nc_u32_e32 v0, s16, v0
	s_mov_b32 s0, 0
	s_delay_alu instid0(VALU_DEP_1) | instskip(NEXT) | instid1(VALU_DEP_1)
	v_ashrrev_i32_e32 v1, 31, v0
	v_lshlrev_b64 v[0:1], 1, v[0:1]
	s_delay_alu instid0(VALU_DEP_1) | instskip(NEXT) | instid1(VALU_DEP_2)
	v_add_co_u32 v0, vcc_lo, s10, v0
	v_add_co_ci_u32_e32 v1, vcc_lo, s11, v1, vcc_lo
	global_load_b32 v3, v[0:1], off
.LBB23_23:                              ; =>This Inner Loop Header: Depth=1
	s_waitcnt vmcnt(0)
	v_pk_add_f16 v2, v8, v3
	global_atomic_cmpswap_b32 v2, v[0:1], v[2:3], off glc
	s_waitcnt vmcnt(0)
	v_cmp_eq_u32_e32 vcc_lo, v3, v2
	v_mov_b32_e32 v3, v2
	s_or_b32 s0, vcc_lo, s0
	s_delay_alu instid0(SALU_CYCLE_1)
	s_and_not1_b32 exec_lo, exec_lo, s0
	s_cbranch_execnz .LBB23_23
; %bb.24:
	s_or_b32 exec_lo, exec_lo, s0
	global_load_b32 v3, v[0:1], off offset:4
	s_mov_b32 s0, 0
.LBB23_25:                              ; =>This Inner Loop Header: Depth=1
	s_waitcnt vmcnt(0)
	v_pk_add_f16 v2, v7, v3
	global_atomic_cmpswap_b32 v2, v[0:1], v[2:3], off offset:4 glc
	s_waitcnt vmcnt(0)
	v_cmp_eq_u32_e32 vcc_lo, v3, v2
	v_mov_b32_e32 v3, v2
	s_or_b32 s0, vcc_lo, s0
	s_delay_alu instid0(SALU_CYCLE_1)
	s_and_not1_b32 exec_lo, exec_lo, s0
	s_cbranch_execnz .LBB23_25
.LBB23_26:
	s_endpgm
	.section	.rodata,"a",@progbits
	.p2align	6, 0x0
	.amdhsa_kernel _ZN4vllm4gptq33gemm_half_q_half_gptq_2bit_kernelILb1ELi3EEEvPK6__halfPKjS6_S4_PS2_iiiibPKi
		.amdhsa_group_segment_fixed_size 768
		.amdhsa_private_segment_fixed_size 0
		.amdhsa_kernarg_size 72
		.amdhsa_user_sgpr_count 13
		.amdhsa_user_sgpr_dispatch_ptr 0
		.amdhsa_user_sgpr_queue_ptr 0
		.amdhsa_user_sgpr_kernarg_segment_ptr 1
		.amdhsa_user_sgpr_dispatch_id 0
		.amdhsa_user_sgpr_private_segment_size 0
		.amdhsa_wavefront_size32 1
		.amdhsa_uses_dynamic_stack 0
		.amdhsa_enable_private_segment 0
		.amdhsa_system_sgpr_workgroup_id_x 1
		.amdhsa_system_sgpr_workgroup_id_y 1
		.amdhsa_system_sgpr_workgroup_id_z 1
		.amdhsa_system_sgpr_workgroup_info 0
		.amdhsa_system_vgpr_workitem_id 0
		.amdhsa_next_free_vgpr 90
		.amdhsa_next_free_sgpr 24
		.amdhsa_reserve_vcc 1
		.amdhsa_float_round_mode_32 0
		.amdhsa_float_round_mode_16_64 0
		.amdhsa_float_denorm_mode_32 3
		.amdhsa_float_denorm_mode_16_64 3
		.amdhsa_dx10_clamp 1
		.amdhsa_ieee_mode 1
		.amdhsa_fp16_overflow 0
		.amdhsa_workgroup_processor_mode 1
		.amdhsa_memory_ordered 1
		.amdhsa_forward_progress 0
		.amdhsa_shared_vgpr_count 0
		.amdhsa_exception_fp_ieee_invalid_op 0
		.amdhsa_exception_fp_denorm_src 0
		.amdhsa_exception_fp_ieee_div_zero 0
		.amdhsa_exception_fp_ieee_overflow 0
		.amdhsa_exception_fp_ieee_underflow 0
		.amdhsa_exception_fp_ieee_inexact 0
		.amdhsa_exception_int_div_zero 0
	.end_amdhsa_kernel
	.section	.text._ZN4vllm4gptq33gemm_half_q_half_gptq_2bit_kernelILb1ELi3EEEvPK6__halfPKjS6_S4_PS2_iiiibPKi,"axG",@progbits,_ZN4vllm4gptq33gemm_half_q_half_gptq_2bit_kernelILb1ELi3EEEvPK6__halfPKjS6_S4_PS2_iiiibPKi,comdat
.Lfunc_end23:
	.size	_ZN4vllm4gptq33gemm_half_q_half_gptq_2bit_kernelILb1ELi3EEEvPK6__halfPKjS6_S4_PS2_iiiibPKi, .Lfunc_end23-_ZN4vllm4gptq33gemm_half_q_half_gptq_2bit_kernelILb1ELi3EEEvPK6__halfPKjS6_S4_PS2_iiiibPKi
                                        ; -- End function
	.section	.AMDGPU.csdata,"",@progbits
; Kernel info:
; codeLenInByte = 3852
; NumSgprs: 26
; NumVgprs: 90
; ScratchSize: 0
; MemoryBound: 0
; FloatMode: 240
; IeeeMode: 1
; LDSByteSize: 768 bytes/workgroup (compile time only)
; SGPRBlocks: 3
; VGPRBlocks: 11
; NumSGPRsForWavesPerEU: 26
; NumVGPRsForWavesPerEU: 90
; Occupancy: 16
; WaveLimiterHint : 0
; COMPUTE_PGM_RSRC2:SCRATCH_EN: 0
; COMPUTE_PGM_RSRC2:USER_SGPR: 13
; COMPUTE_PGM_RSRC2:TRAP_HANDLER: 0
; COMPUTE_PGM_RSRC2:TGID_X_EN: 1
; COMPUTE_PGM_RSRC2:TGID_Y_EN: 1
; COMPUTE_PGM_RSRC2:TGID_Z_EN: 1
; COMPUTE_PGM_RSRC2:TIDIG_COMP_CNT: 0
	.section	.text._ZN4vllm4gptq33gemm_half_q_half_gptq_3bit_kernelILb1ELi3EEEvPK6__halfPKjS6_S4_PS2_iiiibPKi,"axG",@progbits,_ZN4vllm4gptq33gemm_half_q_half_gptq_3bit_kernelILb1ELi3EEEvPK6__halfPKjS6_S4_PS2_iiiibPKi,comdat
	.protected	_ZN4vllm4gptq33gemm_half_q_half_gptq_3bit_kernelILb1ELi3EEEvPK6__halfPKjS6_S4_PS2_iiiibPKi ; -- Begin function _ZN4vllm4gptq33gemm_half_q_half_gptq_3bit_kernelILb1ELi3EEEvPK6__halfPKjS6_S4_PS2_iiiibPKi
	.globl	_ZN4vllm4gptq33gemm_half_q_half_gptq_3bit_kernelILb1ELi3EEEvPK6__halfPKjS6_S4_PS2_iiiibPKi
	.p2align	8
	.type	_ZN4vllm4gptq33gemm_half_q_half_gptq_3bit_kernelILb1ELi3EEEvPK6__halfPKjS6_S4_PS2_iiiibPKi,@function
_ZN4vllm4gptq33gemm_half_q_half_gptq_3bit_kernelILb1ELi3EEEvPK6__halfPKjS6_S4_PS2_iiiibPKi: ; @_ZN4vllm4gptq33gemm_half_q_half_gptq_3bit_kernelILb1ELi3EEEvPK6__halfPKjS6_S4_PS2_iiiibPKi
; %bb.0:
	s_load_b128 s[16:19], s[0:1], 0x2c
	s_lshl_b32 s15, s15, 7
	s_load_b256 s[4:11], s[0:1], 0x8
	s_add_i32 s2, s15, 0x80
	s_mul_i32 s12, s14, 3
	v_cvt_f64_u32_e32 v[1:2], s2
	s_mov_b32 s14, exec_lo
	s_waitcnt lgkmcnt(0)
	v_cvt_f64_i32_e32 v[3:4], s17
	s_delay_alu instid0(VALU_DEP_1) | instskip(NEXT) | instid1(VALU_DEP_1)
	v_min_f64 v[1:2], v[1:2], v[3:4]
	v_cvt_i32_f64_e32 v2, v[1:2]
	v_add_nc_u32_e32 v1, s15, v0
	s_delay_alu instid0(VALU_DEP_2) | instskip(NEXT) | instid1(VALU_DEP_2)
	v_readfirstlane_b32 s20, v2
	v_cmpx_lt_u32_e64 v1, v2
	s_cbranch_execz .LBB24_8
; %bb.1:
	s_clause 0x1
	s_load_b64 s[2:3], s[0:1], 0x40
	s_load_b64 s[0:1], s[0:1], 0x0
	v_mov_b32_e32 v2, 0
	s_delay_alu instid0(VALU_DEP_1) | instskip(SKIP_2) | instid1(VALU_DEP_2)
	v_lshlrev_b64 v[3:4], 2, v[1:2]
	v_dual_mov_b32 v6, v2 :: v_dual_mov_b32 v5, v1
	s_waitcnt lgkmcnt(0)
	v_add_co_u32 v3, vcc_lo, s2, v3
	s_delay_alu instid0(VALU_DEP_3)
	v_add_co_ci_u32_e32 v4, vcc_lo, s3, v4, vcc_lo
	s_cmp_lg_u64 s[2:3], 0
	s_cselect_b32 s21, -1, 0
	s_cmp_eq_u64 s[2:3], 0
	s_cbranch_scc1 .LBB24_3
; %bb.2:
	global_load_b32 v5, v[3:4], off
	s_waitcnt vmcnt(0)
	v_ashrrev_i32_e32 v6, 31, v5
.LBB24_3:
	s_mul_i32 s2, s12, s17
	s_delay_alu instid0(VALU_DEP_1)
	v_lshlrev_b64 v[5:6], 1, v[5:6]
	s_ashr_i32 s3, s2, 31
	v_lshlrev_b32_e32 v7, 1, v0
	s_lshl_b64 s[22:23], s[2:3], 1
	v_cndmask_b32_e64 v8, 0, 1, s21
	s_add_u32 s3, s0, s22
	s_addc_u32 s22, s1, s23
	v_add_co_u32 v5, vcc_lo, s3, v5
	v_add_co_ci_u32_e32 v6, vcc_lo, s22, v6, vcc_lo
	s_and_not1_b32 vcc_lo, exec_lo, s21
	global_load_u16 v9, v[5:6], off
	v_dual_mov_b32 v6, v2 :: v_dual_mov_b32 v5, v1
	s_waitcnt vmcnt(0)
	ds_store_b16 v7, v9
	s_cbranch_vccnz .LBB24_5
; %bb.4:
	global_load_b32 v5, v[3:4], off
	s_waitcnt vmcnt(0)
	v_ashrrev_i32_e32 v6, 31, v5
.LBB24_5:
	s_add_i32 s2, s2, s17
	s_delay_alu instid0(VALU_DEP_1) | instskip(SKIP_1) | instid1(SALU_CYCLE_1)
	v_lshlrev_b64 v[5:6], 1, v[5:6]
	s_ashr_i32 s3, s2, 31
	s_lshl_b64 s[22:23], s[2:3], 1
	s_delay_alu instid0(SALU_CYCLE_1) | instskip(SKIP_1) | instid1(VALU_DEP_1)
	s_add_u32 s3, s0, s22
	s_addc_u32 s21, s1, s23
	v_add_co_u32 v5, vcc_lo, s3, v5
	v_add_co_ci_u32_e32 v6, vcc_lo, s21, v6, vcc_lo
	v_cmp_ne_u32_e32 vcc_lo, 1, v8
	global_load_u16 v5, v[5:6], off
	s_waitcnt vmcnt(0)
	ds_store_b16 v7, v5 offset:256
	s_cbranch_vccnz .LBB24_7
; %bb.6:
	global_load_b32 v1, v[3:4], off
	s_waitcnt vmcnt(0)
	v_ashrrev_i32_e32 v2, 31, v1
.LBB24_7:
	s_add_i32 s2, s2, s17
	s_delay_alu instid0(VALU_DEP_1) | instskip(SKIP_1) | instid1(SALU_CYCLE_1)
	v_lshlrev_b64 v[1:2], 1, v[1:2]
	s_ashr_i32 s3, s2, 31
	s_lshl_b64 s[2:3], s[2:3], 1
	s_delay_alu instid0(SALU_CYCLE_1) | instskip(SKIP_1) | instid1(VALU_DEP_1)
	s_add_u32 s0, s0, s2
	s_addc_u32 s1, s1, s3
	v_add_co_u32 v1, vcc_lo, s0, v1
	v_add_co_ci_u32_e32 v2, vcc_lo, s1, v2, vcc_lo
	global_load_u16 v1, v[1:2], off
	s_waitcnt vmcnt(0)
	ds_store_b16 v7, v1 offset:512
.LBB24_8:
	s_or_b32 exec_lo, exec_lo, s14
	v_lshlrev_b32_e32 v1, 2, v0
	s_mov_b32 s0, exec_lo
	s_delay_alu instid0(VALU_DEP_1) | instskip(NEXT) | instid1(VALU_DEP_1)
	v_lshl_add_u32 v0, s13, 9, v1
	v_cmpx_gt_i32_e64 s16, v0
	s_cbranch_execz .LBB24_58
; %bb.9:
	s_abs_i32 s0, s18
	s_abs_i32 s3, s17
	v_cvt_f32_u32_e32 v2, s0
	s_sub_i32 s2, 0, s0
	s_waitcnt lgkmcnt(0)
	s_barrier
	buffer_gl0_inv
	v_rcp_iflag_f32_e32 v2, v2
                                        ; implicit-def: $vgpr4
                                        ; implicit-def: $vgpr5
	v_and_b32_e32 v3, 28, v1
	s_delay_alu instid0(VALU_DEP_1) | instskip(SKIP_2) | instid1(VALU_DEP_1)
	v_cmp_lt_u32_e32 vcc_lo, 4, v3
	s_waitcnt_depctr 0xfff
	v_mul_f32_e32 v2, 0x4f7ffffe, v2
	v_cvt_u32_f32_e32 v2, v2
	s_delay_alu instid0(VALU_DEP_1) | instskip(NEXT) | instid1(VALU_DEP_1)
	v_readfirstlane_b32 s1, v2
	s_mul_i32 s2, s2, s1
	s_delay_alu instid0(SALU_CYCLE_1) | instskip(NEXT) | instid1(SALU_CYCLE_1)
	s_mul_hi_u32 s2, s1, s2
	s_add_i32 s1, s1, s2
	s_xor_b32 s2, s17, s18
	s_mul_hi_u32 s1, s3, s1
	s_ashr_i32 s2, s2, 31
	s_mul_i32 s13, s1, s0
	s_delay_alu instid0(SALU_CYCLE_1)
	s_sub_i32 s3, s3, s13
	s_add_i32 s13, s1, 1
	s_sub_i32 s14, s3, s0
	s_cmp_ge_u32 s3, s0
	s_cselect_b32 s1, s13, s1
	s_cselect_b32 s3, s14, s3
	s_add_i32 s13, s1, 1
	s_cmp_ge_u32 s3, s0
	s_cselect_b32 s0, s13, s1
	s_delay_alu instid0(SALU_CYCLE_1) | instskip(NEXT) | instid1(SALU_CYCLE_1)
	s_xor_b32 s0, s0, s2
	s_sub_i32 s13, s0, s2
	s_delay_alu instid0(SALU_CYCLE_1) | instskip(SKIP_1) | instid1(VALU_DEP_1)
	v_cvt_f32_u32_e32 v2, s13
	s_sub_i32 s1, 0, s13
	v_rcp_iflag_f32_e32 v2, v2
	s_waitcnt_depctr 0xfff
	v_mul_f32_e32 v2, 0x4f7ffffe, v2
	s_delay_alu instid0(VALU_DEP_1) | instskip(NEXT) | instid1(VALU_DEP_1)
	v_cvt_u32_f32_e32 v2, v2
	v_readfirstlane_b32 s0, v2
	s_delay_alu instid0(VALU_DEP_1) | instskip(NEXT) | instid1(SALU_CYCLE_1)
	s_mul_i32 s1, s1, s0
	s_mul_hi_u32 s1, s0, s1
	s_delay_alu instid0(SALU_CYCLE_1) | instskip(NEXT) | instid1(SALU_CYCLE_1)
	s_add_i32 s0, s0, s1
	s_mul_hi_u32 s0, s15, s0
	s_delay_alu instid0(SALU_CYCLE_1) | instskip(SKIP_2) | instid1(SALU_CYCLE_1)
	s_mul_i32 s1, s0, s13
	s_add_i32 s2, s0, 1
	s_sub_i32 s1, s15, s1
	s_sub_i32 s3, s1, s13
	s_cmp_ge_u32 s1, s13
	s_cselect_b32 s0, s2, s0
	s_cselect_b32 s1, s3, s1
	s_add_i32 s2, s0, 1
	s_cmp_ge_u32 s1, s13
	s_cselect_b32 s14, s2, s0
	s_and_saveexec_b32 s0, vcc_lo
	s_delay_alu instid0(SALU_CYCLE_1)
	s_xor_b32 s1, exec_lo, s0
	s_cbranch_execz .LBB24_23
; %bb.10:
	s_mov_b32 s2, exec_lo
                                        ; implicit-def: $vgpr4
                                        ; implicit-def: $vgpr5
	v_cmpx_ne_u32_e32 8, v3
	s_xor_b32 s2, exec_lo, s2
	s_cbranch_execz .LBB24_20
; %bb.11:
	s_mov_b32 s3, exec_lo
                                        ; implicit-def: $vgpr4
                                        ; implicit-def: $vgpr5
	v_cmpx_lt_u32_e32 16, v3
	s_xor_b32 s3, exec_lo, s3
	s_cbranch_execz .LBB24_17
; %bb.12:
	v_lshl_add_u32 v1, v0, 1, v0
	s_mul_i32 s17, s14, s16
	s_delay_alu instid0(SALU_CYCLE_1) | instskip(NEXT) | instid1(SALU_CYCLE_1)
	s_ashr_i32 s0, s17, 31
	s_lshr_b32 s0, s0, 27
	s_delay_alu instid0(VALU_DEP_1) | instskip(SKIP_1) | instid1(SALU_CYCLE_1)
	v_ashrrev_i32_e32 v2, 31, v1
	s_add_i32 s0, s17, s0
	s_ashr_i32 s0, s0, 5
	s_delay_alu instid0(VALU_DEP_1) | instskip(NEXT) | instid1(VALU_DEP_1)
	v_lshrrev_b32_e32 v2, 27, v2
	v_add_nc_u32_e32 v1, v1, v2
	s_delay_alu instid0(VALU_DEP_1) | instskip(NEXT) | instid1(VALU_DEP_1)
	v_ashrrev_i32_e32 v1, 5, v1
	v_mad_u64_u32 v[4:5], null, s0, 3, v[1:2]
	s_delay_alu instid0(VALU_DEP_1) | instskip(NEXT) | instid1(VALU_DEP_1)
	v_ashrrev_i32_e32 v5, 31, v4
	v_lshlrev_b64 v[1:2], 2, v[4:5]
                                        ; implicit-def: $vgpr4
	s_delay_alu instid0(VALU_DEP_1) | instskip(NEXT) | instid1(VALU_DEP_1)
	v_add_co_u32 v1, s0, s6, v1
	v_add_co_ci_u32_e64 v2, s0, s7, v2, s0
	v_cmp_ne_u32_e64 s0, 20, v3
	global_load_b32 v6, v[1:2], off
	s_and_saveexec_b32 s18, s0
	s_delay_alu instid0(SALU_CYCLE_1)
	s_xor_b32 s0, exec_lo, s18
	s_cbranch_execz .LBB24_14
; %bb.13:
	v_mad_u32_u24 v1, v3, 3, 0xffffffc0
	s_waitcnt vmcnt(0)
	s_delay_alu instid0(VALU_DEP_1)
	v_lshrrev_b32_e32 v4, v1, v6
                                        ; implicit-def: $vgpr1_vgpr2
                                        ; implicit-def: $vgpr6
.LBB24_14:
	s_or_saveexec_b32 s0, s0
	v_mov_b32_e32 v5, s17
	s_xor_b32 exec_lo, exec_lo, s0
	s_cbranch_execz .LBB24_16
; %bb.15:
	global_load_b32 v1, v[1:2], off offset:4
	v_mov_b32_e32 v5, s17
	s_waitcnt vmcnt(0)
	v_alignbit_b32 v1, v1, v6, 28
	s_delay_alu instid0(VALU_DEP_1)
	v_and_b32_e32 v4, 0xfff, v1
.LBB24_16:
	s_or_b32 exec_lo, exec_lo, s0
.LBB24_17:
	s_and_not1_saveexec_b32 s3, s3
	s_cbranch_execz .LBB24_19
; %bb.18:
	v_lshl_add_u32 v1, v0, 1, v0
	s_mul_i32 s17, s14, s16
	s_delay_alu instid0(SALU_CYCLE_1) | instskip(NEXT) | instid1(SALU_CYCLE_1)
	s_ashr_i32 s0, s17, 31
	s_lshr_b32 s0, s0, 27
	s_delay_alu instid0(VALU_DEP_1) | instskip(SKIP_1) | instid1(SALU_CYCLE_1)
	v_ashrrev_i32_e32 v2, 31, v1
	s_add_i32 s0, s17, s0
	s_ashr_i32 s0, s0, 5
	s_delay_alu instid0(VALU_DEP_1) | instskip(NEXT) | instid1(VALU_DEP_1)
	v_lshrrev_b32_e32 v2, 27, v2
	v_add_nc_u32_e32 v1, v1, v2
	s_delay_alu instid0(VALU_DEP_1) | instskip(NEXT) | instid1(VALU_DEP_1)
	v_ashrrev_i32_e32 v1, 5, v1
	v_mad_u64_u32 v[4:5], null, s0, 3, v[1:2]
	s_delay_alu instid0(VALU_DEP_1) | instskip(NEXT) | instid1(VALU_DEP_1)
	v_ashrrev_i32_e32 v5, 31, v4
	v_lshlrev_b64 v[1:2], 2, v[4:5]
	v_mov_b32_e32 v5, s17
	s_delay_alu instid0(VALU_DEP_2) | instskip(NEXT) | instid1(VALU_DEP_1)
	v_add_co_u32 v1, s0, s6, v1
	v_add_co_ci_u32_e64 v2, s0, s7, v2, s0
	global_load_b32 v1, v[1:2], off
	v_mad_u32_u24 v2, v3, 3, 0xffffffe0
	s_waitcnt vmcnt(0)
	s_delay_alu instid0(VALU_DEP_1)
	v_lshrrev_b32_e32 v4, v2, v1
.LBB24_19:
	s_or_b32 exec_lo, exec_lo, s3
.LBB24_20:
	s_and_not1_saveexec_b32 s2, s2
	s_cbranch_execz .LBB24_22
; %bb.21:
	v_lshl_add_u32 v1, v0, 1, v0
	s_mul_i32 s3, s14, s16
	s_delay_alu instid0(SALU_CYCLE_1) | instskip(NEXT) | instid1(SALU_CYCLE_1)
	s_ashr_i32 s0, s3, 31
	s_lshr_b32 s0, s0, 27
	s_delay_alu instid0(VALU_DEP_1) | instskip(SKIP_1) | instid1(SALU_CYCLE_1)
	v_ashrrev_i32_e32 v2, 31, v1
	s_add_i32 s0, s3, s0
	s_ashr_i32 s0, s0, 5
	s_delay_alu instid0(VALU_DEP_1) | instskip(NEXT) | instid1(VALU_DEP_1)
	v_lshrrev_b32_e32 v2, 27, v2
	v_add_nc_u32_e32 v1, v1, v2
	s_delay_alu instid0(VALU_DEP_1) | instskip(NEXT) | instid1(VALU_DEP_1)
	v_ashrrev_i32_e32 v1, 5, v1
	v_mad_u64_u32 v[4:5], null, s0, 3, v[1:2]
	s_delay_alu instid0(VALU_DEP_1) | instskip(NEXT) | instid1(VALU_DEP_1)
	v_ashrrev_i32_e32 v5, 31, v4
	v_lshlrev_b64 v[1:2], 2, v[4:5]
	v_mov_b32_e32 v5, s3
	s_delay_alu instid0(VALU_DEP_2) | instskip(NEXT) | instid1(VALU_DEP_1)
	v_add_co_u32 v1, s0, s6, v1
	v_add_co_ci_u32_e64 v2, s0, s7, v2, s0
	global_load_b64 v[1:2], v[1:2], off
	s_waitcnt vmcnt(0)
	v_perm_b32 v1, v1, v2, 0x2010007
	s_delay_alu instid0(VALU_DEP_1)
	v_and_b32_e32 v4, 0xfff, v1
.LBB24_22:
	s_or_b32 exec_lo, exec_lo, s2
.LBB24_23:
	s_or_saveexec_b32 s1, s1
	v_lshl_add_u32 v2, v0, 1, v0
	v_mul_u32_u24_e32 v13, 3, v3
	s_delay_alu instid0(VALU_DEP_2)
	v_ashrrev_i32_e32 v7, 31, v2
	s_xor_b32 exec_lo, exec_lo, s1
	s_cbranch_execz .LBB24_25
; %bb.24:
	s_delay_alu instid0(VALU_DEP_1) | instskip(SKIP_1) | instid1(SALU_CYCLE_1)
	v_lshrrev_b32_e32 v1, 27, v7
	s_mul_i32 s2, s14, s16
	s_ashr_i32 s0, s2, 31
	s_delay_alu instid0(SALU_CYCLE_1) | instskip(NEXT) | instid1(VALU_DEP_1)
	s_lshr_b32 s0, s0, 27
	v_add_nc_u32_e32 v1, v2, v1
	s_add_i32 s0, s2, s0
	s_delay_alu instid0(SALU_CYCLE_1) | instskip(NEXT) | instid1(VALU_DEP_1)
	s_ashr_i32 s0, s0, 5
	v_ashrrev_i32_e32 v1, 5, v1
	s_delay_alu instid0(VALU_DEP_1) | instskip(NEXT) | instid1(VALU_DEP_1)
	v_mad_u64_u32 v[4:5], null, s0, 3, v[1:2]
	v_ashrrev_i32_e32 v5, 31, v4
	s_delay_alu instid0(VALU_DEP_1) | instskip(NEXT) | instid1(VALU_DEP_1)
	v_lshlrev_b64 v[4:5], 2, v[4:5]
	v_add_co_u32 v4, s0, s6, v4
	s_delay_alu instid0(VALU_DEP_1)
	v_add_co_ci_u32_e64 v5, s0, s7, v5, s0
	global_load_b32 v1, v[4:5], off
	v_mov_b32_e32 v5, s2
	s_waitcnt vmcnt(0)
	v_lshrrev_b32_e32 v4, v13, v1
.LBB24_25:
	s_or_b32 exec_lo, exec_lo, s1
	v_dual_mov_b32 v17, 0 :: v_dual_mov_b32 v16, 0
	v_dual_mov_b32 v15, 0 :: v_dual_mov_b32 v14, 0
	;; [unrolled: 1-line block ×3, first 2 shown]
	s_cmp_ge_i32 s15, s20
	s_mov_b32 s18, 0
	s_cbranch_scc1 .LBB24_46
; %bb.26:
	v_dual_mov_b32 v12, 0 :: v_dual_add_nc_u32 v5, v5, v0
	s_add_i32 s21, s13, s15
	v_ashrrev_i32_e32 v1, 31, v0
	v_lshrrev_b32_e32 v7, 27, v7
	s_waitcnt vmcnt(0)
	v_ashrrev_i32_e32 v6, 31, v5
	v_dual_mov_b32 v14, 0 :: v_dual_and_b32 v21, 7, v4
	v_bfe_u32 v22, v4, 3, 3
	v_bfe_u32 v23, v4, 6, 3
	s_delay_alu instid0(VALU_DEP_4)
	v_lshlrev_b64 v[5:6], 1, v[5:6]
	v_bfe_u32 v24, v4, 9, 3
	v_cmp_lt_u32_e64 s1, 16, v3
	v_cmp_ne_u32_e64 s2, 20, v3
	v_mad_u32_u24 v19, v3, 3, 0xffffffc0
	v_mad_u32_u24 v20, v3, 3, 0xffffffe0
	v_add_co_u32 v5, s0, s8, v5
	s_delay_alu instid0(VALU_DEP_1)
	v_add_co_ci_u32_e64 v6, s0, s9, v6, s0
	s_lshr_b32 s0, s15, 5
	v_dual_mov_b32 v11, 0 :: v_dual_add_nc_u32 v2, v2, v7
	global_load_b64 v[5:6], v[5:6], off
	s_mul_i32 s0, s0, s16
	v_dual_mov_b32 v15, 0 :: v_dual_mov_b32 v16, 0
	s_mul_i32 s22, s0, 3
	v_ashrrev_i32_e32 v2, 5, v2
	s_ashr_i32 s23, s22, 31
	s_bitcmp1_b32 s19, 0
	v_mov_b32_e32 v17, 0
	s_cselect_b32 s0, -1, 0
	s_lshl_b64 s[22:23], s[22:23], 2
	s_xor_b32 s0, s0, -1
	s_ashr_i32 s17, s16, 31
	v_cndmask_b32_e64 v18, 0, 1, s0
	v_cmp_ne_u32_e64 s0, 8, v3
	v_lshlrev_b64 v[3:4], 2, v[0:1]
	s_add_u32 s3, s4, s22
	s_addc_u32 s4, s5, s23
	s_mul_hi_i32 s19, s16, 12
	s_mul_i32 s22, s16, 12
	s_mov_b32 s23, 0x380038
	v_add_co_u32 v3, s3, s3, v3
	s_delay_alu instid0(VALU_DEP_1)
	v_add_co_ci_u32_e64 v4, s3, s4, v4, s3
	s_lshl_b64 s[4:5], s[16:17], 2
	s_mov_b32 s17, 0x70007
	s_mov_b32 s24, 0x1c001c0
	s_branch .LBB24_29
.LBB24_27:                              ;   in Loop: Header=BB24_29 Depth=1
	s_or_b32 exec_lo, exec_lo, s3
	v_add_nc_u32_e32 v5, s25, v0
	s_delay_alu instid0(VALU_DEP_2)
	v_and_b32_e32 v21, 7, v1
	v_bfe_u32 v22, v1, 3, 3
	v_bfe_u32 v23, v1, 6, 3
	;; [unrolled: 1-line block ×3, first 2 shown]
	v_ashrrev_i32_e32 v6, 31, v5
	s_add_i32 s21, s21, s13
	s_delay_alu instid0(VALU_DEP_1) | instskip(NEXT) | instid1(VALU_DEP_1)
	v_lshlrev_b64 v[5:6], 1, v[5:6]
	v_add_co_u32 v5, s3, s8, v5
	s_delay_alu instid0(VALU_DEP_1)
	v_add_co_ci_u32_e64 v6, s3, s9, v6, s3
	global_load_b64 v[5:6], v[5:6], off
.LBB24_28:                              ;   in Loop: Header=BB24_29 Depth=1
	v_add_co_u32 v25, s3, v3, s4
	s_delay_alu instid0(VALU_DEP_1)
	v_add_co_ci_u32_e64 v26, s3, s5, v4, s3
	global_load_b128 v[7:10], v[3:4], off
	v_add_nc_u32_e32 v1, v21, v18
	v_add_nc_u32_e32 v29, v23, v18
	global_load_b128 v[34:37], v[25:26], off
	v_add_co_u32 v25, s3, v25, s4
	s_delay_alu instid0(VALU_DEP_1)
	v_add_co_ci_u32_e64 v26, s3, s5, v26, s3
	v_add_nc_u32_e32 v30, v24, v18
	v_add_co_u32 v3, s3, v3, s22
	global_load_b128 v[73:76], v[25:26], off
	v_dual_mov_b32 v26, s18 :: v_dual_add_nc_u32 v25, v22, v18
	v_or_b32_e32 v28, 0xffffe400, v1
	v_cvt_f32_i32_e32 v31, v1
	v_or_b32_e32 v1, 0xffffe400, v29
	ds_load_2addr_b32 v[77:78], v26 offset1:1
	ds_load_2addr_b32 v[79:80], v26 offset0:64 offset1:65
	ds_load_2addr_b32 v[85:86], v26 offset0:128 offset1:129
	v_cvt_f32_i32_e32 v32, v25
	v_cvt_f32_i32_e32 v29, v29
	v_or_b32_e32 v27, 0xffffe400, v25
	v_cvt_f32_i32_e32 v33, v30
	v_or_b32_e32 v25, 0xffffe400, v30
	v_cvt_f16_f32_e32 v66, v32
	v_cvt_f16_f32_e32 v67, v29
	;; [unrolled: 1-line block ×4, first 2 shown]
	v_add_co_ci_u32_e64 v4, s3, s19, v4, s3
	s_delay_alu instid0(VALU_DEP_4)
	v_sub_f16_e32 v33, 0xd800, v67
	v_sub_f16_e32 v38, 0xd800, v66
	;; [unrolled: 1-line block ×5, first 2 shown]
	s_add_i32 s15, s15, 32
	s_add_i32 s18, s18, 64
	s_cmp_ge_i32 s15, s20
	s_waitcnt vmcnt(2)
	v_and_or_b32 v29, v7, s17, 0x64006400
	v_and_or_b32 v30, v7, s23, 0x64006400
	v_lshrrev_b32_e32 v72, 6, v7
	v_lshrrev_b32_e32 v49, 15, v7
	v_and_or_b32 v7, v8, s17, 0x64006400
	v_and_or_b32 v32, v8, s23, 0x64006400
	v_lshrrev_b32_e32 v69, 6, v8
	v_lshrrev_b32_e32 v47, 15, v8
	;; [unrolled: 4-line block ×3, first 2 shown]
	v_and_or_b32 v9, v10, s17, 0x64006400
	v_pk_add_f16 v91, v1, v8 op_sel_hi:[0,1]
	v_pk_add_f16 v89, v27, v7 op_sel_hi:[0,1]
	v_pk_fma_f16 v92, 0x3000, v39, v33 op_sel_hi:[0,1,0]
	s_waitcnt vmcnt(1)
	v_and_or_b32 v64, v36, s23, 0x64006400
	v_pk_add_f16 v93, v25, v9 op_sel_hi:[0,1]
	v_and_or_b32 v9, v36, s17, 0x64006400
	v_lshrrev_b32_e32 v48, 6, v36
	v_lshrrev_b32_e32 v58, 14, v36
	s_waitcnt vmcnt(0)
	v_and_or_b32 v36, v73, s17, 0x64006400
	v_and_or_b32 v55, v73, s23, 0x64006400
	v_lshrrev_b32_e32 v39, 6, v73
	v_lshrrev_b32_e32 v56, 13, v73
	s_waitcnt lgkmcnt(2)
	v_pk_fma_f16 v73, v91, v77, 0
	v_and_or_b32 v40, v10, s23, 0x64006400
	v_pk_add_f16 v87, v28, v29 op_sel_hi:[0,1]
	v_pk_fma_f16 v90, 0x3000, v32, v38 op_sel_hi:[0,1,0]
	v_lshrrev_b32_e32 v71, 6, v10
	v_pk_fma_f16 v83, v92, v78, v73
	s_waitcnt lgkmcnt(1)
	v_pk_fma_f16 v73, v89, v79, 0
	v_lshrrev_b32_e32 v43, 15, v10
	v_pk_fma_f16 v88, 0x3000, v30, v41 op_sel_hi:[0,1,0]
	v_pk_fma_f16 v94, 0x3000, v40, v31 op_sel_hi:[0,1,0]
	v_and_or_b32 v8, v35, s17, 0x64006400
	v_and_or_b32 v63, v35, s23, 0x64006400
	v_lshrrev_b32_e32 v52, 6, v35
	v_lshrrev_b32_e32 v59, 14, v35
	v_and_or_b32 v10, v37, s17, 0x64006400
	v_and_or_b32 v61, v37, s23, 0x64006400
	v_lshrrev_b32_e32 v40, 6, v37
	v_lshrrev_b32_e32 v57, 14, v37
	v_pk_fma_f16 v81, v87, v77, 0
	v_pk_fma_f16 v82, v89, v77, 0
	v_and_or_b32 v32, v74, s17, 0x64006400
	v_and_or_b32 v50, v74, s23, 0x64006400
	v_lshrrev_b32_e32 v37, 6, v74
	v_lshrrev_b32_e32 v54, 13, v74
	v_and_or_b32 v30, v76, s17, 0x64006400
	v_and_or_b32 v42, v76, s23, 0x64006400
	v_lshrrev_b32_e32 v35, 6, v76
	v_lshrrev_b32_e32 v46, 13, v76
	v_pk_fma_f16 v74, v93, v77, 0
	v_pk_fma_f16 v76, v90, v80, v73
	;; [unrolled: 1-line block ×3, first 2 shown]
	v_and_or_b32 v7, v34, s17, 0x64006400
	v_and_or_b32 v62, v34, s23, 0x64006400
	v_lshrrev_b32_e32 v53, 6, v34
	v_lshrrev_b32_e32 v60, 14, v34
	v_and_or_b32 v29, v75, s17, 0x64006400
	v_and_or_b32 v45, v75, s23, 0x64006400
	v_lshrrev_b32_e32 v34, 6, v75
	v_lshrrev_b32_e32 v51, 13, v75
	v_pk_fma_f16 v75, v87, v79, 0
	v_pk_fma_f16 v81, v88, v78, v81
	;; [unrolled: 1-line block ×6, first 2 shown]
	s_waitcnt lgkmcnt(0)
	v_pk_fma_f16 v73, v87, v85, 0
	v_pk_fma_f16 v75, v88, v80, v75
	v_and_or_b32 v87, v72, s23, 0x64006400
	v_pk_fma_f16 v77, v92, v80, v74
	v_pk_fma_f16 v80, v91, v85, 0
	;; [unrolled: 1-line block ×5, first 2 shown]
	v_and_or_b32 v89, v69, s17, 0x64006400
	v_pk_fma_f16 v80, v92, v86, v80
	v_and_or_b32 v91, v69, s23, 0x64006400
	v_pk_fma_f16 v79, v90, v86, v73
	v_pk_fma_f16 v85, v94, v86, v85
	ds_load_2addr_b32 v[93:94], v26 offset0:2 offset1:3
	v_and_or_b32 v73, v72, s17, 0x64006400
	v_and_or_b32 v92, v70, s17, 0x64006400
	v_pk_add_f16 v90, v27, v89 op_sel_hi:[0,1]
	v_pk_fma_f16 v86, 0x3000, v87, v41 op_sel_hi:[0,1,0]
	v_pk_fma_f16 v87, 0x3000, v91, v38 op_sel_hi:[0,1,0]
	v_pk_add_f16 v88, v28, v73 op_sel_hi:[0,1]
	v_and_or_b32 v73, v70, s23, 0x64006400
	v_pk_add_f16 v91, v1, v92 op_sel_hi:[0,1]
	v_pk_add_f16 v7, v28, v7 op_sel_hi:[0,1]
	;; [unrolled: 1-line block ×3, first 2 shown]
	v_pk_fma_f16 v62, 0x3000, v62, v41 op_sel_hi:[0,1,0]
	v_pk_fma_f16 v89, 0x3000, v73, v33 op_sel_hi:[0,1,0]
	v_and_or_b32 v73, v71, s17, 0x64006400
	v_pk_fma_f16 v63, 0x3000, v63, v38 op_sel_hi:[0,1,0]
	v_pk_fma_f16 v64, 0x3000, v64, v33 op_sel_hi:[0,1,0]
	v_and_b32_e32 v58, 0x20002, v58
	v_and_b32_e32 v57, 0x20002, v57
	v_pk_add_f16 v92, v25, v73 op_sel_hi:[0,1]
	v_and_or_b32 v73, v71, s23, 0x64006400
	s_waitcnt lgkmcnt(0)
	v_pk_fma_f16 v81, v88, v93, v81
	v_pk_fma_f16 v82, v90, v93, v82
	v_pk_fma_f16 v83, v91, v93, v83
	v_pk_fma_f16 v84, v92, v93, v84
	v_pk_fma_f16 v73, 0x3000, v73, v31 op_sel_hi:[0,1,0]
	v_pk_fma_f16 v93, v86, v94, v81
	v_pk_fma_f16 v95, v87, v94, v82
	ds_load_2addr_b32 v[81:82], v26 offset0:66 offset1:67
	v_pk_fma_f16 v83, v89, v94, v83
	v_pk_fma_f16 v84, v73, v94, v84
	v_and_or_b32 v71, v71, s24, 0x64006400
	v_and_b32_e32 v56, 0x40004, v56
	v_and_b32_e32 v54, 0x40004, v54
	v_and_or_b32 v44, 0x10001, v44, v58
	v_and_or_b32 v58, v52, s23, 0x64006400
	;; [unrolled: 1-line block ×4, first 2 shown]
	v_pk_fma_f16 v55, 0x3000, v55, v41 op_sel_hi:[0,1,0]
	v_and_b32_e32 v51, 0x40004, v51
	v_pk_fma_f16 v58, 0x3000, v58, v38 op_sel_hi:[0,1,0]
	v_pk_fma_f16 v50, 0x3000, v50, v38 op_sel_hi:[0,1,0]
	;; [unrolled: 1-line block ×3, first 2 shown]
	v_and_b32_e32 v46, 0x40004, v46
	v_or3_b32 v51, v44, v51, 0x64006400
	v_and_or_b32 v44, v34, s24, 0x64006400
	v_pk_fma_f16 v42, 0x3000, v42, v31 op_sel_hi:[0,1,0]
	v_pk_add_f16 v29, v1, v29 op_sel_hi:[0,1]
	s_waitcnt lgkmcnt(0)
	v_pk_fma_f16 v75, v88, v81, v75
	v_pk_fma_f16 v76, v90, v81, v76
	;; [unrolled: 1-line block ×4, first 2 shown]
	v_or3_b32 v46, v43, v46, 0x64006400
	v_pk_fma_f16 v81, v86, v82, v75
	v_pk_fma_f16 v94, v87, v82, v76
	ds_load_2addr_b32 v[75:76], v26 offset0:130 offset1:131
	v_pk_fma_f16 v96, v89, v82, v77
	v_pk_fma_f16 v82, v73, v82, v78
	v_pk_add_f16 v30, v25, v30 op_sel_hi:[0,1]
	v_pk_add_f16 v32, v27, v32 op_sel_hi:[0,1]
	s_waitcnt lgkmcnt(0)
	v_pk_fma_f16 v74, v88, v75, v74
	v_pk_fma_f16 v77, v90, v75, v79
	;; [unrolled: 1-line block ×4, first 2 shown]
	v_pk_add_f16 v91, v1, v9 op_sel_hi:[0,1]
	v_pk_fma_f16 v80, v86, v76, v74
	v_pk_fma_f16 v85, v87, v76, v77
	;; [unrolled: 1-line block ×3, first 2 shown]
	ds_load_2addr_b32 v[74:75], v26 offset0:4 offset1:5
	v_pk_fma_f16 v87, v73, v76, v79
	ds_load_2addr_b32 v[76:77], v26 offset0:68 offset1:69
	ds_load_2addr_b32 v[78:79], v26 offset0:132 offset1:133
	v_sub_f16_e32 v73, 0xcc00, v68
	v_and_or_b32 v68, v72, s24, 0x64006400
	v_pk_add_f16 v92, v25, v10 op_sel_hi:[0,1]
	s_delay_alu instid0(VALU_DEP_2) | instskip(SKIP_1) | instid1(VALU_DEP_1)
	v_pk_fma_f16 v68, 0x2400, v68, v73 op_sel_hi:[0,1,0]
	s_waitcnt lgkmcnt(2)
	v_pk_fma_f16 v72, v68, v74, v93
	s_waitcnt lgkmcnt(1)
	v_pk_fma_f16 v81, v68, v76, v81
	;; [unrolled: 2-line block ×3, first 2 shown]
	v_sub_f16_e32 v68, 0xcc00, v66
	v_sub_f16_e32 v66, 0xcc00, v67
	v_and_or_b32 v67, v69, s24, 0x64006400
	v_and_or_b32 v69, v70, s24, 0x64006400
	v_pk_fma_f16 v81, v7, v77, v81
	s_delay_alu instid0(VALU_DEP_3) | instskip(NEXT) | instid1(VALU_DEP_3)
	v_pk_fma_f16 v67, 0x2400, v67, v68 op_sel_hi:[0,1,0]
	v_pk_fma_f16 v69, 0x2400, v69, v66 op_sel_hi:[0,1,0]
	s_delay_alu instid0(VALU_DEP_2) | instskip(SKIP_2) | instid1(VALU_DEP_4)
	v_pk_fma_f16 v88, v67, v74, v95
	v_pk_fma_f16 v89, v67, v76, v94
	;; [unrolled: 1-line block ×4, first 2 shown]
	v_pk_fma_f16 v86, 0x2400, v71, v65 op_sel_hi:[0,1,0]
	v_pk_fma_f16 v83, v69, v74, v83
	v_pk_fma_f16 v90, v69, v76, v96
	ds_load_2addr_b32 v[69:70], v26 offset0:6 offset1:7
	v_pk_fma_f16 v89, v8, v77, v89
	v_pk_fma_f16 v9, v86, v74, v84
	;; [unrolled: 1-line block ×7, first 2 shown]
	ds_load_2addr_b32 v[71:72], v26 offset0:70 offset1:71
	ds_load_2addr_b32 v[74:75], v26 offset0:134 offset1:135
	v_pk_fma_f16 v76, v86, v78, v87
	v_pk_fma_f16 v78, v7, v79, v80
	v_pk_fma_f16 v80, v91, v79, v85
	v_and_or_b32 v85, v53, s17, 0x64006400
	v_pk_fma_f16 v90, v91, v77, v90
	v_pk_fma_f16 v93, v92, v77, v10
	ds_load_2addr_b32 v[9:10], v26 offset0:8 offset1:9
	v_pk_fma_f16 v67, v8, v79, v67
	ds_load_2addr_b32 v[7:8], v26 offset0:10 offset1:11
	;; [unrolled: 2-line block ×3, first 2 shown]
	s_waitcnt lgkmcnt(5)
	v_pk_fma_f16 v82, v62, v69, v82
	v_pk_add_f16 v85, v28, v85 op_sel_hi:[0,1]
	v_pk_fma_f16 v84, v63, v69, v84
	v_pk_fma_f16 v83, v64, v69, v83
	s_delay_alu instid0(VALU_DEP_3)
	v_pk_fma_f16 v82, v85, v70, v82
	s_waitcnt lgkmcnt(4)
	v_pk_fma_f16 v81, v62, v71, v81
	s_waitcnt lgkmcnt(3)
	v_pk_fma_f16 v78, v62, v74, v78
	v_pk_fma_f16 v86, v63, v71, v89
	v_pk_fma_f16 v89, 0x3000, v61, v31 op_sel_hi:[0,1,0]
	v_pk_fma_f16 v67, v63, v74, v67
	v_pk_fma_f16 v80, v64, v74, v80
	;; [unrolled: 1-line block ×5, first 2 shown]
	v_and_b32_e32 v79, 0x20002, v60
	v_and_b32_e32 v85, 0x20002, v59
	v_and_or_b32 v62, v52, s17, 0x64006400
	v_and_or_b32 v63, v48, s17, 0x64006400
	v_pk_fma_f16 v87, v64, v71, v90
	v_and_or_b32 v64, v40, s17, 0x64006400
	v_and_or_b32 v49, 0x10001, v49, v79
	v_and_or_b32 v47, 0x10001, v47, v85
	v_pk_add_f16 v90, v27, v62 op_sel_hi:[0,1]
	v_pk_add_f16 v91, v1, v63 op_sel_hi:[0,1]
	;; [unrolled: 1-line block ×3, first 2 shown]
	v_pk_fma_f16 v61, v89, v69, v88
	v_pk_fma_f16 v63, v89, v71, v93
	v_and_or_b32 v79, v53, s23, 0x64006400
	v_and_or_b32 v53, v53, s24, 0x64006400
	;; [unrolled: 1-line block ×3, first 2 shown]
	v_or3_b32 v49, v49, v56, 0x64006400
	v_and_or_b32 v56, v39, s24, 0x64006400
	v_or3_b32 v47, v47, v54, 0x64006400
	v_and_or_b32 v54, v37, s24, 0x64006400
	v_pk_fma_f16 v88, v92, v70, v61
	ds_load_2addr_b32 v[61:62], v26 offset0:14 offset1:15
	v_pk_fma_f16 v93, v92, v72, v63
	ds_load_2addr_b32 v[63:64], v26 offset0:72 offset1:73
	v_pk_fma_f16 v67, v90, v75, v67
	v_pk_fma_f16 v80, v91, v75, v80
	;; [unrolled: 1-line block ×3, first 2 shown]
	ds_load_2addr_b32 v[59:60], v26 offset0:78 offset1:79
	ds_load_2addr_b32 v[74:75], v26 offset0:136 offset1:137
	v_pk_fma_f16 v79, 0x3000, v79, v41 op_sel_hi:[0,1,0]
	v_pk_fma_f16 v41, 0x3000, v57, v41 op_sel_hi:[0,1,0]
	v_and_or_b32 v57, v48, s23, 0x64006400
	v_pk_fma_f16 v53, 0x2400, v53, v73 op_sel_hi:[0,1,0]
	v_pk_fma_f16 v56, 0x2400, v56, v73 op_sel_hi:[0,1,0]
	v_and_or_b32 v73, v37, s23, 0x64006400
	;; [unrolled: 3-line block ×3, first 2 shown]
	v_and_or_b32 v48, v48, s24, 0x64006400
	v_pk_fma_f16 v38, 0x3000, v73, v38 op_sel_hi:[0,1,0]
	v_and_or_b32 v73, v40, s23, 0x64006400
	v_pk_fma_f16 v57, 0x3000, v57, v33 op_sel_hi:[0,1,0]
	v_pk_fma_f16 v33, 0x3000, v68, v33 op_sel_hi:[0,1,0]
	v_and_or_b32 v68, v35, s23, 0x64006400
	v_pk_fma_f16 v84, v90, v70, v84
	v_pk_fma_f16 v83, v91, v70, v83
	ds_load_2addr_b32 v[69:70], v26 offset0:74 offset1:75
	v_pk_fma_f16 v48, 0x2400, v48, v66 op_sel_hi:[0,1,0]
	v_pk_fma_f16 v66, 0x2400, v44, v66 op_sel_hi:[0,1,0]
	ds_load_2addr_b32 v[43:44], v26 offset0:138 offset1:139
	v_pk_fma_f16 v73, 0x3000, v73, v31 op_sel_hi:[0,1,0]
	v_pk_fma_f16 v31, 0x3000, v68, v31 op_sel_hi:[0,1,0]
	v_and_or_b32 v68, v35, s24, 0x64006400
	v_and_or_b32 v34, v34, s17, 0x64006400
	;; [unrolled: 1-line block ×3, first 2 shown]
	v_pk_fma_f16 v86, v90, v72, v86
	v_pk_fma_f16 v87, v91, v72, v87
	v_and_or_b32 v40, v40, s24, 0x64006400
	v_pk_add_f16 v34, v1, v34 op_sel_hi:[0,1]
	v_pk_add_f16 v35, v25, v35 op_sel_hi:[0,1]
	;; [unrolled: 1-line block ×4, first 2 shown]
	s_waitcnt lgkmcnt(8)
	v_pk_fma_f16 v46, v79, v9, v82
	v_pk_fma_f16 v51, v58, v9, v84
	ds_load_2addr_b32 v[71:72], v26 offset0:76 offset1:77
	v_pk_fma_f16 v40, 0x2400, v40, v65 op_sel_hi:[0,1,0]
	v_and_or_b32 v85, v37, s17, 0x64006400
	v_pk_add_f16 v90, v28, v36 op_sel_hi:[0,1]
	ds_load_2addr_b32 v[36:37], v26 offset0:140 offset1:141
	v_pk_fma_f16 v65, 0x2400, v68, v65 op_sel_hi:[0,1,0]
	v_pk_fma_f16 v68, v57, v9, v83
	v_pk_fma_f16 v9, v73, v9, v88
	s_waitcnt lgkmcnt(6)
	v_pk_fma_f16 v81, v79, v63, v81
	v_pk_fma_f16 v82, v58, v63, v86
	;; [unrolled: 1-line block ×4, first 2 shown]
	s_waitcnt lgkmcnt(4)
	v_pk_fma_f16 v78, v79, v74, v78
	v_pk_fma_f16 v58, v58, v74, v67
	;; [unrolled: 1-line block ×6, first 2 shown]
	v_and_or_b32 v39, v39, s17, 0x64006400
	v_pk_fma_f16 v68, v48, v10, v68
	v_pk_fma_f16 v9, v40, v10, v9
	;; [unrolled: 1-line block ×12, first 2 shown]
	v_pk_add_f16 v39, v28, v39 op_sel_hi:[0,1]
	v_pk_add_f16 v28, v28, v49 op_sel_hi:[0,1]
	v_pk_add_f16 v49, v27, v85 op_sel_hi:[0,1]
	v_pk_fma_f16 v57, v29, v7, v68
	v_pk_fma_f16 v7, v30, v7, v9
	s_waitcnt lgkmcnt(3)
	v_pk_fma_f16 v9, v90, v69, v10
	v_pk_fma_f16 v10, v32, v69, v73
	;; [unrolled: 1-line block ×4, first 2 shown]
	s_waitcnt lgkmcnt(2)
	v_pk_fma_f16 v53, v90, v43, v53
	v_pk_fma_f16 v32, v32, v43, v52
	;; [unrolled: 1-line block ×6, first 2 shown]
	v_pk_add_f16 v47, v27, v47 op_sel_hi:[0,1]
	ds_load_2addr_b32 v[26:27], v26 offset0:142 offset1:143
	v_pk_fma_f16 v46, v45, v8, v57
	v_pk_fma_f16 v7, v42, v8, v7
	;; [unrolled: 1-line block ×14, first 2 shown]
	s_waitcnt lgkmcnt(2)
	v_pk_fma_f16 v8, v39, v71, v8
	v_pk_fma_f16 v9, v49, v71, v9
	;; [unrolled: 1-line block ×4, first 2 shown]
	s_waitcnt lgkmcnt(1)
	v_pk_fma_f16 v29, v34, v36, v29
	v_pk_fma_f16 v30, v35, v36, v30
	;; [unrolled: 1-line block ×26, first 2 shown]
	s_waitcnt lgkmcnt(0)
	v_pk_fma_f16 v36, v56, v26, v39
	v_pk_fma_f16 v32, v54, v26, v32
	v_pk_fma_f16 v29, v66, v26, v29
	v_pk_fma_f16 v26, v65, v26, v30
	v_pk_fma_f16 v30, v1, v62, v34
	v_pk_fma_f16 v7, v25, v62, v7
	v_pk_fma_f16 v8, v28, v60, v8
	v_pack_b32_f16 v34, v31, v33
	v_perm_b32 v31, v33, v31, 0x7060302
	v_pk_fma_f16 v9, v47, v60, v9
	v_pk_fma_f16 v10, v1, v60, v10
	;; [unrolled: 1-line block ×4, first 2 shown]
	v_pk_add_f16 v31, v34, v31
	v_pack_b32_f16 v34, v30, v7
	v_perm_b32 v7, v7, v30, 0x7060302
	v_pack_b32_f16 v30, v8, v9
	v_perm_b32 v8, v9, v8, 0x7060302
	v_pk_fma_f16 v9, v47, v27, v32
	v_pk_fma_f16 v1, v1, v27, v29
	;; [unrolled: 1-line block ×3, first 2 shown]
	v_pack_b32_f16 v26, v10, v33
	v_perm_b32 v10, v33, v10, 0x7060302
	v_pack_b32_f16 v27, v28, v9
	v_perm_b32 v9, v9, v28, 0x7060302
	;; [unrolled: 2-line block ×3, first 2 shown]
	v_pk_add_f16 v7, v34, v7
	v_pk_add_f16 v8, v30, v8
	;; [unrolled: 1-line block ×5, first 2 shown]
	v_pk_fma_f16 v17, v31, v5, v17
	v_pk_fma_f16 v16, v7, v6, v16
	;; [unrolled: 1-line block ×6, first 2 shown]
	s_cbranch_scc1 .LBB24_46
.LBB24_29:                              ; =>This Inner Loop Header: Depth=1
	s_cmp_lg_u32 s15, s21
	s_cbranch_scc1 .LBB24_28
; %bb.30:                               ;   in Loop: Header=BB24_29 Depth=1
	s_add_i32 s14, s14, 1
                                        ; implicit-def: $vgpr1
	s_delay_alu instid0(SALU_CYCLE_1) | instskip(NEXT) | instid1(SALU_CYCLE_1)
	s_mul_i32 s25, s14, s16
	s_ashr_i32 s3, s25, 31
	s_delay_alu instid0(SALU_CYCLE_1) | instskip(NEXT) | instid1(SALU_CYCLE_1)
	s_lshr_b32 s3, s3, 27
	s_add_i32 s3, s25, s3
	s_delay_alu instid0(SALU_CYCLE_1) | instskip(SKIP_2) | instid1(VALU_DEP_1)
	s_ashr_i32 s3, s3, 5
	s_waitcnt vmcnt(0)
	v_mad_u64_u32 v[5:6], null, s3, 3, v[2:3]
	v_ashrrev_i32_e32 v6, 31, v5
	s_delay_alu instid0(VALU_DEP_1) | instskip(NEXT) | instid1(VALU_DEP_1)
	v_lshlrev_b64 v[5:6], 2, v[5:6]
	v_add_co_u32 v5, s3, s6, v5
	s_delay_alu instid0(VALU_DEP_1) | instskip(SKIP_2) | instid1(SALU_CYCLE_1)
	v_add_co_ci_u32_e64 v6, s3, s7, v6, s3
	global_load_b32 v7, v[5:6], off
	s_and_saveexec_b32 s3, vcc_lo
	s_xor_b32 s3, exec_lo, s3
	s_cbranch_execz .LBB24_44
; %bb.31:                               ;   in Loop: Header=BB24_29 Depth=1
                                        ; implicit-def: $vgpr1
	s_and_saveexec_b32 s26, s0
	s_delay_alu instid0(SALU_CYCLE_1)
	s_xor_b32 s26, exec_lo, s26
	s_cbranch_execz .LBB24_41
; %bb.32:                               ;   in Loop: Header=BB24_29 Depth=1
                                        ; implicit-def: $vgpr1
	s_and_saveexec_b32 s27, s1
	s_delay_alu instid0(SALU_CYCLE_1)
	;; [unrolled: 6-line block ×3, first 2 shown]
	s_xor_b32 s28, exec_lo, s28
	s_cbranch_execz .LBB24_35
; %bb.34:                               ;   in Loop: Header=BB24_29 Depth=1
	s_waitcnt vmcnt(0)
	v_lshrrev_b32_e32 v1, v19, v7
                                        ; implicit-def: $vgpr5_vgpr6
                                        ; implicit-def: $vgpr7
.LBB24_35:                              ;   in Loop: Header=BB24_29 Depth=1
	s_and_not1_saveexec_b32 s28, s28
	s_cbranch_execz .LBB24_37
; %bb.36:                               ;   in Loop: Header=BB24_29 Depth=1
	global_load_b32 v1, v[5:6], off offset:4
	s_waitcnt vmcnt(0)
	v_alignbit_b32 v1, v1, v7, 28
	s_delay_alu instid0(VALU_DEP_1)
	v_and_b32_e32 v1, 0xfff, v1
.LBB24_37:                              ;   in Loop: Header=BB24_29 Depth=1
	s_or_b32 exec_lo, exec_lo, s28
                                        ; implicit-def: $vgpr7
.LBB24_38:                              ;   in Loop: Header=BB24_29 Depth=1
	s_and_not1_saveexec_b32 s27, s27
	s_cbranch_execz .LBB24_40
; %bb.39:                               ;   in Loop: Header=BB24_29 Depth=1
	s_waitcnt vmcnt(0)
	v_lshrrev_b32_e32 v1, v20, v7
.LBB24_40:                              ;   in Loop: Header=BB24_29 Depth=1
	s_or_b32 exec_lo, exec_lo, s27
                                        ; implicit-def: $vgpr5_vgpr6
                                        ; implicit-def: $vgpr7
.LBB24_41:                              ;   in Loop: Header=BB24_29 Depth=1
	s_and_not1_saveexec_b32 s26, s26
	s_cbranch_execz .LBB24_43
; %bb.42:                               ;   in Loop: Header=BB24_29 Depth=1
	global_load_b32 v1, v[5:6], off offset:4
	s_waitcnt vmcnt(0)
	v_perm_b32 v1, v7, v1, 0x2010007
	s_delay_alu instid0(VALU_DEP_1)
	v_and_b32_e32 v1, 0xfff, v1
.LBB24_43:                              ;   in Loop: Header=BB24_29 Depth=1
	s_or_b32 exec_lo, exec_lo, s26
                                        ; implicit-def: $vgpr7
.LBB24_44:                              ;   in Loop: Header=BB24_29 Depth=1
	s_and_not1_saveexec_b32 s3, s3
	s_cbranch_execz .LBB24_27
; %bb.45:                               ;   in Loop: Header=BB24_29 Depth=1
	s_waitcnt vmcnt(0)
	v_lshrrev_b32_e32 v1, v13, v7
	s_branch .LBB24_27
.LBB24_46:
	v_mad_u64_u32 v[1:2], null, s12, s16, v[0:1]
	s_mov_b32 s0, 0
	s_delay_alu instid0(VALU_DEP_1) | instskip(NEXT) | instid1(VALU_DEP_1)
	v_ashrrev_i32_e32 v2, 31, v1
	v_lshlrev_b64 v[2:3], 1, v[1:2]
	s_delay_alu instid0(VALU_DEP_1) | instskip(NEXT) | instid1(VALU_DEP_2)
	v_add_co_u32 v2, vcc_lo, s10, v2
	v_add_co_ci_u32_e32 v3, vcc_lo, s11, v3, vcc_lo
	global_load_b32 v5, v[2:3], off
.LBB24_47:                              ; =>This Inner Loop Header: Depth=1
	s_waitcnt vmcnt(0)
	v_pk_add_f16 v4, v17, v5
	global_atomic_cmpswap_b32 v0, v[2:3], v[4:5], off glc
	s_waitcnt vmcnt(0)
	v_cmp_eq_u32_e32 vcc_lo, v5, v0
	v_mov_b32_e32 v5, v0
	s_or_b32 s0, vcc_lo, s0
	s_delay_alu instid0(SALU_CYCLE_1)
	s_and_not1_b32 exec_lo, exec_lo, s0
	s_cbranch_execnz .LBB24_47
; %bb.48:
	s_or_b32 exec_lo, exec_lo, s0
	global_load_b32 v5, v[2:3], off offset:4
	s_mov_b32 s0, 0
.LBB24_49:                              ; =>This Inner Loop Header: Depth=1
	s_waitcnt vmcnt(0)
	v_pk_add_f16 v4, v16, v5
	global_atomic_cmpswap_b32 v0, v[2:3], v[4:5], off offset:4 glc
	s_waitcnt vmcnt(0)
	v_cmp_eq_u32_e32 vcc_lo, v5, v0
	v_mov_b32_e32 v5, v0
	s_or_b32 s0, vcc_lo, s0
	s_delay_alu instid0(SALU_CYCLE_1)
	s_and_not1_b32 exec_lo, exec_lo, s0
	s_cbranch_execnz .LBB24_49
; %bb.50:
	s_or_b32 exec_lo, exec_lo, s0
	v_add_nc_u32_e32 v0, s16, v1
	s_mov_b32 s0, 0
	s_delay_alu instid0(VALU_DEP_1) | instskip(NEXT) | instid1(VALU_DEP_1)
	v_ashrrev_i32_e32 v1, 31, v0
	v_lshlrev_b64 v[1:2], 1, v[0:1]
	s_delay_alu instid0(VALU_DEP_1) | instskip(NEXT) | instid1(VALU_DEP_2)
	v_add_co_u32 v1, vcc_lo, s10, v1
	v_add_co_ci_u32_e32 v2, vcc_lo, s11, v2, vcc_lo
	global_load_b32 v4, v[1:2], off
.LBB24_51:                              ; =>This Inner Loop Header: Depth=1
	s_waitcnt vmcnt(0)
	v_pk_add_f16 v3, v15, v4
	global_atomic_cmpswap_b32 v3, v[1:2], v[3:4], off glc
	s_waitcnt vmcnt(0)
	v_cmp_eq_u32_e32 vcc_lo, v4, v3
	v_mov_b32_e32 v4, v3
	s_or_b32 s0, vcc_lo, s0
	s_delay_alu instid0(SALU_CYCLE_1)
	s_and_not1_b32 exec_lo, exec_lo, s0
	s_cbranch_execnz .LBB24_51
; %bb.52:
	s_or_b32 exec_lo, exec_lo, s0
	global_load_b32 v4, v[1:2], off offset:4
	s_mov_b32 s0, 0
.LBB24_53:                              ; =>This Inner Loop Header: Depth=1
	s_waitcnt vmcnt(0)
	v_pk_add_f16 v3, v14, v4
	global_atomic_cmpswap_b32 v3, v[1:2], v[3:4], off offset:4 glc
	s_waitcnt vmcnt(0)
	v_cmp_eq_u32_e32 vcc_lo, v4, v3
	v_mov_b32_e32 v4, v3
	s_or_b32 s0, vcc_lo, s0
	s_delay_alu instid0(SALU_CYCLE_1)
	s_and_not1_b32 exec_lo, exec_lo, s0
	s_cbranch_execnz .LBB24_53
; %bb.54:
	s_or_b32 exec_lo, exec_lo, s0
	v_add_nc_u32_e32 v0, s16, v0
	s_mov_b32 s0, 0
	s_delay_alu instid0(VALU_DEP_1) | instskip(NEXT) | instid1(VALU_DEP_1)
	v_ashrrev_i32_e32 v1, 31, v0
	v_lshlrev_b64 v[0:1], 1, v[0:1]
	s_delay_alu instid0(VALU_DEP_1) | instskip(NEXT) | instid1(VALU_DEP_2)
	v_add_co_u32 v0, vcc_lo, s10, v0
	v_add_co_ci_u32_e32 v1, vcc_lo, s11, v1, vcc_lo
	global_load_b32 v3, v[0:1], off
.LBB24_55:                              ; =>This Inner Loop Header: Depth=1
	s_waitcnt vmcnt(0)
	v_pk_add_f16 v2, v12, v3
	global_atomic_cmpswap_b32 v2, v[0:1], v[2:3], off glc
	s_waitcnt vmcnt(0)
	v_cmp_eq_u32_e32 vcc_lo, v3, v2
	v_mov_b32_e32 v3, v2
	s_or_b32 s0, vcc_lo, s0
	s_delay_alu instid0(SALU_CYCLE_1)
	s_and_not1_b32 exec_lo, exec_lo, s0
	s_cbranch_execnz .LBB24_55
; %bb.56:
	s_or_b32 exec_lo, exec_lo, s0
	global_load_b32 v3, v[0:1], off offset:4
	s_mov_b32 s0, 0
.LBB24_57:                              ; =>This Inner Loop Header: Depth=1
	s_waitcnt vmcnt(0)
	v_pk_add_f16 v2, v11, v3
	global_atomic_cmpswap_b32 v2, v[0:1], v[2:3], off offset:4 glc
	s_waitcnt vmcnt(0)
	v_cmp_eq_u32_e32 vcc_lo, v3, v2
	v_mov_b32_e32 v3, v2
	s_or_b32 s0, vcc_lo, s0
	s_delay_alu instid0(SALU_CYCLE_1)
	s_and_not1_b32 exec_lo, exec_lo, s0
	s_cbranch_execnz .LBB24_57
.LBB24_58:
	s_endpgm
	.section	.rodata,"a",@progbits
	.p2align	6, 0x0
	.amdhsa_kernel _ZN4vllm4gptq33gemm_half_q_half_gptq_3bit_kernelILb1ELi3EEEvPK6__halfPKjS6_S4_PS2_iiiibPKi
		.amdhsa_group_segment_fixed_size 768
		.amdhsa_private_segment_fixed_size 0
		.amdhsa_kernarg_size 72
		.amdhsa_user_sgpr_count 13
		.amdhsa_user_sgpr_dispatch_ptr 0
		.amdhsa_user_sgpr_queue_ptr 0
		.amdhsa_user_sgpr_kernarg_segment_ptr 1
		.amdhsa_user_sgpr_dispatch_id 0
		.amdhsa_user_sgpr_private_segment_size 0
		.amdhsa_wavefront_size32 1
		.amdhsa_uses_dynamic_stack 0
		.amdhsa_enable_private_segment 0
		.amdhsa_system_sgpr_workgroup_id_x 1
		.amdhsa_system_sgpr_workgroup_id_y 1
		.amdhsa_system_sgpr_workgroup_id_z 1
		.amdhsa_system_sgpr_workgroup_info 0
		.amdhsa_system_vgpr_workitem_id 0
		.amdhsa_next_free_vgpr 97
		.amdhsa_next_free_sgpr 29
		.amdhsa_reserve_vcc 1
		.amdhsa_float_round_mode_32 0
		.amdhsa_float_round_mode_16_64 0
		.amdhsa_float_denorm_mode_32 3
		.amdhsa_float_denorm_mode_16_64 3
		.amdhsa_dx10_clamp 1
		.amdhsa_ieee_mode 1
		.amdhsa_fp16_overflow 0
		.amdhsa_workgroup_processor_mode 1
		.amdhsa_memory_ordered 1
		.amdhsa_forward_progress 0
		.amdhsa_shared_vgpr_count 0
		.amdhsa_exception_fp_ieee_invalid_op 0
		.amdhsa_exception_fp_denorm_src 0
		.amdhsa_exception_fp_ieee_div_zero 0
		.amdhsa_exception_fp_ieee_overflow 0
		.amdhsa_exception_fp_ieee_underflow 0
		.amdhsa_exception_fp_ieee_inexact 0
		.amdhsa_exception_int_div_zero 0
	.end_amdhsa_kernel
	.section	.text._ZN4vllm4gptq33gemm_half_q_half_gptq_3bit_kernelILb1ELi3EEEvPK6__halfPKjS6_S4_PS2_iiiibPKi,"axG",@progbits,_ZN4vllm4gptq33gemm_half_q_half_gptq_3bit_kernelILb1ELi3EEEvPK6__halfPKjS6_S4_PS2_iiiibPKi,comdat
.Lfunc_end24:
	.size	_ZN4vllm4gptq33gemm_half_q_half_gptq_3bit_kernelILb1ELi3EEEvPK6__halfPKjS6_S4_PS2_iiiibPKi, .Lfunc_end24-_ZN4vllm4gptq33gemm_half_q_half_gptq_3bit_kernelILb1ELi3EEEvPK6__halfPKjS6_S4_PS2_iiiibPKi
                                        ; -- End function
	.section	.AMDGPU.csdata,"",@progbits
; Kernel info:
; codeLenInByte = 6616
; NumSgprs: 31
; NumVgprs: 97
; ScratchSize: 0
; MemoryBound: 0
; FloatMode: 240
; IeeeMode: 1
; LDSByteSize: 768 bytes/workgroup (compile time only)
; SGPRBlocks: 3
; VGPRBlocks: 12
; NumSGPRsForWavesPerEU: 31
; NumVGPRsForWavesPerEU: 97
; Occupancy: 12
; WaveLimiterHint : 0
; COMPUTE_PGM_RSRC2:SCRATCH_EN: 0
; COMPUTE_PGM_RSRC2:USER_SGPR: 13
; COMPUTE_PGM_RSRC2:TRAP_HANDLER: 0
; COMPUTE_PGM_RSRC2:TGID_X_EN: 1
; COMPUTE_PGM_RSRC2:TGID_Y_EN: 1
; COMPUTE_PGM_RSRC2:TGID_Z_EN: 1
; COMPUTE_PGM_RSRC2:TIDIG_COMP_CNT: 0
	.section	.text._ZN4vllm4gptq33gemm_half_q_half_gptq_4bit_kernelILb1ELi3EEEvPK6__halfPKjS6_S4_PS2_iiiibPKi,"axG",@progbits,_ZN4vllm4gptq33gemm_half_q_half_gptq_4bit_kernelILb1ELi3EEEvPK6__halfPKjS6_S4_PS2_iiiibPKi,comdat
	.protected	_ZN4vllm4gptq33gemm_half_q_half_gptq_4bit_kernelILb1ELi3EEEvPK6__halfPKjS6_S4_PS2_iiiibPKi ; -- Begin function _ZN4vllm4gptq33gemm_half_q_half_gptq_4bit_kernelILb1ELi3EEEvPK6__halfPKjS6_S4_PS2_iiiibPKi
	.globl	_ZN4vllm4gptq33gemm_half_q_half_gptq_4bit_kernelILb1ELi3EEEvPK6__halfPKjS6_S4_PS2_iiiibPKi
	.p2align	8
	.type	_ZN4vllm4gptq33gemm_half_q_half_gptq_4bit_kernelILb1ELi3EEEvPK6__halfPKjS6_S4_PS2_iiiibPKi,@function
_ZN4vllm4gptq33gemm_half_q_half_gptq_4bit_kernelILb1ELi3EEEvPK6__halfPKjS6_S4_PS2_iiiibPKi: ; @_ZN4vllm4gptq33gemm_half_q_half_gptq_4bit_kernelILb1ELi3EEEvPK6__halfPKjS6_S4_PS2_iiiibPKi
; %bb.0:
	s_load_b128 s[16:19], s[0:1], 0x2c
	s_lshl_b32 s15, s15, 7
	s_load_b256 s[4:11], s[0:1], 0x8
	s_add_i32 s2, s15, 0x80
	s_mul_i32 s12, s14, 3
	v_cvt_f64_u32_e32 v[1:2], s2
	s_mov_b32 s14, exec_lo
	s_waitcnt lgkmcnt(0)
	v_cvt_f64_i32_e32 v[3:4], s17
	s_delay_alu instid0(VALU_DEP_1) | instskip(NEXT) | instid1(VALU_DEP_1)
	v_min_f64 v[1:2], v[1:2], v[3:4]
	v_cvt_i32_f64_e32 v2, v[1:2]
	v_add_nc_u32_e32 v1, s15, v0
	s_delay_alu instid0(VALU_DEP_2) | instskip(NEXT) | instid1(VALU_DEP_2)
	v_readfirstlane_b32 s20, v2
	v_cmpx_lt_u32_e64 v1, v2
	s_cbranch_execz .LBB25_8
; %bb.1:
	s_clause 0x1
	s_load_b64 s[2:3], s[0:1], 0x40
	s_load_b64 s[0:1], s[0:1], 0x0
	v_mov_b32_e32 v2, 0
	s_delay_alu instid0(VALU_DEP_1) | instskip(SKIP_2) | instid1(VALU_DEP_2)
	v_lshlrev_b64 v[3:4], 2, v[1:2]
	v_dual_mov_b32 v6, v2 :: v_dual_mov_b32 v5, v1
	s_waitcnt lgkmcnt(0)
	v_add_co_u32 v3, vcc_lo, s2, v3
	s_delay_alu instid0(VALU_DEP_3)
	v_add_co_ci_u32_e32 v4, vcc_lo, s3, v4, vcc_lo
	s_cmp_lg_u64 s[2:3], 0
	s_cselect_b32 s21, -1, 0
	s_cmp_eq_u64 s[2:3], 0
	s_cbranch_scc1 .LBB25_3
; %bb.2:
	global_load_b32 v5, v[3:4], off
	s_waitcnt vmcnt(0)
	v_ashrrev_i32_e32 v6, 31, v5
.LBB25_3:
	s_mul_i32 s2, s12, s17
	s_delay_alu instid0(VALU_DEP_1)
	v_lshlrev_b64 v[5:6], 1, v[5:6]
	s_ashr_i32 s3, s2, 31
	v_lshlrev_b32_e32 v7, 1, v0
	s_lshl_b64 s[22:23], s[2:3], 1
	v_cndmask_b32_e64 v8, 0, 1, s21
	s_add_u32 s3, s0, s22
	s_addc_u32 s22, s1, s23
	v_add_co_u32 v5, vcc_lo, s3, v5
	v_add_co_ci_u32_e32 v6, vcc_lo, s22, v6, vcc_lo
	s_and_not1_b32 vcc_lo, exec_lo, s21
	global_load_u16 v9, v[5:6], off
	v_dual_mov_b32 v6, v2 :: v_dual_mov_b32 v5, v1
	s_waitcnt vmcnt(0)
	ds_store_b16 v7, v9
	s_cbranch_vccnz .LBB25_5
; %bb.4:
	global_load_b32 v5, v[3:4], off
	s_waitcnt vmcnt(0)
	v_ashrrev_i32_e32 v6, 31, v5
.LBB25_5:
	s_add_i32 s2, s2, s17
	s_delay_alu instid0(VALU_DEP_1) | instskip(SKIP_1) | instid1(SALU_CYCLE_1)
	v_lshlrev_b64 v[5:6], 1, v[5:6]
	s_ashr_i32 s3, s2, 31
	s_lshl_b64 s[22:23], s[2:3], 1
	s_delay_alu instid0(SALU_CYCLE_1) | instskip(SKIP_1) | instid1(VALU_DEP_1)
	s_add_u32 s3, s0, s22
	s_addc_u32 s21, s1, s23
	v_add_co_u32 v5, vcc_lo, s3, v5
	v_add_co_ci_u32_e32 v6, vcc_lo, s21, v6, vcc_lo
	v_cmp_ne_u32_e32 vcc_lo, 1, v8
	global_load_u16 v5, v[5:6], off
	s_waitcnt vmcnt(0)
	ds_store_b16 v7, v5 offset:256
	s_cbranch_vccnz .LBB25_7
; %bb.6:
	global_load_b32 v1, v[3:4], off
	s_waitcnt vmcnt(0)
	v_ashrrev_i32_e32 v2, 31, v1
.LBB25_7:
	s_add_i32 s2, s2, s17
	s_delay_alu instid0(VALU_DEP_1) | instskip(SKIP_1) | instid1(SALU_CYCLE_1)
	v_lshlrev_b64 v[1:2], 1, v[1:2]
	s_ashr_i32 s3, s2, 31
	s_lshl_b64 s[2:3], s[2:3], 1
	s_delay_alu instid0(SALU_CYCLE_1) | instskip(SKIP_1) | instid1(VALU_DEP_1)
	s_add_u32 s0, s0, s2
	s_addc_u32 s1, s1, s3
	v_add_co_u32 v1, vcc_lo, s0, v1
	v_add_co_ci_u32_e32 v2, vcc_lo, s1, v2, vcc_lo
	global_load_u16 v1, v[1:2], off
	s_waitcnt vmcnt(0)
	ds_store_b16 v7, v1 offset:512
.LBB25_8:
	s_or_b32 exec_lo, exec_lo, s14
	v_lshlrev_b32_e32 v1, 2, v0
	s_mov_b32 s0, exec_lo
	s_delay_alu instid0(VALU_DEP_1) | instskip(NEXT) | instid1(VALU_DEP_1)
	v_lshl_add_u32 v1, s13, 9, v1
	v_cmpx_gt_i32_e64 s16, v1
	s_cbranch_execz .LBB25_27
; %bb.9:
	s_abs_i32 s0, s18
	v_dual_mov_b32 v5, 0 :: v_dual_mov_b32 v6, 0
	v_cvt_f32_u32_e32 v2, s0
	v_dual_mov_b32 v8, 0 :: v_dual_mov_b32 v9, 0
	v_dual_mov_b32 v10, 0 :: v_dual_mov_b32 v15, 0
	s_delay_alu instid0(VALU_DEP_3)
	v_rcp_iflag_f32_e32 v2, v2
	v_dual_mov_b32 v7, 0 :: v_dual_mov_b32 v16, 0
	v_dual_mov_b32 v19, 0 :: v_dual_mov_b32 v18, 0
	;; [unrolled: 1-line block ×3, first 2 shown]
	s_cmp_ge_i32 s15, s20
	s_mov_b32 s13, 0
	s_waitcnt lgkmcnt(0)
	s_waitcnt_depctr 0xfff
	v_mul_f32_e32 v2, 0x4f7ffffe, v2
	s_barrier
	buffer_gl0_inv
	v_cvt_u32_f32_e32 v2, v2
	s_delay_alu instid0(VALU_DEP_1)
	v_readfirstlane_b32 s1, v2
	s_cbranch_scc1 .LBB25_15
; %bb.10:
	s_sub_i32 s2, 0, s0
	s_abs_i32 s3, s17
	s_delay_alu instid0(VALU_DEP_1)
	s_mul_i32 s2, s2, s1
	s_ashr_i32 s14, s18, 31
	s_mul_hi_u32 s2, s1, s2
	v_lshlrev_b32_e32 v21, 4, v0
	s_add_i32 s1, s1, s2
	s_ashr_i32 s2, s17, 31
	s_mul_hi_u32 s1, s3, s1
	s_xor_b32 s2, s2, s14
	s_mul_i32 s17, s1, s0
	s_add_i32 s14, s1, 1
	s_sub_i32 s3, s3, s17
	v_dual_mov_b32 v9, 0 :: v_dual_mov_b32 v14, 0
	s_sub_i32 s17, s3, s0
	s_cmp_ge_u32 s3, s0
	v_mov_b32_e32 v0, 0
	s_cselect_b32 s1, s14, s1
	s_cselect_b32 s3, s17, s3
	s_add_i32 s14, s1, 1
	s_cmp_ge_u32 s3, s0
	v_mov_b32_e32 v10, 0
	s_cselect_b32 s0, s14, s1
	v_mov_b32_e32 v12, 0
	s_xor_b32 s0, s0, s2
	s_delay_alu instid0(SALU_CYCLE_1)
	s_sub_i32 s14, s0, s2
	s_bitcmp1_b32 s19, 0
	v_cvt_f32_u32_e32 v2, s14
	s_cselect_b32 s1, -1, 0
	s_sub_i32 s2, 0, s14
	s_xor_b32 s3, s1, -1
	s_delay_alu instid0(VALU_DEP_1) | instskip(SKIP_3) | instid1(VALU_DEP_1)
	v_rcp_iflag_f32_e32 v2, v2
	v_cndmask_b32_e64 v16, 0, 1, s3
	s_waitcnt_depctr 0xfff
	v_mul_f32_e32 v2, 0x4f7ffffe, v2
	v_cvt_u32_f32_e32 v2, v2
	s_delay_alu instid0(VALU_DEP_1) | instskip(SKIP_1) | instid1(VALU_DEP_2)
	v_readfirstlane_b32 s0, v2
	v_ashrrev_i32_e32 v2, 31, v1
	s_mul_i32 s2, s2, s0
	s_delay_alu instid0(VALU_DEP_1) | instskip(SKIP_1) | instid1(SALU_CYCLE_1)
	v_lshrrev_b32_e32 v3, 29, v2
	s_mul_hi_u32 s2, s0, s2
	s_add_i32 s0, s0, s2
	s_delay_alu instid0(VALU_DEP_1) | instskip(SKIP_1) | instid1(SALU_CYCLE_1)
	v_add_nc_u32_e32 v3, v1, v3
	s_mul_hi_u32 s0, s15, s0
	s_mul_i32 s2, s0, s14
	s_delay_alu instid0(SALU_CYCLE_1)
	s_sub_i32 s1, s15, s2
	s_add_i32 s2, s0, 1
	s_sub_i32 s17, s1, s14
	s_cmp_ge_u32 s1, s14
	v_ashrrev_i32_e32 v4, 3, v3
	s_cselect_b32 s0, s2, s0
	s_cselect_b32 s1, s17, s1
	s_add_i32 s2, s0, 1
	s_cmp_ge_u32 s1, s14
	v_lshlrev_b64 v[2:3], 2, v[1:2]
	s_cselect_b32 s18, s2, s0
	s_delay_alu instid0(SALU_CYCLE_1) | instskip(NEXT) | instid1(SALU_CYCLE_1)
	s_mul_i32 s0, s18, s16
	s_ashr_i32 s1, s0, 31
	v_add_nc_u32_e32 v5, s0, v1
	s_lshr_b32 s1, s1, 29
	s_delay_alu instid0(SALU_CYCLE_1) | instskip(NEXT) | instid1(SALU_CYCLE_1)
	s_add_i32 s0, s0, s1
	s_ashr_i32 s0, s0, 3
	s_delay_alu instid0(VALU_DEP_1) | instskip(SKIP_2) | instid1(SALU_CYCLE_1)
	v_ashrrev_i32_e32 v6, 31, v5
	v_add_nc_u32_e32 v7, s0, v4
	s_lshr_b32 s0, s15, 3
	s_mul_i32 s0, s0, s16
	s_delay_alu instid0(VALU_DEP_2) | instskip(NEXT) | instid1(VALU_DEP_2)
	v_lshlrev_b64 v[5:6], 1, v[5:6]
	v_ashrrev_i32_e32 v8, 31, v7
	s_ashr_i32 s1, s0, 31
	s_delay_alu instid0(SALU_CYCLE_1) | instskip(NEXT) | instid1(VALU_DEP_1)
	s_lshl_b64 s[0:1], s[0:1], 2
	v_lshlrev_b64 v[7:8], 2, v[7:8]
	s_delay_alu instid0(VALU_DEP_3) | instskip(SKIP_2) | instid1(VALU_DEP_3)
	v_add_co_u32 v5, vcc_lo, s8, v5
	v_add_co_ci_u32_e32 v6, vcc_lo, s9, v6, vcc_lo
	s_add_u32 s0, s4, s0
	v_add_co_u32 v7, vcc_lo, s6, v7
	s_delay_alu instid0(VALU_DEP_4)
	v_add_co_ci_u32_e32 v8, vcc_lo, s7, v8, vcc_lo
	global_load_b64 v[19:20], v[5:6], off
	global_load_b32 v17, v[7:8], off
	v_mov_b32_e32 v6, 0
	v_dual_mov_b32 v8, 0 :: v_dual_and_b32 v15, 16, v21
	s_addc_u32 s1, s5, s1
	v_add_co_u32 v2, vcc_lo, s0, v2
	v_mov_b32_e32 v5, 0
	v_mov_b32_e32 v7, 0
	v_add_co_ci_u32_e32 v3, vcc_lo, s1, v3, vcc_lo
	s_ashr_i32 s17, s16, 31
	s_add_i32 s4, s14, s15
	s_lshl_b64 s[0:1], s[16:17], 4
	s_lshl_b64 s[2:3], s[16:17], 2
	s_mov_b32 s5, 0xf000f
	s_mov_b32 s17, 0xf000f0
	s_waitcnt vmcnt(1)
	v_lshrrev_b32_e32 v22, 16, v19
	s_waitcnt vmcnt(0)
	v_lshrrev_b32_e32 v21, v21, v17
	v_cvt_f32_f16_e32 v18, v19
	v_cvt_f32_f16_e32 v19, v20
	v_lshrrev_b32_e32 v23, 16, v20
	v_bfe_u32 v17, v17, v15, 4
	v_cvt_f32_f16_e32 v20, v22
	v_bfe_u32 v22, v21, 12, 4
	v_bfe_u32 v24, v21, 8, 4
	;; [unrolled: 1-line block ×3, first 2 shown]
	v_mov_b32_e32 v11, 0
	v_mov_b32_e32 v13, 0
	v_add_nc_u32_e32 v17, v17, v16
	v_cvt_f32_f16_e32 v21, v23
	v_add_nc_u32_e32 v22, v22, v16
	v_add_nc_u32_e32 v23, v24, v16
	;; [unrolled: 1-line block ×3, first 2 shown]
	v_cvt_f32_ubyte0_e32 v25, v17
	v_or_b32_e32 v17, 0xffffe400, v17
	v_cvt_f32_ubyte0_e32 v26, v22
	v_or_b32_e32 v27, 0xffffe400, v22
	v_cvt_f32_ubyte0_e32 v28, v23
	v_cvt_f32_ubyte0_e32 v29, v24
	v_or_b32_e32 v30, 0xffffe400, v24
	v_cvt_f16_f32_e32 v25, v25
	v_perm_b32 v22, v17, v17, 0x5040100
	v_cvt_f16_f32_e32 v17, v26
	v_perm_b32 v24, v27, v27, 0x5040100
	v_cvt_f16_f32_e32 v26, v28
	v_cvt_f16_f32_e32 v27, v29
	v_or_b32_e32 v23, 0xffffe400, v23
	v_sub_f16_e32 v28, 0xd400, v25
	v_sub_f16_e32 v17, 0xd400, v17
	;; [unrolled: 1-line block ×4, first 2 shown]
	v_perm_b32 v23, v23, v23, 0x5040100
	v_perm_b32 v25, v30, v30, 0x5040100
	v_pack_b32_f16 v26, v28, v28
	v_pack_b32_f16 v27, v17, v17
	;; [unrolled: 1-line block ×4, first 2 shown]
	v_mov_b32_e32 v17, 0
	s_branch .LBB25_12
.LBB25_11:                              ;   in Loop: Header=BB25_12 Depth=1
	global_load_b128 v[30:33], v[2:3], off
	s_add_i32 s15, s15, 32
	s_waitcnt vmcnt(0)
	v_and_or_b32 v34, v30, s5, 0x64006400
	v_and_or_b32 v35, v30, s17, 0x64006400
	v_lshrrev_b32_e32 v30, 8, v30
	s_delay_alu instid0(VALU_DEP_3) | instskip(SKIP_1) | instid1(VALU_DEP_3)
	v_pk_add_f16 v37, v22, v34
	v_and_or_b32 v34, v31, s17, 0x64006400
	v_and_or_b32 v36, v30, s5, 0x64006400
	;; [unrolled: 1-line block ×3, first 2 shown]
	v_pk_fma_f16 v35, 0x2c00, v35, v26 op_sel_hi:[0,1,1]
	s_delay_alu instid0(VALU_DEP_4) | instskip(NEXT) | instid1(VALU_DEP_4)
	v_pk_fma_f16 v41, 0x2c00, v34, v29 op_sel_hi:[0,1,1]
	v_pk_add_f16 v36, v22, v36
	s_delay_alu instid0(VALU_DEP_4) | instskip(SKIP_2) | instid1(VALU_DEP_2)
	v_pk_fma_f16 v38, 0x2c00, v30, v26 op_sel_hi:[0,1,1]
	v_and_or_b32 v30, v31, s5, 0x64006400
	v_lshrrev_b32_e32 v31, 8, v31
	v_pk_add_f16 v40, v25, v30
	s_delay_alu instid0(VALU_DEP_2) | instskip(SKIP_2) | instid1(VALU_DEP_3)
	v_and_or_b32 v39, v31, s5, 0x64006400
	v_and_or_b32 v31, v31, s17, 0x64006400
	;; [unrolled: 1-line block ×3, first 2 shown]
	v_pk_add_f16 v39, v25, v39
	s_delay_alu instid0(VALU_DEP_3) | instskip(SKIP_4) | instid1(VALU_DEP_4)
	v_pk_fma_f16 v42, 0x2c00, v31, v29 op_sel_hi:[0,1,1]
	v_and_or_b32 v31, v32, s17, 0x64006400
	v_lshrrev_b32_e32 v32, 8, v32
	v_pk_add_f16 v43, v23, v30
	v_and_or_b32 v30, v33, s5, 0x64006400
	v_pk_fma_f16 v44, 0x2c00, v31, v28 op_sel_hi:[0,1,1]
	s_delay_alu instid0(VALU_DEP_4)
	v_and_or_b32 v34, v32, s5, 0x64006400
	v_and_or_b32 v32, v32, s17, 0x64006400
	;; [unrolled: 1-line block ×3, first 2 shown]
	v_pk_add_f16 v47, v24, v30
	v_mov_b32_e32 v30, s13
	v_pk_add_f16 v45, v23, v34
	v_pk_fma_f16 v46, 0x2c00, v32, v28 op_sel_hi:[0,1,1]
	v_lshrrev_b32_e32 v32, 8, v33
	v_pk_fma_f16 v48, 0x2c00, v31, v27 op_sel_hi:[0,1,1]
	s_add_i32 s13, s13, 64
	s_cmp_ge_i32 s15, s20
	s_delay_alu instid0(VALU_DEP_2) | instskip(SKIP_1) | instid1(VALU_DEP_2)
	v_and_or_b32 v33, v32, s5, 0x64006400
	v_and_or_b32 v32, v32, s17, 0x64006400
	v_pk_add_f16 v49, v24, v33
	s_delay_alu instid0(VALU_DEP_2) | instskip(SKIP_3) | instid1(VALU_DEP_1)
	v_pk_fma_f16 v50, 0x2c00, v32, v27 op_sel_hi:[0,1,1]
	ds_load_2addr_b32 v[31:32], v30 offset1:1
	s_waitcnt lgkmcnt(0)
	v_pk_fma_f16 v33, v37, v31, 0
	v_pk_fma_f16 v51, v35, v32, v33
	ds_load_2addr_b32 v[33:34], v30 offset0:2 offset1:3
	s_waitcnt lgkmcnt(0)
	v_pk_fma_f16 v51, v36, v33, v51
	s_delay_alu instid0(VALU_DEP_1) | instskip(NEXT) | instid1(VALU_DEP_1)
	v_pk_fma_f16 v51, v38, v34, v51
	v_cvt_f32_f16_e32 v52, v51
	v_lshrrev_b32_e32 v51, 16, v51
	s_delay_alu instid0(VALU_DEP_1) | instskip(NEXT) | instid1(VALU_DEP_1)
	v_cvt_f32_f16_e32 v51, v51
	v_add_f32_e32 v51, v52, v51
	s_delay_alu instid0(VALU_DEP_1) | instskip(SKIP_1) | instid1(VALU_DEP_1)
	v_fmac_f32_e32 v0, v51, v18
	v_pk_fma_f16 v51, v40, v31, 0
	v_pk_fma_f16 v51, v41, v32, v51
	s_delay_alu instid0(VALU_DEP_1) | instskip(NEXT) | instid1(VALU_DEP_1)
	v_pk_fma_f16 v51, v39, v33, v51
	v_pk_fma_f16 v51, v42, v34, v51
	s_delay_alu instid0(VALU_DEP_1) | instskip(SKIP_1) | instid1(VALU_DEP_1)
	v_cvt_f32_f16_e32 v52, v51
	v_lshrrev_b32_e32 v51, 16, v51
	v_cvt_f32_f16_e32 v51, v51
	s_delay_alu instid0(VALU_DEP_1) | instskip(NEXT) | instid1(VALU_DEP_1)
	v_add_f32_e32 v51, v52, v51
	v_fmac_f32_e32 v5, v51, v20
	v_pk_fma_f16 v51, v43, v31, 0
	v_pk_fma_f16 v31, v47, v31, 0
	s_delay_alu instid0(VALU_DEP_2) | instskip(NEXT) | instid1(VALU_DEP_2)
	v_pk_fma_f16 v51, v44, v32, v51
	v_pk_fma_f16 v31, v48, v32, v31
	s_delay_alu instid0(VALU_DEP_2) | instskip(NEXT) | instid1(VALU_DEP_2)
	;; [unrolled: 3-line block ×3, first 2 shown]
	v_pk_fma_f16 v51, v46, v34, v51
	v_pk_fma_f16 v31, v50, v34, v31
	s_delay_alu instid0(VALU_DEP_2) | instskip(SKIP_1) | instid1(VALU_DEP_3)
	v_cvt_f32_f16_e32 v52, v51
	v_lshrrev_b32_e32 v51, 16, v51
	v_cvt_f32_f16_e32 v32, v31
	v_lshrrev_b32_e32 v31, 16, v31
	s_delay_alu instid0(VALU_DEP_3) | instskip(NEXT) | instid1(VALU_DEP_2)
	v_cvt_f32_f16_e32 v51, v51
	v_cvt_f32_f16_e32 v31, v31
	s_delay_alu instid0(VALU_DEP_2) | instskip(NEXT) | instid1(VALU_DEP_2)
	v_add_f32_e32 v51, v52, v51
	v_add_f32_e32 v31, v32, v31
	s_delay_alu instid0(VALU_DEP_2) | instskip(NEXT) | instid1(VALU_DEP_2)
	v_fmac_f32_e32 v6, v51, v19
	v_fmac_f32_e32 v7, v31, v21
	ds_load_2addr_b32 v[31:32], v30 offset0:64 offset1:65
	s_waitcnt lgkmcnt(0)
	v_pk_fma_f16 v33, v37, v31, 0
	s_delay_alu instid0(VALU_DEP_1) | instskip(SKIP_3) | instid1(VALU_DEP_1)
	v_pk_fma_f16 v51, v35, v32, v33
	ds_load_2addr_b32 v[33:34], v30 offset0:66 offset1:67
	s_waitcnt lgkmcnt(0)
	v_pk_fma_f16 v51, v36, v33, v51
	v_pk_fma_f16 v51, v38, v34, v51
	s_delay_alu instid0(VALU_DEP_1) | instskip(SKIP_1) | instid1(VALU_DEP_1)
	v_cvt_f32_f16_e32 v52, v51
	v_lshrrev_b32_e32 v51, 16, v51
	v_cvt_f32_f16_e32 v51, v51
	s_delay_alu instid0(VALU_DEP_1) | instskip(NEXT) | instid1(VALU_DEP_1)
	v_add_f32_e32 v51, v52, v51
	v_fmac_f32_e32 v8, v51, v18
	v_pk_fma_f16 v51, v40, v31, 0
	s_delay_alu instid0(VALU_DEP_1) | instskip(NEXT) | instid1(VALU_DEP_1)
	v_pk_fma_f16 v51, v41, v32, v51
	v_pk_fma_f16 v51, v39, v33, v51
	s_delay_alu instid0(VALU_DEP_1) | instskip(NEXT) | instid1(VALU_DEP_1)
	v_pk_fma_f16 v51, v42, v34, v51
	v_cvt_f32_f16_e32 v52, v51
	v_lshrrev_b32_e32 v51, 16, v51
	s_delay_alu instid0(VALU_DEP_1) | instskip(NEXT) | instid1(VALU_DEP_1)
	v_cvt_f32_f16_e32 v51, v51
	v_add_f32_e32 v51, v52, v51
	s_delay_alu instid0(VALU_DEP_1) | instskip(SKIP_2) | instid1(VALU_DEP_2)
	v_fmac_f32_e32 v9, v51, v20
	v_pk_fma_f16 v51, v43, v31, 0
	v_pk_fma_f16 v31, v47, v31, 0
	;; [unrolled: 1-line block ×3, first 2 shown]
	s_delay_alu instid0(VALU_DEP_2) | instskip(NEXT) | instid1(VALU_DEP_2)
	v_pk_fma_f16 v31, v48, v32, v31
	v_pk_fma_f16 v51, v45, v33, v51
	s_delay_alu instid0(VALU_DEP_2) | instskip(NEXT) | instid1(VALU_DEP_2)
	v_pk_fma_f16 v31, v49, v33, v31
	v_pk_fma_f16 v51, v46, v34, v51
	s_delay_alu instid0(VALU_DEP_2) | instskip(NEXT) | instid1(VALU_DEP_2)
	v_pk_fma_f16 v31, v50, v34, v31
	v_cvt_f32_f16_e32 v52, v51
	s_delay_alu instid0(VALU_DEP_2) | instskip(SKIP_2) | instid1(VALU_DEP_2)
	v_cvt_f32_f16_e32 v32, v31
	v_lshrrev_b32_e32 v31, 16, v31
	v_lshrrev_b32_e32 v51, 16, v51
	v_cvt_f32_f16_e32 v31, v31
	s_delay_alu instid0(VALU_DEP_2) | instskip(NEXT) | instid1(VALU_DEP_2)
	v_cvt_f32_f16_e32 v51, v51
	v_add_f32_e32 v31, v32, v31
	s_delay_alu instid0(VALU_DEP_2) | instskip(NEXT) | instid1(VALU_DEP_2)
	v_add_f32_e32 v51, v52, v51
	v_fmac_f32_e32 v11, v31, v21
	ds_load_2addr_b32 v[31:32], v30 offset0:128 offset1:129
	v_fmac_f32_e32 v10, v51, v19
	s_waitcnt lgkmcnt(0)
	v_pk_fma_f16 v33, v37, v31, 0
	s_delay_alu instid0(VALU_DEP_1) | instskip(SKIP_3) | instid1(VALU_DEP_1)
	v_pk_fma_f16 v35, v35, v32, v33
	ds_load_2addr_b32 v[33:34], v30 offset0:130 offset1:131
	s_waitcnt lgkmcnt(0)
	v_pk_fma_f16 v35, v36, v33, v35
	v_pk_fma_f16 v35, v38, v34, v35
	s_delay_alu instid0(VALU_DEP_1) | instskip(SKIP_1) | instid1(VALU_DEP_1)
	v_cvt_f32_f16_e32 v36, v35
	v_lshrrev_b32_e32 v35, 16, v35
	v_cvt_f32_f16_e32 v35, v35
	s_delay_alu instid0(VALU_DEP_1) | instskip(NEXT) | instid1(VALU_DEP_1)
	v_add_f32_e32 v35, v36, v35
	v_fmac_f32_e32 v12, v35, v18
	v_pk_fma_f16 v35, v40, v31, 0
	s_delay_alu instid0(VALU_DEP_1) | instskip(NEXT) | instid1(VALU_DEP_1)
	v_pk_fma_f16 v35, v41, v32, v35
	v_pk_fma_f16 v35, v39, v33, v35
	s_delay_alu instid0(VALU_DEP_1) | instskip(NEXT) | instid1(VALU_DEP_1)
	v_pk_fma_f16 v35, v42, v34, v35
	v_cvt_f32_f16_e32 v36, v35
	v_lshrrev_b32_e32 v35, 16, v35
	s_delay_alu instid0(VALU_DEP_1) | instskip(NEXT) | instid1(VALU_DEP_1)
	v_cvt_f32_f16_e32 v35, v35
	v_add_f32_e32 v35, v36, v35
	s_delay_alu instid0(VALU_DEP_1) | instskip(SKIP_2) | instid1(VALU_DEP_2)
	v_fmac_f32_e32 v13, v35, v20
	v_pk_fma_f16 v35, v43, v31, 0
	v_pk_fma_f16 v31, v47, v31, 0
	;; [unrolled: 1-line block ×3, first 2 shown]
	s_delay_alu instid0(VALU_DEP_2) | instskip(NEXT) | instid1(VALU_DEP_2)
	v_pk_fma_f16 v31, v48, v32, v31
	v_pk_fma_f16 v35, v45, v33, v35
	s_delay_alu instid0(VALU_DEP_2) | instskip(NEXT) | instid1(VALU_DEP_2)
	v_pk_fma_f16 v31, v49, v33, v31
	v_pk_fma_f16 v35, v46, v34, v35
	s_delay_alu instid0(VALU_DEP_2) | instskip(NEXT) | instid1(VALU_DEP_2)
	v_pk_fma_f16 v31, v50, v34, v31
	v_cvt_f32_f16_e32 v36, v35
	v_lshrrev_b32_e32 v35, 16, v35
	s_delay_alu instid0(VALU_DEP_3) | instskip(SKIP_1) | instid1(VALU_DEP_3)
	v_cvt_f32_f16_e32 v32, v31
	v_lshrrev_b32_e32 v31, 16, v31
	v_cvt_f32_f16_e32 v35, v35
	s_delay_alu instid0(VALU_DEP_2) | instskip(NEXT) | instid1(VALU_DEP_2)
	v_cvt_f32_f16_e32 v31, v31
	v_add_f32_e32 v35, v36, v35
	s_delay_alu instid0(VALU_DEP_2) | instskip(NEXT) | instid1(VALU_DEP_2)
	v_add_f32_e32 v31, v32, v31
	v_fmac_f32_e32 v14, v35, v19
	v_add_co_u32 v35, vcc_lo, v2, s2
	v_add_co_ci_u32_e32 v36, vcc_lo, s3, v3, vcc_lo
	s_delay_alu instid0(VALU_DEP_4)
	v_fmac_f32_e32 v17, v31, v21
	global_load_b128 v[31:34], v[35:36], off
	v_add_co_u32 v35, vcc_lo, v35, s2
	v_add_co_ci_u32_e32 v36, vcc_lo, s3, v36, vcc_lo
	s_waitcnt vmcnt(0)
	v_and_or_b32 v37, v31, s5, 0x64006400
	v_and_or_b32 v38, v31, s17, 0x64006400
	v_lshrrev_b32_e32 v31, 8, v31
	v_and_or_b32 v41, v32, s17, 0x64006400
	s_delay_alu instid0(VALU_DEP_4) | instskip(NEXT) | instid1(VALU_DEP_4)
	v_pk_add_f16 v37, v22, v37
	v_pk_fma_f16 v38, 0x2c00, v38, v26 op_sel_hi:[0,1,1]
	s_delay_alu instid0(VALU_DEP_4) | instskip(SKIP_2) | instid1(VALU_DEP_3)
	v_and_or_b32 v39, v31, s5, 0x64006400
	v_and_or_b32 v31, v31, s17, 0x64006400
	v_pk_fma_f16 v41, 0x2c00, v41, v29 op_sel_hi:[0,1,1]
	v_pk_add_f16 v39, v22, v39
	s_delay_alu instid0(VALU_DEP_3) | instskip(SKIP_2) | instid1(VALU_DEP_2)
	v_pk_fma_f16 v40, 0x2c00, v31, v26 op_sel_hi:[0,1,1]
	v_and_or_b32 v31, v32, s5, 0x64006400
	v_lshrrev_b32_e32 v32, 8, v32
	v_pk_add_f16 v43, v25, v31
	s_delay_alu instid0(VALU_DEP_2) | instskip(SKIP_2) | instid1(VALU_DEP_3)
	v_and_or_b32 v42, v32, s5, 0x64006400
	v_and_or_b32 v32, v32, s17, 0x64006400
	;; [unrolled: 1-line block ×3, first 2 shown]
	v_pk_add_f16 v42, v25, v42
	s_delay_alu instid0(VALU_DEP_3) | instskip(SKIP_1) | instid1(VALU_DEP_4)
	v_pk_fma_f16 v44, 0x2c00, v32, v29 op_sel_hi:[0,1,1]
	v_and_or_b32 v32, v33, s17, 0x64006400
	v_pk_add_f16 v46, v23, v31
	v_and_or_b32 v31, v34, s5, 0x64006400
	v_lshrrev_b32_e32 v33, 8, v33
	s_delay_alu instid0(VALU_DEP_4) | instskip(SKIP_1) | instid1(VALU_DEP_4)
	v_pk_fma_f16 v47, 0x2c00, v32, v28 op_sel_hi:[0,1,1]
	v_and_or_b32 v32, v34, s17, 0x64006400
	v_pk_add_f16 v49, v24, v31
	s_delay_alu instid0(VALU_DEP_4) | instskip(SKIP_1) | instid1(VALU_DEP_4)
	v_and_or_b32 v45, v33, s5, 0x64006400
	v_and_or_b32 v33, v33, s17, 0x64006400
	v_pk_fma_f16 v50, 0x2c00, v32, v27 op_sel_hi:[0,1,1]
	ds_load_2addr_b32 v[31:32], v30 offset0:4 offset1:5
	v_pk_add_f16 v45, v23, v45
	v_pk_fma_f16 v48, 0x2c00, v33, v28 op_sel_hi:[0,1,1]
	v_lshrrev_b32_e32 v33, 8, v34
	s_delay_alu instid0(VALU_DEP_1) | instskip(SKIP_1) | instid1(VALU_DEP_2)
	v_and_or_b32 v34, v33, s5, 0x64006400
	v_and_or_b32 v33, v33, s17, 0x64006400
	v_pk_add_f16 v51, v24, v34
	s_delay_alu instid0(VALU_DEP_2) | instskip(SKIP_2) | instid1(VALU_DEP_1)
	v_pk_fma_f16 v52, 0x2c00, v33, v27 op_sel_hi:[0,1,1]
	s_waitcnt lgkmcnt(0)
	v_pk_fma_f16 v33, v37, v31, 0
	v_pk_fma_f16 v53, v38, v32, v33
	ds_load_2addr_b32 v[33:34], v30 offset0:6 offset1:7
	s_waitcnt lgkmcnt(0)
	v_pk_fma_f16 v53, v39, v33, v53
	s_delay_alu instid0(VALU_DEP_1) | instskip(NEXT) | instid1(VALU_DEP_1)
	v_pk_fma_f16 v53, v40, v34, v53
	v_cvt_f32_f16_e32 v54, v53
	v_lshrrev_b32_e32 v53, 16, v53
	s_delay_alu instid0(VALU_DEP_1) | instskip(NEXT) | instid1(VALU_DEP_1)
	v_cvt_f32_f16_e32 v53, v53
	v_add_f32_e32 v53, v54, v53
	s_delay_alu instid0(VALU_DEP_1) | instskip(SKIP_1) | instid1(VALU_DEP_1)
	v_fmac_f32_e32 v0, v53, v18
	v_pk_fma_f16 v53, v43, v31, 0
	v_pk_fma_f16 v53, v41, v32, v53
	s_delay_alu instid0(VALU_DEP_1) | instskip(NEXT) | instid1(VALU_DEP_1)
	v_pk_fma_f16 v53, v42, v33, v53
	v_pk_fma_f16 v53, v44, v34, v53
	s_delay_alu instid0(VALU_DEP_1) | instskip(SKIP_1) | instid1(VALU_DEP_1)
	v_cvt_f32_f16_e32 v54, v53
	v_lshrrev_b32_e32 v53, 16, v53
	v_cvt_f32_f16_e32 v53, v53
	s_delay_alu instid0(VALU_DEP_1) | instskip(NEXT) | instid1(VALU_DEP_1)
	v_add_f32_e32 v53, v54, v53
	v_fmac_f32_e32 v5, v53, v20
	v_pk_fma_f16 v53, v46, v31, 0
	v_pk_fma_f16 v31, v49, v31, 0
	s_delay_alu instid0(VALU_DEP_2) | instskip(NEXT) | instid1(VALU_DEP_2)
	v_pk_fma_f16 v53, v47, v32, v53
	v_pk_fma_f16 v31, v50, v32, v31
	s_delay_alu instid0(VALU_DEP_2) | instskip(NEXT) | instid1(VALU_DEP_2)
	;; [unrolled: 3-line block ×3, first 2 shown]
	v_pk_fma_f16 v53, v48, v34, v53
	v_pk_fma_f16 v31, v52, v34, v31
	s_delay_alu instid0(VALU_DEP_2) | instskip(SKIP_1) | instid1(VALU_DEP_3)
	v_cvt_f32_f16_e32 v54, v53
	v_lshrrev_b32_e32 v53, 16, v53
	v_cvt_f32_f16_e32 v32, v31
	v_lshrrev_b32_e32 v31, 16, v31
	s_delay_alu instid0(VALU_DEP_3) | instskip(NEXT) | instid1(VALU_DEP_2)
	v_cvt_f32_f16_e32 v53, v53
	v_cvt_f32_f16_e32 v31, v31
	s_delay_alu instid0(VALU_DEP_2) | instskip(NEXT) | instid1(VALU_DEP_2)
	v_add_f32_e32 v53, v54, v53
	v_add_f32_e32 v31, v32, v31
	s_delay_alu instid0(VALU_DEP_1) | instskip(SKIP_3) | instid1(VALU_DEP_1)
	v_dual_fmac_f32 v6, v53, v19 :: v_dual_fmac_f32 v7, v31, v21
	ds_load_2addr_b32 v[31:32], v30 offset0:68 offset1:69
	s_waitcnt lgkmcnt(0)
	v_pk_fma_f16 v33, v37, v31, 0
	v_pk_fma_f16 v53, v38, v32, v33
	ds_load_2addr_b32 v[33:34], v30 offset0:70 offset1:71
	s_waitcnt lgkmcnt(0)
	v_pk_fma_f16 v53, v39, v33, v53
	s_delay_alu instid0(VALU_DEP_1) | instskip(NEXT) | instid1(VALU_DEP_1)
	v_pk_fma_f16 v53, v40, v34, v53
	v_cvt_f32_f16_e32 v54, v53
	v_lshrrev_b32_e32 v53, 16, v53
	s_delay_alu instid0(VALU_DEP_1) | instskip(NEXT) | instid1(VALU_DEP_1)
	v_cvt_f32_f16_e32 v53, v53
	v_add_f32_e32 v53, v54, v53
	s_delay_alu instid0(VALU_DEP_1) | instskip(SKIP_1) | instid1(VALU_DEP_1)
	v_fmac_f32_e32 v8, v53, v18
	v_pk_fma_f16 v53, v43, v31, 0
	v_pk_fma_f16 v53, v41, v32, v53
	s_delay_alu instid0(VALU_DEP_1) | instskip(NEXT) | instid1(VALU_DEP_1)
	v_pk_fma_f16 v53, v42, v33, v53
	v_pk_fma_f16 v53, v44, v34, v53
	s_delay_alu instid0(VALU_DEP_1) | instskip(SKIP_1) | instid1(VALU_DEP_1)
	v_cvt_f32_f16_e32 v54, v53
	v_lshrrev_b32_e32 v53, 16, v53
	v_cvt_f32_f16_e32 v53, v53
	s_delay_alu instid0(VALU_DEP_1) | instskip(NEXT) | instid1(VALU_DEP_1)
	v_add_f32_e32 v53, v54, v53
	v_fmac_f32_e32 v9, v53, v20
	v_pk_fma_f16 v53, v46, v31, 0
	v_pk_fma_f16 v31, v49, v31, 0
	s_delay_alu instid0(VALU_DEP_2) | instskip(NEXT) | instid1(VALU_DEP_2)
	v_pk_fma_f16 v53, v47, v32, v53
	v_pk_fma_f16 v31, v50, v32, v31
	s_delay_alu instid0(VALU_DEP_2) | instskip(NEXT) | instid1(VALU_DEP_2)
	;; [unrolled: 3-line block ×4, first 2 shown]
	v_cvt_f32_f16_e32 v54, v53
	v_cvt_f32_f16_e32 v32, v31
	v_lshrrev_b32_e32 v31, 16, v31
	v_lshrrev_b32_e32 v53, 16, v53
	s_delay_alu instid0(VALU_DEP_2) | instskip(NEXT) | instid1(VALU_DEP_2)
	v_cvt_f32_f16_e32 v31, v31
	v_cvt_f32_f16_e32 v53, v53
	s_delay_alu instid0(VALU_DEP_2) | instskip(NEXT) | instid1(VALU_DEP_2)
	v_add_f32_e32 v31, v32, v31
	v_add_f32_e32 v53, v54, v53
	s_delay_alu instid0(VALU_DEP_2) | instskip(SKIP_4) | instid1(VALU_DEP_1)
	v_fmac_f32_e32 v11, v31, v21
	ds_load_2addr_b32 v[31:32], v30 offset0:132 offset1:133
	v_fmac_f32_e32 v10, v53, v19
	s_waitcnt lgkmcnt(0)
	v_pk_fma_f16 v33, v37, v31, 0
	v_pk_fma_f16 v37, v38, v32, v33
	ds_load_2addr_b32 v[33:34], v30 offset0:134 offset1:135
	s_waitcnt lgkmcnt(0)
	v_pk_fma_f16 v37, v39, v33, v37
	s_delay_alu instid0(VALU_DEP_1) | instskip(NEXT) | instid1(VALU_DEP_1)
	v_pk_fma_f16 v37, v40, v34, v37
	v_cvt_f32_f16_e32 v38, v37
	v_lshrrev_b32_e32 v37, 16, v37
	s_delay_alu instid0(VALU_DEP_1) | instskip(NEXT) | instid1(VALU_DEP_1)
	v_cvt_f32_f16_e32 v37, v37
	v_add_f32_e32 v37, v38, v37
	s_delay_alu instid0(VALU_DEP_1) | instskip(SKIP_1) | instid1(VALU_DEP_1)
	v_fmac_f32_e32 v12, v37, v18
	v_pk_fma_f16 v37, v43, v31, 0
	v_pk_fma_f16 v37, v41, v32, v37
	s_delay_alu instid0(VALU_DEP_1) | instskip(NEXT) | instid1(VALU_DEP_1)
	v_pk_fma_f16 v37, v42, v33, v37
	v_pk_fma_f16 v37, v44, v34, v37
	s_delay_alu instid0(VALU_DEP_1) | instskip(SKIP_1) | instid1(VALU_DEP_1)
	v_cvt_f32_f16_e32 v38, v37
	v_lshrrev_b32_e32 v37, 16, v37
	v_cvt_f32_f16_e32 v37, v37
	s_delay_alu instid0(VALU_DEP_1) | instskip(NEXT) | instid1(VALU_DEP_1)
	v_add_f32_e32 v37, v38, v37
	v_fmac_f32_e32 v13, v37, v20
	v_pk_fma_f16 v37, v46, v31, 0
	v_pk_fma_f16 v31, v49, v31, 0
	s_delay_alu instid0(VALU_DEP_2) | instskip(NEXT) | instid1(VALU_DEP_2)
	v_pk_fma_f16 v37, v47, v32, v37
	v_pk_fma_f16 v31, v50, v32, v31
	s_delay_alu instid0(VALU_DEP_2) | instskip(NEXT) | instid1(VALU_DEP_2)
	;; [unrolled: 3-line block ×4, first 2 shown]
	v_cvt_f32_f16_e32 v38, v37
	v_cvt_f32_f16_e32 v32, v31
	v_lshrrev_b32_e32 v31, 16, v31
	v_lshrrev_b32_e32 v37, 16, v37
	s_delay_alu instid0(VALU_DEP_2) | instskip(NEXT) | instid1(VALU_DEP_2)
	v_cvt_f32_f16_e32 v31, v31
	v_cvt_f32_f16_e32 v37, v37
	s_delay_alu instid0(VALU_DEP_2) | instskip(NEXT) | instid1(VALU_DEP_2)
	v_add_f32_e32 v31, v32, v31
	v_add_f32_e32 v37, v38, v37
	s_delay_alu instid0(VALU_DEP_2)
	v_fmac_f32_e32 v17, v31, v21
	global_load_b128 v[31:34], v[35:36], off
	v_fmac_f32_e32 v14, v37, v19
	s_waitcnt vmcnt(0)
	v_and_or_b32 v37, v31, s5, 0x64006400
	v_and_or_b32 v38, v31, s17, 0x64006400
	v_lshrrev_b32_e32 v31, 8, v31
	v_and_or_b32 v41, v32, s17, 0x64006400
	s_delay_alu instid0(VALU_DEP_4) | instskip(NEXT) | instid1(VALU_DEP_4)
	v_pk_add_f16 v37, v22, v37
	v_pk_fma_f16 v38, 0x2c00, v38, v26 op_sel_hi:[0,1,1]
	s_delay_alu instid0(VALU_DEP_4) | instskip(SKIP_2) | instid1(VALU_DEP_3)
	v_and_or_b32 v39, v31, s5, 0x64006400
	v_and_or_b32 v31, v31, s17, 0x64006400
	v_pk_fma_f16 v41, 0x2c00, v41, v29 op_sel_hi:[0,1,1]
	v_pk_add_f16 v39, v22, v39
	s_delay_alu instid0(VALU_DEP_3) | instskip(SKIP_2) | instid1(VALU_DEP_2)
	v_pk_fma_f16 v40, 0x2c00, v31, v26 op_sel_hi:[0,1,1]
	v_and_or_b32 v31, v32, s5, 0x64006400
	v_lshrrev_b32_e32 v32, 8, v32
	v_pk_add_f16 v43, v25, v31
	s_delay_alu instid0(VALU_DEP_2) | instskip(SKIP_2) | instid1(VALU_DEP_3)
	v_and_or_b32 v42, v32, s5, 0x64006400
	v_and_or_b32 v32, v32, s17, 0x64006400
	;; [unrolled: 1-line block ×3, first 2 shown]
	v_pk_add_f16 v42, v25, v42
	s_delay_alu instid0(VALU_DEP_3) | instskip(SKIP_1) | instid1(VALU_DEP_4)
	v_pk_fma_f16 v44, 0x2c00, v32, v29 op_sel_hi:[0,1,1]
	v_and_or_b32 v32, v33, s17, 0x64006400
	v_pk_add_f16 v46, v23, v31
	v_and_or_b32 v31, v34, s5, 0x64006400
	v_lshrrev_b32_e32 v33, 8, v33
	s_delay_alu instid0(VALU_DEP_4) | instskip(SKIP_1) | instid1(VALU_DEP_4)
	v_pk_fma_f16 v47, 0x2c00, v32, v28 op_sel_hi:[0,1,1]
	v_and_or_b32 v32, v34, s17, 0x64006400
	v_pk_add_f16 v49, v24, v31
	s_delay_alu instid0(VALU_DEP_4) | instskip(SKIP_1) | instid1(VALU_DEP_4)
	v_and_or_b32 v45, v33, s5, 0x64006400
	v_and_or_b32 v33, v33, s17, 0x64006400
	v_pk_fma_f16 v50, 0x2c00, v32, v27 op_sel_hi:[0,1,1]
	ds_load_2addr_b32 v[31:32], v30 offset0:8 offset1:9
	v_pk_add_f16 v45, v23, v45
	v_pk_fma_f16 v48, 0x2c00, v33, v28 op_sel_hi:[0,1,1]
	v_lshrrev_b32_e32 v33, 8, v34
	s_delay_alu instid0(VALU_DEP_1) | instskip(SKIP_1) | instid1(VALU_DEP_2)
	v_and_or_b32 v34, v33, s5, 0x64006400
	v_and_or_b32 v33, v33, s17, 0x64006400
	v_pk_add_f16 v51, v24, v34
	s_delay_alu instid0(VALU_DEP_2) | instskip(SKIP_2) | instid1(VALU_DEP_1)
	v_pk_fma_f16 v52, 0x2c00, v33, v27 op_sel_hi:[0,1,1]
	s_waitcnt lgkmcnt(0)
	v_pk_fma_f16 v33, v37, v31, 0
	v_pk_fma_f16 v53, v38, v32, v33
	ds_load_2addr_b32 v[33:34], v30 offset0:10 offset1:11
	s_waitcnt lgkmcnt(0)
	v_pk_fma_f16 v53, v39, v33, v53
	s_delay_alu instid0(VALU_DEP_1) | instskip(NEXT) | instid1(VALU_DEP_1)
	v_pk_fma_f16 v53, v40, v34, v53
	v_cvt_f32_f16_e32 v54, v53
	v_lshrrev_b32_e32 v53, 16, v53
	s_delay_alu instid0(VALU_DEP_1) | instskip(NEXT) | instid1(VALU_DEP_1)
	v_cvt_f32_f16_e32 v53, v53
	v_add_f32_e32 v53, v54, v53
	s_delay_alu instid0(VALU_DEP_1) | instskip(SKIP_1) | instid1(VALU_DEP_1)
	v_fmac_f32_e32 v0, v53, v18
	v_pk_fma_f16 v53, v43, v31, 0
	v_pk_fma_f16 v53, v41, v32, v53
	s_delay_alu instid0(VALU_DEP_1) | instskip(NEXT) | instid1(VALU_DEP_1)
	v_pk_fma_f16 v53, v42, v33, v53
	v_pk_fma_f16 v53, v44, v34, v53
	s_delay_alu instid0(VALU_DEP_1) | instskip(SKIP_1) | instid1(VALU_DEP_1)
	v_cvt_f32_f16_e32 v54, v53
	v_lshrrev_b32_e32 v53, 16, v53
	v_cvt_f32_f16_e32 v53, v53
	s_delay_alu instid0(VALU_DEP_1) | instskip(NEXT) | instid1(VALU_DEP_1)
	v_add_f32_e32 v53, v54, v53
	v_fmac_f32_e32 v5, v53, v20
	v_pk_fma_f16 v53, v46, v31, 0
	v_pk_fma_f16 v31, v49, v31, 0
	s_delay_alu instid0(VALU_DEP_2) | instskip(NEXT) | instid1(VALU_DEP_2)
	v_pk_fma_f16 v53, v47, v32, v53
	v_pk_fma_f16 v31, v50, v32, v31
	s_delay_alu instid0(VALU_DEP_2) | instskip(NEXT) | instid1(VALU_DEP_2)
	v_pk_fma_f16 v53, v45, v33, v53
	v_pk_fma_f16 v31, v51, v33, v31
	s_delay_alu instid0(VALU_DEP_2) | instskip(NEXT) | instid1(VALU_DEP_2)
	v_pk_fma_f16 v53, v48, v34, v53
	v_pk_fma_f16 v31, v52, v34, v31
	s_delay_alu instid0(VALU_DEP_2) | instskip(NEXT) | instid1(VALU_DEP_2)
	v_cvt_f32_f16_e32 v54, v53
	v_cvt_f32_f16_e32 v32, v31
	v_lshrrev_b32_e32 v31, 16, v31
	v_lshrrev_b32_e32 v53, 16, v53
	s_delay_alu instid0(VALU_DEP_2) | instskip(NEXT) | instid1(VALU_DEP_2)
	v_cvt_f32_f16_e32 v31, v31
	v_cvt_f32_f16_e32 v53, v53
	s_delay_alu instid0(VALU_DEP_2) | instskip(NEXT) | instid1(VALU_DEP_2)
	v_add_f32_e32 v31, v32, v31
	v_add_f32_e32 v53, v54, v53
	s_delay_alu instid0(VALU_DEP_2) | instskip(SKIP_4) | instid1(VALU_DEP_1)
	v_fmac_f32_e32 v7, v31, v21
	ds_load_2addr_b32 v[31:32], v30 offset0:72 offset1:73
	v_fmac_f32_e32 v6, v53, v19
	s_waitcnt lgkmcnt(0)
	v_pk_fma_f16 v33, v37, v31, 0
	v_pk_fma_f16 v53, v38, v32, v33
	ds_load_2addr_b32 v[33:34], v30 offset0:74 offset1:75
	s_waitcnt lgkmcnt(0)
	v_pk_fma_f16 v53, v39, v33, v53
	s_delay_alu instid0(VALU_DEP_1) | instskip(NEXT) | instid1(VALU_DEP_1)
	v_pk_fma_f16 v53, v40, v34, v53
	v_cvt_f32_f16_e32 v54, v53
	v_lshrrev_b32_e32 v53, 16, v53
	s_delay_alu instid0(VALU_DEP_1) | instskip(NEXT) | instid1(VALU_DEP_1)
	v_cvt_f32_f16_e32 v53, v53
	v_add_f32_e32 v53, v54, v53
	s_delay_alu instid0(VALU_DEP_1) | instskip(SKIP_1) | instid1(VALU_DEP_1)
	v_fmac_f32_e32 v8, v53, v18
	v_pk_fma_f16 v53, v43, v31, 0
	v_pk_fma_f16 v53, v41, v32, v53
	s_delay_alu instid0(VALU_DEP_1) | instskip(NEXT) | instid1(VALU_DEP_1)
	v_pk_fma_f16 v53, v42, v33, v53
	v_pk_fma_f16 v53, v44, v34, v53
	s_delay_alu instid0(VALU_DEP_1) | instskip(SKIP_1) | instid1(VALU_DEP_1)
	v_cvt_f32_f16_e32 v54, v53
	v_lshrrev_b32_e32 v53, 16, v53
	v_cvt_f32_f16_e32 v53, v53
	s_delay_alu instid0(VALU_DEP_1) | instskip(NEXT) | instid1(VALU_DEP_1)
	v_add_f32_e32 v53, v54, v53
	v_fmac_f32_e32 v9, v53, v20
	v_pk_fma_f16 v53, v46, v31, 0
	v_pk_fma_f16 v31, v49, v31, 0
	s_delay_alu instid0(VALU_DEP_2) | instskip(NEXT) | instid1(VALU_DEP_2)
	v_pk_fma_f16 v53, v47, v32, v53
	v_pk_fma_f16 v31, v50, v32, v31
	s_delay_alu instid0(VALU_DEP_2) | instskip(NEXT) | instid1(VALU_DEP_2)
	;; [unrolled: 3-line block ×4, first 2 shown]
	v_cvt_f32_f16_e32 v54, v53
	v_cvt_f32_f16_e32 v32, v31
	v_lshrrev_b32_e32 v31, 16, v31
	v_lshrrev_b32_e32 v53, 16, v53
	s_delay_alu instid0(VALU_DEP_2) | instskip(NEXT) | instid1(VALU_DEP_2)
	v_cvt_f32_f16_e32 v31, v31
	v_cvt_f32_f16_e32 v53, v53
	s_delay_alu instid0(VALU_DEP_2) | instskip(NEXT) | instid1(VALU_DEP_2)
	v_add_f32_e32 v31, v32, v31
	v_add_f32_e32 v53, v54, v53
	s_delay_alu instid0(VALU_DEP_2) | instskip(SKIP_4) | instid1(VALU_DEP_1)
	v_fmac_f32_e32 v11, v31, v21
	ds_load_2addr_b32 v[31:32], v30 offset0:136 offset1:137
	v_fmac_f32_e32 v10, v53, v19
	s_waitcnt lgkmcnt(0)
	v_pk_fma_f16 v33, v37, v31, 0
	v_pk_fma_f16 v37, v38, v32, v33
	ds_load_2addr_b32 v[33:34], v30 offset0:138 offset1:139
	s_waitcnt lgkmcnt(0)
	v_pk_fma_f16 v37, v39, v33, v37
	s_delay_alu instid0(VALU_DEP_1) | instskip(NEXT) | instid1(VALU_DEP_1)
	v_pk_fma_f16 v37, v40, v34, v37
	v_cvt_f32_f16_e32 v38, v37
	v_lshrrev_b32_e32 v37, 16, v37
	s_delay_alu instid0(VALU_DEP_1) | instskip(NEXT) | instid1(VALU_DEP_1)
	v_cvt_f32_f16_e32 v37, v37
	v_add_f32_e32 v37, v38, v37
	s_delay_alu instid0(VALU_DEP_1) | instskip(SKIP_1) | instid1(VALU_DEP_1)
	v_fmac_f32_e32 v12, v37, v18
	v_pk_fma_f16 v37, v43, v31, 0
	v_pk_fma_f16 v37, v41, v32, v37
	s_delay_alu instid0(VALU_DEP_1) | instskip(NEXT) | instid1(VALU_DEP_1)
	v_pk_fma_f16 v37, v42, v33, v37
	v_pk_fma_f16 v37, v44, v34, v37
	s_delay_alu instid0(VALU_DEP_1) | instskip(SKIP_1) | instid1(VALU_DEP_1)
	v_cvt_f32_f16_e32 v38, v37
	v_lshrrev_b32_e32 v37, 16, v37
	v_cvt_f32_f16_e32 v37, v37
	s_delay_alu instid0(VALU_DEP_1) | instskip(NEXT) | instid1(VALU_DEP_1)
	v_add_f32_e32 v37, v38, v37
	v_fmac_f32_e32 v13, v37, v20
	v_pk_fma_f16 v37, v46, v31, 0
	v_pk_fma_f16 v31, v49, v31, 0
	s_delay_alu instid0(VALU_DEP_2) | instskip(NEXT) | instid1(VALU_DEP_2)
	v_pk_fma_f16 v37, v47, v32, v37
	v_pk_fma_f16 v31, v50, v32, v31
	s_delay_alu instid0(VALU_DEP_2) | instskip(NEXT) | instid1(VALU_DEP_2)
	v_pk_fma_f16 v37, v45, v33, v37
	v_pk_fma_f16 v31, v51, v33, v31
	s_delay_alu instid0(VALU_DEP_2) | instskip(NEXT) | instid1(VALU_DEP_2)
	v_pk_fma_f16 v37, v48, v34, v37
	v_pk_fma_f16 v31, v52, v34, v31
	s_delay_alu instid0(VALU_DEP_2) | instskip(NEXT) | instid1(VALU_DEP_2)
	v_cvt_f32_f16_e32 v38, v37
	v_cvt_f32_f16_e32 v32, v31
	v_lshrrev_b32_e32 v31, 16, v31
	v_lshrrev_b32_e32 v37, 16, v37
	s_delay_alu instid0(VALU_DEP_2) | instskip(NEXT) | instid1(VALU_DEP_2)
	v_cvt_f32_f16_e32 v31, v31
	v_cvt_f32_f16_e32 v37, v37
	s_delay_alu instid0(VALU_DEP_2) | instskip(NEXT) | instid1(VALU_DEP_2)
	v_add_f32_e32 v31, v32, v31
	v_add_f32_e32 v37, v38, v37
	s_delay_alu instid0(VALU_DEP_2) | instskip(SKIP_2) | instid1(VALU_DEP_4)
	v_fmac_f32_e32 v17, v31, v21
	v_add_co_u32 v31, vcc_lo, v35, s2
	v_add_co_ci_u32_e32 v32, vcc_lo, s3, v36, vcc_lo
	v_fmac_f32_e32 v14, v37, v19
	v_add_co_u32 v2, vcc_lo, v2, s0
	global_load_b128 v[31:34], v[31:32], off
	v_add_co_ci_u32_e32 v3, vcc_lo, s1, v3, vcc_lo
	s_waitcnt vmcnt(0)
	v_and_or_b32 v35, v31, s5, 0x64006400
	v_and_or_b32 v36, v31, s17, 0x64006400
	v_lshrrev_b32_e32 v31, 8, v31
	s_delay_alu instid0(VALU_DEP_3) | instskip(SKIP_1) | instid1(VALU_DEP_3)
	v_pk_add_f16 v45, v22, v35
	v_and_or_b32 v35, v32, s17, 0x64006400
	v_and_or_b32 v37, v31, s5, 0x64006400
	;; [unrolled: 1-line block ×3, first 2 shown]
	v_pk_fma_f16 v46, 0x2c00, v36, v26 op_sel_hi:[0,1,1]
	s_delay_alu instid0(VALU_DEP_4) | instskip(NEXT) | instid1(VALU_DEP_4)
	v_pk_fma_f16 v40, 0x2c00, v35, v29 op_sel_hi:[0,1,1]
	v_pk_add_f16 v43, v22, v37
	s_delay_alu instid0(VALU_DEP_4) | instskip(SKIP_2) | instid1(VALU_DEP_2)
	v_pk_fma_f16 v44, 0x2c00, v31, v26 op_sel_hi:[0,1,1]
	v_and_or_b32 v31, v32, s5, 0x64006400
	v_lshrrev_b32_e32 v32, 8, v32
	v_pk_add_f16 v39, v25, v31
	s_delay_alu instid0(VALU_DEP_2) | instskip(SKIP_2) | instid1(VALU_DEP_3)
	v_and_or_b32 v36, v32, s5, 0x64006400
	v_and_or_b32 v32, v32, s17, 0x64006400
	;; [unrolled: 1-line block ×3, first 2 shown]
	v_pk_add_f16 v41, v25, v36
	s_delay_alu instid0(VALU_DEP_3) | instskip(SKIP_4) | instid1(VALU_DEP_4)
	v_pk_fma_f16 v42, 0x2c00, v32, v29 op_sel_hi:[0,1,1]
	v_and_or_b32 v32, v33, s17, 0x64006400
	v_lshrrev_b32_e32 v33, 8, v33
	v_pk_add_f16 v35, v23, v31
	v_and_or_b32 v31, v34, s5, 0x64006400
	v_pk_fma_f16 v36, 0x2c00, v32, v28 op_sel_hi:[0,1,1]
	s_delay_alu instid0(VALU_DEP_4) | instskip(SKIP_2) | instid1(VALU_DEP_3)
	v_and_or_b32 v37, v33, s5, 0x64006400
	v_and_or_b32 v33, v33, s17, 0x64006400
	;; [unrolled: 1-line block ×3, first 2 shown]
	v_pk_add_f16 v37, v23, v37
	s_delay_alu instid0(VALU_DEP_3) | instskip(SKIP_2) | instid1(VALU_DEP_2)
	v_pk_fma_f16 v38, 0x2c00, v33, v28 op_sel_hi:[0,1,1]
	v_lshrrev_b32_e32 v33, 8, v34
	v_pk_add_f16 v34, v24, v31
	v_and_or_b32 v47, v33, s5, 0x64006400
	v_and_or_b32 v48, v33, s17, 0x64006400
	v_pk_fma_f16 v33, 0x2c00, v32, v27 op_sel_hi:[0,1,1]
	s_delay_alu instid0(VALU_DEP_3) | instskip(NEXT) | instid1(VALU_DEP_3)
	v_pk_add_f16 v32, v24, v47
	v_pk_fma_f16 v31, 0x2c00, v48, v27 op_sel_hi:[0,1,1]
	ds_load_2addr_b32 v[47:48], v30 offset0:12 offset1:13
	s_waitcnt lgkmcnt(0)
	v_pk_fma_f16 v49, v45, v47, 0
	s_delay_alu instid0(VALU_DEP_1) | instskip(SKIP_3) | instid1(VALU_DEP_1)
	v_pk_fma_f16 v51, v46, v48, v49
	ds_load_2addr_b32 v[49:50], v30 offset0:14 offset1:15
	s_waitcnt lgkmcnt(0)
	v_pk_fma_f16 v51, v43, v49, v51
	v_pk_fma_f16 v51, v44, v50, v51
	s_delay_alu instid0(VALU_DEP_1) | instskip(SKIP_1) | instid1(VALU_DEP_1)
	v_cvt_f32_f16_e32 v52, v51
	v_lshrrev_b32_e32 v51, 16, v51
	v_cvt_f32_f16_e32 v51, v51
	s_delay_alu instid0(VALU_DEP_1) | instskip(NEXT) | instid1(VALU_DEP_1)
	v_add_f32_e32 v51, v52, v51
	v_fmac_f32_e32 v0, v51, v18
	v_pk_fma_f16 v51, v39, v47, 0
	s_delay_alu instid0(VALU_DEP_1) | instskip(NEXT) | instid1(VALU_DEP_1)
	v_pk_fma_f16 v51, v40, v48, v51
	v_pk_fma_f16 v51, v41, v49, v51
	s_delay_alu instid0(VALU_DEP_1) | instskip(NEXT) | instid1(VALU_DEP_1)
	v_pk_fma_f16 v51, v42, v50, v51
	v_cvt_f32_f16_e32 v52, v51
	v_lshrrev_b32_e32 v51, 16, v51
	s_delay_alu instid0(VALU_DEP_1) | instskip(NEXT) | instid1(VALU_DEP_1)
	v_cvt_f32_f16_e32 v51, v51
	v_add_f32_e32 v51, v52, v51
	s_delay_alu instid0(VALU_DEP_1) | instskip(SKIP_2) | instid1(VALU_DEP_2)
	v_fmac_f32_e32 v5, v51, v20
	v_pk_fma_f16 v51, v35, v47, 0
	v_pk_fma_f16 v47, v34, v47, 0
	v_pk_fma_f16 v51, v36, v48, v51
	s_delay_alu instid0(VALU_DEP_2) | instskip(NEXT) | instid1(VALU_DEP_2)
	v_pk_fma_f16 v47, v33, v48, v47
	v_pk_fma_f16 v51, v37, v49, v51
	s_delay_alu instid0(VALU_DEP_2) | instskip(NEXT) | instid1(VALU_DEP_2)
	v_pk_fma_f16 v47, v32, v49, v47
	v_pk_fma_f16 v51, v38, v50, v51
	s_delay_alu instid0(VALU_DEP_2) | instskip(NEXT) | instid1(VALU_DEP_2)
	v_pk_fma_f16 v47, v31, v50, v47
	v_cvt_f32_f16_e32 v52, v51
	s_delay_alu instid0(VALU_DEP_2) | instskip(SKIP_2) | instid1(VALU_DEP_2)
	v_cvt_f32_f16_e32 v48, v47
	v_lshrrev_b32_e32 v47, 16, v47
	v_lshrrev_b32_e32 v51, 16, v51
	v_cvt_f32_f16_e32 v47, v47
	s_delay_alu instid0(VALU_DEP_2) | instskip(NEXT) | instid1(VALU_DEP_2)
	v_cvt_f32_f16_e32 v51, v51
	v_add_f32_e32 v47, v48, v47
	s_delay_alu instid0(VALU_DEP_2) | instskip(NEXT) | instid1(VALU_DEP_2)
	v_add_f32_e32 v51, v52, v51
	v_fmac_f32_e32 v7, v47, v21
	ds_load_2addr_b32 v[47:48], v30 offset0:76 offset1:77
	v_fmac_f32_e32 v6, v51, v19
	s_waitcnt lgkmcnt(0)
	v_pk_fma_f16 v49, v45, v47, 0
	s_delay_alu instid0(VALU_DEP_1) | instskip(SKIP_3) | instid1(VALU_DEP_1)
	v_pk_fma_f16 v51, v46, v48, v49
	ds_load_2addr_b32 v[49:50], v30 offset0:78 offset1:79
	s_waitcnt lgkmcnt(0)
	v_pk_fma_f16 v51, v43, v49, v51
	v_pk_fma_f16 v51, v44, v50, v51
	s_delay_alu instid0(VALU_DEP_1) | instskip(SKIP_1) | instid1(VALU_DEP_1)
	v_cvt_f32_f16_e32 v52, v51
	v_lshrrev_b32_e32 v51, 16, v51
	v_cvt_f32_f16_e32 v51, v51
	s_delay_alu instid0(VALU_DEP_1) | instskip(NEXT) | instid1(VALU_DEP_1)
	v_add_f32_e32 v51, v52, v51
	v_fmac_f32_e32 v8, v51, v18
	v_pk_fma_f16 v51, v39, v47, 0
	s_delay_alu instid0(VALU_DEP_1) | instskip(NEXT) | instid1(VALU_DEP_1)
	v_pk_fma_f16 v51, v40, v48, v51
	v_pk_fma_f16 v51, v41, v49, v51
	s_delay_alu instid0(VALU_DEP_1) | instskip(NEXT) | instid1(VALU_DEP_1)
	v_pk_fma_f16 v51, v42, v50, v51
	v_cvt_f32_f16_e32 v52, v51
	v_lshrrev_b32_e32 v51, 16, v51
	s_delay_alu instid0(VALU_DEP_1) | instskip(NEXT) | instid1(VALU_DEP_1)
	v_cvt_f32_f16_e32 v51, v51
	v_add_f32_e32 v51, v52, v51
	s_delay_alu instid0(VALU_DEP_1) | instskip(SKIP_2) | instid1(VALU_DEP_2)
	v_fmac_f32_e32 v9, v51, v20
	v_pk_fma_f16 v51, v35, v47, 0
	v_pk_fma_f16 v47, v34, v47, 0
	;; [unrolled: 1-line block ×3, first 2 shown]
	s_delay_alu instid0(VALU_DEP_2) | instskip(NEXT) | instid1(VALU_DEP_2)
	v_pk_fma_f16 v47, v33, v48, v47
	v_pk_fma_f16 v51, v37, v49, v51
	s_delay_alu instid0(VALU_DEP_2) | instskip(NEXT) | instid1(VALU_DEP_2)
	v_pk_fma_f16 v47, v32, v49, v47
	v_pk_fma_f16 v51, v38, v50, v51
	s_delay_alu instid0(VALU_DEP_2) | instskip(NEXT) | instid1(VALU_DEP_2)
	v_pk_fma_f16 v47, v31, v50, v47
	v_cvt_f32_f16_e32 v52, v51
	s_delay_alu instid0(VALU_DEP_2) | instskip(SKIP_2) | instid1(VALU_DEP_2)
	v_cvt_f32_f16_e32 v48, v47
	v_lshrrev_b32_e32 v47, 16, v47
	v_lshrrev_b32_e32 v51, 16, v51
	v_cvt_f32_f16_e32 v47, v47
	s_delay_alu instid0(VALU_DEP_2) | instskip(NEXT) | instid1(VALU_DEP_2)
	v_cvt_f32_f16_e32 v51, v51
	v_add_f32_e32 v47, v48, v47
	s_delay_alu instid0(VALU_DEP_2) | instskip(NEXT) | instid1(VALU_DEP_2)
	v_add_f32_e32 v51, v52, v51
	v_fmac_f32_e32 v11, v47, v21
	ds_load_2addr_b32 v[47:48], v30 offset0:140 offset1:141
	v_fmac_f32_e32 v10, v51, v19
	s_waitcnt lgkmcnt(0)
	v_pk_fma_f16 v45, v45, v47, 0
	s_delay_alu instid0(VALU_DEP_1) | instskip(SKIP_3) | instid1(VALU_DEP_1)
	v_pk_fma_f16 v49, v46, v48, v45
	ds_load_2addr_b32 v[45:46], v30 offset0:142 offset1:143
	s_waitcnt lgkmcnt(0)
	v_pk_fma_f16 v30, v43, v45, v49
	v_pk_fma_f16 v30, v44, v46, v30
	s_delay_alu instid0(VALU_DEP_1) | instskip(SKIP_1) | instid1(VALU_DEP_1)
	v_cvt_f32_f16_e32 v43, v30
	v_lshrrev_b32_e32 v30, 16, v30
	v_cvt_f32_f16_e32 v30, v30
	s_delay_alu instid0(VALU_DEP_1) | instskip(NEXT) | instid1(VALU_DEP_1)
	v_add_f32_e32 v30, v43, v30
	v_fmac_f32_e32 v12, v30, v18
	v_pk_fma_f16 v30, v39, v47, 0
	s_delay_alu instid0(VALU_DEP_1) | instskip(NEXT) | instid1(VALU_DEP_1)
	v_pk_fma_f16 v30, v40, v48, v30
	v_pk_fma_f16 v30, v41, v45, v30
	s_delay_alu instid0(VALU_DEP_1) | instskip(NEXT) | instid1(VALU_DEP_1)
	v_pk_fma_f16 v30, v42, v46, v30
	v_cvt_f32_f16_e32 v39, v30
	v_lshrrev_b32_e32 v30, 16, v30
	s_delay_alu instid0(VALU_DEP_1) | instskip(NEXT) | instid1(VALU_DEP_1)
	v_cvt_f32_f16_e32 v30, v30
	v_add_f32_e32 v30, v39, v30
	s_delay_alu instid0(VALU_DEP_1) | instskip(SKIP_1) | instid1(VALU_DEP_1)
	v_fmac_f32_e32 v13, v30, v20
	v_pk_fma_f16 v30, v35, v47, 0
	v_pk_fma_f16 v30, v36, v48, v30
	s_delay_alu instid0(VALU_DEP_1) | instskip(NEXT) | instid1(VALU_DEP_1)
	v_pk_fma_f16 v30, v37, v45, v30
	v_pk_fma_f16 v30, v38, v46, v30
	s_delay_alu instid0(VALU_DEP_1) | instskip(SKIP_1) | instid1(VALU_DEP_1)
	v_cvt_f32_f16_e32 v35, v30
	v_lshrrev_b32_e32 v30, 16, v30
	v_cvt_f32_f16_e32 v30, v30
	s_delay_alu instid0(VALU_DEP_1) | instskip(NEXT) | instid1(VALU_DEP_1)
	v_add_f32_e32 v30, v35, v30
	v_fmac_f32_e32 v14, v30, v19
	v_pk_fma_f16 v30, v34, v47, 0
	s_delay_alu instid0(VALU_DEP_1) | instskip(NEXT) | instid1(VALU_DEP_1)
	v_pk_fma_f16 v30, v33, v48, v30
	v_pk_fma_f16 v30, v32, v45, v30
	s_delay_alu instid0(VALU_DEP_1) | instskip(NEXT) | instid1(VALU_DEP_1)
	v_pk_fma_f16 v30, v31, v46, v30
	v_cvt_f32_f16_e32 v31, v30
	v_lshrrev_b32_e32 v30, 16, v30
	s_delay_alu instid0(VALU_DEP_1) | instskip(NEXT) | instid1(VALU_DEP_1)
	v_cvt_f32_f16_e32 v30, v30
	v_add_f32_e32 v30, v31, v30
	s_delay_alu instid0(VALU_DEP_1)
	v_fmac_f32_e32 v17, v30, v21
	s_cbranch_scc1 .LBB25_14
.LBB25_12:                              ; =>This Inner Loop Header: Depth=1
	s_cmp_lg_u32 s15, s4
	s_cbranch_scc1 .LBB25_11
; %bb.13:                               ;   in Loop: Header=BB25_12 Depth=1
	s_add_i32 s18, s18, 1
	s_add_i32 s4, s4, s14
	s_mul_i32 s19, s18, s16
	s_delay_alu instid0(SALU_CYCLE_1) | instskip(SKIP_2) | instid1(SALU_CYCLE_1)
	s_ashr_i32 s21, s19, 31
	v_add_nc_u32_e32 v18, s19, v1
	s_lshr_b32 s21, s21, 29
	s_add_i32 s19, s19, s21
	s_delay_alu instid0(VALU_DEP_1) | instskip(SKIP_1) | instid1(SALU_CYCLE_1)
	v_ashrrev_i32_e32 v19, 31, v18
	s_ashr_i32 s19, s19, 3
	v_add_nc_u32_e32 v20, s19, v4
	s_delay_alu instid0(VALU_DEP_2) | instskip(NEXT) | instid1(VALU_DEP_2)
	v_lshlrev_b64 v[18:19], 1, v[18:19]
	v_ashrrev_i32_e32 v21, 31, v20
	s_delay_alu instid0(VALU_DEP_2) | instskip(NEXT) | instid1(VALU_DEP_2)
	v_add_co_u32 v18, vcc_lo, s8, v18
	v_lshlrev_b64 v[20:21], 2, v[20:21]
	s_delay_alu instid0(VALU_DEP_4) | instskip(NEXT) | instid1(VALU_DEP_2)
	v_add_co_ci_u32_e32 v19, vcc_lo, s9, v19, vcc_lo
	v_add_co_u32 v20, vcc_lo, s6, v20
	s_delay_alu instid0(VALU_DEP_3)
	v_add_co_ci_u32_e32 v21, vcc_lo, s7, v21, vcc_lo
	global_load_b64 v[22:23], v[18:19], off
	global_load_b32 v19, v[20:21], off
	s_waitcnt vmcnt(1)
	v_cvt_f32_f16_e32 v18, v22
	v_lshrrev_b32_e32 v20, 16, v22
	s_waitcnt vmcnt(0)
	v_bfe_u32 v21, v19, v15, 4
	v_lshrrev_b32_e32 v22, 16, v23
	v_lshrrev_b32_e32 v24, v15, v19
	v_cvt_f32_f16_e32 v19, v23
	v_cvt_f32_f16_e32 v20, v20
	v_add_nc_u32_e32 v23, v21, v16
	v_cvt_f32_f16_e32 v21, v22
	v_bfe_u32 v22, v24, 4, 4
	v_bfe_u32 v25, v24, 8, 4
	;; [unrolled: 1-line block ×3, first 2 shown]
	v_cvt_f32_ubyte0_e32 v26, v23
	v_or_b32_e32 v23, 0xffffe400, v23
	v_add_nc_u32_e32 v27, v22, v16
	v_add_nc_u32_e32 v25, v25, v16
	;; [unrolled: 1-line block ×3, first 2 shown]
	v_cvt_f16_f32_e32 v26, v26
	v_perm_b32 v22, v23, v23, 0x5040100
	v_or_b32_e32 v23, 0xffffe400, v27
	v_cvt_f32_ubyte0_e32 v27, v27
	v_or_b32_e32 v28, 0xffffe400, v25
	v_cvt_f32_ubyte0_e32 v25, v25
	v_cvt_f32_ubyte0_e32 v29, v24
	v_or_b32_e32 v24, 0xffffe400, v24
	v_cvt_f16_f32_e32 v27, v27
	v_sub_f16_e32 v26, 0xd400, v26
	v_cvt_f16_f32_e32 v30, v25
	v_cvt_f16_f32_e32 v29, v29
	v_perm_b32 v25, v23, v23, 0x5040100
	v_perm_b32 v23, v28, v28, 0x5040100
	v_sub_f16_e32 v27, 0xd400, v27
	v_sub_f16_e32 v28, 0xd400, v30
	;; [unrolled: 1-line block ×3, first 2 shown]
	v_perm_b32 v24, v24, v24, 0x5040100
	v_pack_b32_f16 v26, v26, v26
	v_pack_b32_f16 v29, v27, v27
	v_pack_b32_f16 v28, v28, v28
	v_pack_b32_f16 v27, v30, v30
	s_branch .LBB25_11
.LBB25_14:
	v_cvt_f16_f32_e32 v21, v0
	v_cvt_f16_f32_e32 v20, v5
	;; [unrolled: 1-line block ×12, first 2 shown]
.LBB25_15:
	v_mad_u64_u32 v[2:3], null, s12, s16, v[1:2]
	v_perm_b32 v11, v20, v21, 0x5040100
	s_mov_b32 s0, 0
	s_delay_alu instid0(VALU_DEP_2) | instskip(NEXT) | instid1(VALU_DEP_1)
	v_ashrrev_i32_e32 v3, 31, v2
	v_lshlrev_b64 v[0:1], 1, v[2:3]
	s_delay_alu instid0(VALU_DEP_1) | instskip(NEXT) | instid1(VALU_DEP_2)
	v_add_co_u32 v0, vcc_lo, s10, v0
	v_add_co_ci_u32_e32 v1, vcc_lo, s11, v1, vcc_lo
	global_load_b32 v4, v[0:1], off
.LBB25_16:                              ; =>This Inner Loop Header: Depth=1
	s_waitcnt vmcnt(0)
	v_pk_add_f16 v3, v11, v4
	global_atomic_cmpswap_b32 v3, v[0:1], v[3:4], off glc
	s_waitcnt vmcnt(0)
	v_cmp_eq_u32_e32 vcc_lo, v4, v3
	v_mov_b32_e32 v4, v3
	s_or_b32 s0, vcc_lo, s0
	s_delay_alu instid0(SALU_CYCLE_1)
	s_and_not1_b32 exec_lo, exec_lo, s0
	s_cbranch_execnz .LBB25_16
; %bb.17:
	s_or_b32 exec_lo, exec_lo, s0
	global_load_b32 v4, v[0:1], off offset:4
	v_perm_b32 v11, v18, v19, 0x5040100
	s_mov_b32 s0, 0
.LBB25_18:                              ; =>This Inner Loop Header: Depth=1
	s_waitcnt vmcnt(0)
	s_delay_alu instid0(VALU_DEP_1)
	v_pk_add_f16 v3, v11, v4
	global_atomic_cmpswap_b32 v3, v[0:1], v[3:4], off offset:4 glc
	s_waitcnt vmcnt(0)
	v_cmp_eq_u32_e32 vcc_lo, v4, v3
	v_mov_b32_e32 v4, v3
	s_or_b32 s0, vcc_lo, s0
	s_delay_alu instid0(SALU_CYCLE_1)
	s_and_not1_b32 exec_lo, exec_lo, s0
	s_cbranch_execnz .LBB25_18
; %bb.19:
	s_or_b32 exec_lo, exec_lo, s0
	v_add_nc_u32_e32 v0, s16, v2
	v_perm_b32 v11, v15, v16, 0x5040100
	s_mov_b32 s0, 0
	s_delay_alu instid0(VALU_DEP_2) | instskip(NEXT) | instid1(VALU_DEP_1)
	v_ashrrev_i32_e32 v1, 31, v0
	v_lshlrev_b64 v[1:2], 1, v[0:1]
	s_delay_alu instid0(VALU_DEP_1) | instskip(NEXT) | instid1(VALU_DEP_2)
	v_add_co_u32 v1, vcc_lo, s10, v1
	v_add_co_ci_u32_e32 v2, vcc_lo, s11, v2, vcc_lo
	global_load_b32 v4, v[1:2], off
.LBB25_20:                              ; =>This Inner Loop Header: Depth=1
	s_waitcnt vmcnt(0)
	v_pk_add_f16 v3, v11, v4
	global_atomic_cmpswap_b32 v3, v[1:2], v[3:4], off glc
	s_waitcnt vmcnt(0)
	v_cmp_eq_u32_e32 vcc_lo, v4, v3
	v_mov_b32_e32 v4, v3
	s_or_b32 s0, vcc_lo, s0
	s_delay_alu instid0(SALU_CYCLE_1)
	s_and_not1_b32 exec_lo, exec_lo, s0
	s_cbranch_execnz .LBB25_20
; %bb.21:
	s_or_b32 exec_lo, exec_lo, s0
	global_load_b32 v4, v[1:2], off offset:4
	v_perm_b32 v9, v9, v10, 0x5040100
	s_mov_b32 s0, 0
.LBB25_22:                              ; =>This Inner Loop Header: Depth=1
	s_waitcnt vmcnt(0)
	s_delay_alu instid0(VALU_DEP_1)
	v_pk_add_f16 v3, v9, v4
	global_atomic_cmpswap_b32 v3, v[1:2], v[3:4], off offset:4 glc
	s_waitcnt vmcnt(0)
	v_cmp_eq_u32_e32 vcc_lo, v4, v3
	v_mov_b32_e32 v4, v3
	s_or_b32 s0, vcc_lo, s0
	s_delay_alu instid0(SALU_CYCLE_1)
	s_and_not1_b32 exec_lo, exec_lo, s0
	s_cbranch_execnz .LBB25_22
; %bb.23:
	s_or_b32 exec_lo, exec_lo, s0
	v_add_nc_u32_e32 v0, s16, v0
	v_perm_b32 v4, v7, v8, 0x5040100
	s_mov_b32 s0, 0
	s_delay_alu instid0(VALU_DEP_2) | instskip(NEXT) | instid1(VALU_DEP_1)
	v_ashrrev_i32_e32 v1, 31, v0
	v_lshlrev_b64 v[0:1], 1, v[0:1]
	s_delay_alu instid0(VALU_DEP_1) | instskip(NEXT) | instid1(VALU_DEP_2)
	v_add_co_u32 v0, vcc_lo, s10, v0
	v_add_co_ci_u32_e32 v1, vcc_lo, s11, v1, vcc_lo
	global_load_b32 v3, v[0:1], off
.LBB25_24:                              ; =>This Inner Loop Header: Depth=1
	s_waitcnt vmcnt(0)
	v_pk_add_f16 v2, v4, v3
	global_atomic_cmpswap_b32 v2, v[0:1], v[2:3], off glc
	s_waitcnt vmcnt(0)
	v_cmp_eq_u32_e32 vcc_lo, v3, v2
	v_mov_b32_e32 v3, v2
	s_or_b32 s0, vcc_lo, s0
	s_delay_alu instid0(SALU_CYCLE_1)
	s_and_not1_b32 exec_lo, exec_lo, s0
	s_cbranch_execnz .LBB25_24
; %bb.25:
	s_or_b32 exec_lo, exec_lo, s0
	global_load_b32 v3, v[0:1], off offset:4
	v_perm_b32 v4, v5, v6, 0x5040100
	s_mov_b32 s0, 0
.LBB25_26:                              ; =>This Inner Loop Header: Depth=1
	s_waitcnt vmcnt(0)
	s_delay_alu instid0(VALU_DEP_1)
	v_pk_add_f16 v2, v4, v3
	global_atomic_cmpswap_b32 v2, v[0:1], v[2:3], off offset:4 glc
	s_waitcnt vmcnt(0)
	v_cmp_eq_u32_e32 vcc_lo, v3, v2
	v_mov_b32_e32 v3, v2
	s_or_b32 s0, vcc_lo, s0
	s_delay_alu instid0(SALU_CYCLE_1)
	s_and_not1_b32 exec_lo, exec_lo, s0
	s_cbranch_execnz .LBB25_26
.LBB25_27:
	s_endpgm
	.section	.rodata,"a",@progbits
	.p2align	6, 0x0
	.amdhsa_kernel _ZN4vllm4gptq33gemm_half_q_half_gptq_4bit_kernelILb1ELi3EEEvPK6__halfPKjS6_S4_PS2_iiiibPKi
		.amdhsa_group_segment_fixed_size 768
		.amdhsa_private_segment_fixed_size 0
		.amdhsa_kernarg_size 72
		.amdhsa_user_sgpr_count 13
		.amdhsa_user_sgpr_dispatch_ptr 0
		.amdhsa_user_sgpr_queue_ptr 0
		.amdhsa_user_sgpr_kernarg_segment_ptr 1
		.amdhsa_user_sgpr_dispatch_id 0
		.amdhsa_user_sgpr_private_segment_size 0
		.amdhsa_wavefront_size32 1
		.amdhsa_uses_dynamic_stack 0
		.amdhsa_enable_private_segment 0
		.amdhsa_system_sgpr_workgroup_id_x 1
		.amdhsa_system_sgpr_workgroup_id_y 1
		.amdhsa_system_sgpr_workgroup_id_z 1
		.amdhsa_system_sgpr_workgroup_info 0
		.amdhsa_system_vgpr_workitem_id 0
		.amdhsa_next_free_vgpr 55
		.amdhsa_next_free_sgpr 24
		.amdhsa_reserve_vcc 1
		.amdhsa_float_round_mode_32 0
		.amdhsa_float_round_mode_16_64 0
		.amdhsa_float_denorm_mode_32 3
		.amdhsa_float_denorm_mode_16_64 3
		.amdhsa_dx10_clamp 1
		.amdhsa_ieee_mode 1
		.amdhsa_fp16_overflow 0
		.amdhsa_workgroup_processor_mode 1
		.amdhsa_memory_ordered 1
		.amdhsa_forward_progress 0
		.amdhsa_shared_vgpr_count 0
		.amdhsa_exception_fp_ieee_invalid_op 0
		.amdhsa_exception_fp_denorm_src 0
		.amdhsa_exception_fp_ieee_div_zero 0
		.amdhsa_exception_fp_ieee_overflow 0
		.amdhsa_exception_fp_ieee_underflow 0
		.amdhsa_exception_fp_ieee_inexact 0
		.amdhsa_exception_int_div_zero 0
	.end_amdhsa_kernel
	.section	.text._ZN4vllm4gptq33gemm_half_q_half_gptq_4bit_kernelILb1ELi3EEEvPK6__halfPKjS6_S4_PS2_iiiibPKi,"axG",@progbits,_ZN4vllm4gptq33gemm_half_q_half_gptq_4bit_kernelILb1ELi3EEEvPK6__halfPKjS6_S4_PS2_iiiibPKi,comdat
.Lfunc_end25:
	.size	_ZN4vllm4gptq33gemm_half_q_half_gptq_4bit_kernelILb1ELi3EEEvPK6__halfPKjS6_S4_PS2_iiiibPKi, .Lfunc_end25-_ZN4vllm4gptq33gemm_half_q_half_gptq_4bit_kernelILb1ELi3EEEvPK6__halfPKjS6_S4_PS2_iiiibPKi
                                        ; -- End function
	.section	.AMDGPU.csdata,"",@progbits
; Kernel info:
; codeLenInByte = 7520
; NumSgprs: 26
; NumVgprs: 55
; ScratchSize: 0
; MemoryBound: 0
; FloatMode: 240
; IeeeMode: 1
; LDSByteSize: 768 bytes/workgroup (compile time only)
; SGPRBlocks: 3
; VGPRBlocks: 6
; NumSGPRsForWavesPerEU: 26
; NumVGPRsForWavesPerEU: 55
; Occupancy: 16
; WaveLimiterHint : 0
; COMPUTE_PGM_RSRC2:SCRATCH_EN: 0
; COMPUTE_PGM_RSRC2:USER_SGPR: 13
; COMPUTE_PGM_RSRC2:TRAP_HANDLER: 0
; COMPUTE_PGM_RSRC2:TGID_X_EN: 1
; COMPUTE_PGM_RSRC2:TGID_Y_EN: 1
; COMPUTE_PGM_RSRC2:TGID_Z_EN: 1
; COMPUTE_PGM_RSRC2:TIDIG_COMP_CNT: 0
	.section	.text._ZN4vllm4gptq33gemm_half_q_half_gptq_8bit_kernelILb1ELi3EEEvPK6__halfPKjS6_S4_PS2_iiiibPKi,"axG",@progbits,_ZN4vllm4gptq33gemm_half_q_half_gptq_8bit_kernelILb1ELi3EEEvPK6__halfPKjS6_S4_PS2_iiiibPKi,comdat
	.protected	_ZN4vllm4gptq33gemm_half_q_half_gptq_8bit_kernelILb1ELi3EEEvPK6__halfPKjS6_S4_PS2_iiiibPKi ; -- Begin function _ZN4vllm4gptq33gemm_half_q_half_gptq_8bit_kernelILb1ELi3EEEvPK6__halfPKjS6_S4_PS2_iiiibPKi
	.globl	_ZN4vllm4gptq33gemm_half_q_half_gptq_8bit_kernelILb1ELi3EEEvPK6__halfPKjS6_S4_PS2_iiiibPKi
	.p2align	8
	.type	_ZN4vllm4gptq33gemm_half_q_half_gptq_8bit_kernelILb1ELi3EEEvPK6__halfPKjS6_S4_PS2_iiiibPKi,@function
_ZN4vllm4gptq33gemm_half_q_half_gptq_8bit_kernelILb1ELi3EEEvPK6__halfPKjS6_S4_PS2_iiiibPKi: ; @_ZN4vllm4gptq33gemm_half_q_half_gptq_8bit_kernelILb1ELi3EEEvPK6__halfPKjS6_S4_PS2_iiiibPKi
; %bb.0:
	s_load_b128 s[16:19], s[0:1], 0x2c
	s_lshl_b32 s15, s15, 7
	s_load_b256 s[4:11], s[0:1], 0x8
	s_add_i32 s2, s15, 0x80
	s_mul_i32 s12, s14, 3
	v_cvt_f64_u32_e32 v[1:2], s2
	s_mov_b32 s14, exec_lo
	s_waitcnt lgkmcnt(0)
	v_cvt_f64_i32_e32 v[3:4], s17
	s_delay_alu instid0(VALU_DEP_1) | instskip(NEXT) | instid1(VALU_DEP_1)
	v_min_f64 v[1:2], v[1:2], v[3:4]
	v_cvt_i32_f64_e32 v2, v[1:2]
	v_add_nc_u32_e32 v1, s15, v0
	s_delay_alu instid0(VALU_DEP_2) | instskip(NEXT) | instid1(VALU_DEP_2)
	v_readfirstlane_b32 s20, v2
	v_cmpx_lt_u32_e64 v1, v2
	s_cbranch_execz .LBB26_8
; %bb.1:
	s_clause 0x1
	s_load_b64 s[2:3], s[0:1], 0x40
	s_load_b64 s[0:1], s[0:1], 0x0
	v_mov_b32_e32 v2, 0
	s_delay_alu instid0(VALU_DEP_1) | instskip(SKIP_2) | instid1(VALU_DEP_2)
	v_lshlrev_b64 v[3:4], 2, v[1:2]
	v_dual_mov_b32 v6, v2 :: v_dual_mov_b32 v5, v1
	s_waitcnt lgkmcnt(0)
	v_add_co_u32 v3, vcc_lo, s2, v3
	s_delay_alu instid0(VALU_DEP_3)
	v_add_co_ci_u32_e32 v4, vcc_lo, s3, v4, vcc_lo
	s_cmp_lg_u64 s[2:3], 0
	s_cselect_b32 s21, -1, 0
	s_cmp_eq_u64 s[2:3], 0
	s_cbranch_scc1 .LBB26_3
; %bb.2:
	global_load_b32 v5, v[3:4], off
	s_waitcnt vmcnt(0)
	v_ashrrev_i32_e32 v6, 31, v5
.LBB26_3:
	s_mul_i32 s2, s12, s17
	s_delay_alu instid0(VALU_DEP_1)
	v_lshlrev_b64 v[5:6], 1, v[5:6]
	s_ashr_i32 s3, s2, 31
	v_lshlrev_b32_e32 v7, 1, v0
	s_lshl_b64 s[22:23], s[2:3], 1
	v_cndmask_b32_e64 v8, 0, 1, s21
	s_add_u32 s3, s0, s22
	s_addc_u32 s22, s1, s23
	v_add_co_u32 v5, vcc_lo, s3, v5
	v_add_co_ci_u32_e32 v6, vcc_lo, s22, v6, vcc_lo
	s_and_not1_b32 vcc_lo, exec_lo, s21
	global_load_u16 v9, v[5:6], off
	v_dual_mov_b32 v6, v2 :: v_dual_mov_b32 v5, v1
	s_waitcnt vmcnt(0)
	ds_store_b16 v7, v9
	s_cbranch_vccnz .LBB26_5
; %bb.4:
	global_load_b32 v5, v[3:4], off
	s_waitcnt vmcnt(0)
	v_ashrrev_i32_e32 v6, 31, v5
.LBB26_5:
	s_add_i32 s2, s2, s17
	s_delay_alu instid0(VALU_DEP_1) | instskip(SKIP_1) | instid1(SALU_CYCLE_1)
	v_lshlrev_b64 v[5:6], 1, v[5:6]
	s_ashr_i32 s3, s2, 31
	s_lshl_b64 s[22:23], s[2:3], 1
	s_delay_alu instid0(SALU_CYCLE_1) | instskip(SKIP_1) | instid1(VALU_DEP_1)
	s_add_u32 s3, s0, s22
	s_addc_u32 s21, s1, s23
	v_add_co_u32 v5, vcc_lo, s3, v5
	v_add_co_ci_u32_e32 v6, vcc_lo, s21, v6, vcc_lo
	v_cmp_ne_u32_e32 vcc_lo, 1, v8
	global_load_u16 v5, v[5:6], off
	s_waitcnt vmcnt(0)
	ds_store_b16 v7, v5 offset:256
	s_cbranch_vccnz .LBB26_7
; %bb.6:
	global_load_b32 v1, v[3:4], off
	s_waitcnt vmcnt(0)
	v_ashrrev_i32_e32 v2, 31, v1
.LBB26_7:
	s_add_i32 s2, s2, s17
	s_delay_alu instid0(VALU_DEP_1) | instskip(SKIP_1) | instid1(SALU_CYCLE_1)
	v_lshlrev_b64 v[1:2], 1, v[1:2]
	s_ashr_i32 s3, s2, 31
	s_lshl_b64 s[2:3], s[2:3], 1
	s_delay_alu instid0(SALU_CYCLE_1) | instskip(SKIP_1) | instid1(VALU_DEP_1)
	s_add_u32 s0, s0, s2
	s_addc_u32 s1, s1, s3
	v_add_co_u32 v1, vcc_lo, s0, v1
	v_add_co_ci_u32_e32 v2, vcc_lo, s1, v2, vcc_lo
	global_load_u16 v1, v[1:2], off
	s_waitcnt vmcnt(0)
	ds_store_b16 v7, v1 offset:512
.LBB26_8:
	s_or_b32 exec_lo, exec_lo, s14
	v_lshlrev_b32_e32 v0, 2, v0
	s_mov_b32 s0, exec_lo
	s_delay_alu instid0(VALU_DEP_1) | instskip(NEXT) | instid1(VALU_DEP_1)
	v_lshl_add_u32 v32, s13, 9, v0
	v_cmpx_gt_i32_e64 s16, v32
	s_cbranch_execz .LBB26_26
; %bb.9:
	s_abs_i32 s0, s18
	v_dual_mov_b32 v29, 0 :: v_dual_mov_b32 v30, 0
	v_cvt_f32_u32_e32 v0, s0
	v_dual_mov_b32 v31, 0 :: v_dual_mov_b32 v50, 0
	v_dual_mov_b32 v26, 0 :: v_dual_mov_b32 v51, 0
	s_delay_alu instid0(VALU_DEP_3)
	v_rcp_iflag_f32_e32 v0, v0
	v_dual_mov_b32 v27, 0 :: v_dual_mov_b32 v28, 0
	v_dual_mov_b32 v55, 0 :: v_dual_mov_b32 v54, 0
	;; [unrolled: 1-line block ×3, first 2 shown]
	s_cmp_ge_i32 s15, s20
	s_mov_b32 s13, 0
	s_waitcnt lgkmcnt(0)
	s_waitcnt_depctr 0xfff
	v_mul_f32_e32 v0, 0x4f7ffffe, v0
	s_barrier
	buffer_gl0_inv
	v_cvt_u32_f32_e32 v0, v0
	s_delay_alu instid0(VALU_DEP_1)
	v_readfirstlane_b32 s1, v0
	s_cbranch_scc1 .LBB26_14
; %bb.10:
	s_sub_i32 s2, 0, s0
	s_abs_i32 s3, s17
	s_delay_alu instid0(VALU_DEP_1)
	s_mul_i32 s2, s2, s1
	s_ashr_i32 s14, s18, 31
	s_mul_hi_u32 s2, s1, s2
	v_ashrrev_i32_e32 v38, 2, v32
	s_add_i32 s1, s1, s2
	s_ashr_i32 s2, s17, 31
	s_mul_hi_u32 s1, s3, s1
	s_xor_b32 s2, s2, s14
	s_mul_i32 s17, s1, s0
	s_add_i32 s14, s1, 1
	s_sub_i32 s3, s3, s17
	v_ashrrev_i32_e32 v33, 31, v32
	s_sub_i32 s17, s3, s0
	s_cmp_ge_u32 s3, s0
	v_dual_mov_b32 v52, 0 :: v_dual_mov_b32 v31, 0
	s_cselect_b32 s1, s14, s1
	s_cselect_b32 s3, s17, s3
	s_add_i32 s14, s1, 1
	s_cmp_ge_u32 s3, s0
	v_dual_mov_b32 v54, 0 :: v_dual_mov_b32 v27, 0
	s_cselect_b32 s0, s14, s1
	v_dual_mov_b32 v28, 0 :: v_dual_mov_b32 v29, 0
	s_xor_b32 s0, s0, s2
	v_mov_b32_e32 v26, 0
	s_sub_i32 s14, s0, s2
	s_bitcmp1_b32 s19, 0
	v_cvt_f32_u32_e32 v0, s14
	s_cselect_b32 s1, -1, 0
	s_sub_i32 s2, 0, s14
	s_xor_b32 s3, s1, -1
	v_mov_b32_e32 v50, 0
	v_rcp_iflag_f32_e32 v0, v0
	v_dual_mov_b32 v30, 0 :: v_dual_mov_b32 v53, 0
	v_mov_b32_e32 v55, 0
	s_waitcnt_depctr 0xfff
	v_dual_mov_b32 v51, 0 :: v_dual_mul_f32 v0, 0x4f7ffffe, v0
	s_delay_alu instid0(VALU_DEP_1) | instskip(NEXT) | instid1(VALU_DEP_1)
	v_cvt_u32_f32_e32 v0, v0
	v_readfirstlane_b32 s0, v0
	s_delay_alu instid0(VALU_DEP_1) | instskip(NEXT) | instid1(SALU_CYCLE_1)
	s_mul_i32 s2, s2, s0
	s_mul_hi_u32 s2, s0, s2
	s_delay_alu instid0(SALU_CYCLE_1) | instskip(NEXT) | instid1(SALU_CYCLE_1)
	s_add_i32 s0, s0, s2
	s_mul_hi_u32 s0, s15, s0
	s_delay_alu instid0(SALU_CYCLE_1) | instskip(NEXT) | instid1(SALU_CYCLE_1)
	s_mul_i32 s2, s0, s14
	s_sub_i32 s1, s15, s2
	s_add_i32 s2, s0, 1
	s_sub_i32 s17, s1, s14
	s_cmp_ge_u32 s1, s14
	s_cselect_b32 s0, s2, s0
	s_cselect_b32 s1, s17, s1
	s_add_i32 s2, s0, 1
	s_cmp_ge_u32 s1, s14
	s_cselect_b32 s18, s2, s0
	s_delay_alu instid0(SALU_CYCLE_1) | instskip(NEXT) | instid1(SALU_CYCLE_1)
	s_mul_i32 s0, s18, s16
	s_ashr_i32 s1, s0, 31
	v_add_nc_u32_e32 v0, s0, v32
	s_lshr_b32 s1, s1, 30
	s_delay_alu instid0(SALU_CYCLE_1) | instskip(NEXT) | instid1(SALU_CYCLE_1)
	s_add_i32 s0, s0, s1
	s_ashr_i32 s0, s0, 2
	s_delay_alu instid0(VALU_DEP_1) | instskip(SKIP_2) | instid1(SALU_CYCLE_1)
	v_ashrrev_i32_e32 v1, 31, v0
	v_add_nc_u32_e32 v2, s0, v38
	s_lshr_b32 s0, s15, 2
	s_mul_i32 s0, s0, s16
	s_delay_alu instid0(VALU_DEP_2) | instskip(NEXT) | instid1(VALU_DEP_2)
	v_lshlrev_b64 v[0:1], 1, v[0:1]
	v_ashrrev_i32_e32 v3, 31, v2
	s_ashr_i32 s1, s0, 31
	s_delay_alu instid0(SALU_CYCLE_1) | instskip(NEXT) | instid1(VALU_DEP_1)
	s_lshl_b64 s[0:1], s[0:1], 2
	v_lshlrev_b64 v[2:3], 2, v[2:3]
	s_delay_alu instid0(VALU_DEP_3) | instskip(SKIP_2) | instid1(VALU_DEP_3)
	v_add_co_u32 v0, vcc_lo, s8, v0
	v_add_co_ci_u32_e32 v1, vcc_lo, s9, v1, vcc_lo
	s_add_u32 s0, s4, s0
	v_add_co_u32 v2, vcc_lo, s6, v2
	s_delay_alu instid0(VALU_DEP_4)
	v_add_co_ci_u32_e32 v3, vcc_lo, s7, v3, vcc_lo
	global_load_b64 v[34:35], v[0:1], off
	global_load_b32 v2, v[2:3], off
	v_lshlrev_b64 v[0:1], 2, v[32:33]
	s_addc_u32 s1, s5, s1
	v_cndmask_b32_e64 v33, 0, 1, s3
	s_ashr_i32 s17, s16, 31
	s_add_i32 s4, s14, s15
	s_lshl_b64 s[2:3], s[16:17], 2
	v_add_co_u32 v36, vcc_lo, s0, v0
	v_add_co_ci_u32_e32 v37, vcc_lo, s1, v1, vcc_lo
	s_lshl_b64 s[0:1], s[16:17], 5
	s_waitcnt vmcnt(1)
	v_lshrrev_b32_e32 v42, 16, v35
	v_lshrrev_b32_e32 v39, 16, v34
	s_waitcnt vmcnt(0)
	v_and_b32_e32 v40, 0xff, v2
	v_bfe_u32 v41, v2, 8, 8
	v_bfe_u32 v43, v2, 16, 8
	v_lshrrev_b32_e32 v44, 24, v2
	s_branch .LBB26_12
.LBB26_11:                              ;   in Loop: Header=BB26_12 Depth=1
	v_add_co_u32 v4, vcc_lo, v36, s2
	global_load_b128 v[16:19], v[36:37], off
	v_add_co_ci_u32_e32 v5, vcc_lo, s3, v37, vcc_lo
	v_dual_mov_b32 v49, s13 :: v_dual_add_nc_u32 v48, v40, v33
	v_add_nc_u32_e32 v47, v41, v33
	global_load_b128 v[8:11], v[4:5], off
	v_add_nc_u32_e32 v46, v43, v33
	v_add_nc_u32_e32 v45, v44, v33
	ds_load_b128 v[12:15], v49
	ds_load_b128 v[0:3], v49 offset:16
	v_add_co_u32 v24, vcc_lo, v4, s2
	v_add_co_ci_u32_e32 v25, vcc_lo, s3, v5, vcc_lo
	ds_load_b128 v[20:23], v49 offset:256
	ds_load_b128 v[4:7], v49 offset:272
	s_add_i32 s15, s15, 32
	s_add_i32 s13, s13, 64
	s_cmp_ge_i32 s15, s20
	s_waitcnt vmcnt(1)
	v_and_b32_e32 v56, 0xff, v16
	v_bfe_u32 v57, v16, 8, 8
	v_bfe_u32 v58, v16, 16, 8
	v_lshrrev_b32_e32 v16, 24, v16
	v_and_b32_e32 v59, 0xff, v17
	v_bfe_u32 v60, v17, 8, 8
	v_bfe_u32 v61, v17, 16, 8
	v_lshrrev_b32_e32 v17, 24, v17
	v_and_b32_e32 v62, 0xff, v18
	v_and_b32_e32 v65, 0xff, v19
	v_bfe_u32 v63, v18, 8, 8
	v_bfe_u32 v66, v19, 8, 8
	v_sub_nc_u32_e32 v56, v56, v48
	v_sub_nc_u32_e32 v16, v16, v48
	s_waitcnt vmcnt(0)
	v_and_b32_e32 v68, 0xff, v8
	v_bfe_u32 v69, v8, 8, 8
	v_bfe_u32 v70, v8, 16, 8
	v_lshrrev_b32_e32 v8, 24, v8
	v_sub_nc_u32_e32 v59, v59, v47
	v_sub_nc_u32_e32 v17, v17, v47
	v_and_b32_e32 v71, 0xff, v9
	v_bfe_u32 v72, v9, 8, 8
	v_bfe_u32 v73, v9, 16, 8
	v_lshrrev_b32_e32 v9, 24, v9
	v_sub_nc_u32_e32 v62, v62, v46
	v_sub_nc_u32_e32 v65, v65, v45
	v_bfe_u32 v64, v18, 16, 8
	v_bfe_u32 v67, v19, 16, 8
	v_sub_nc_u32_e32 v57, v57, v48
	v_sub_nc_u32_e32 v58, v58, v48
	;; [unrolled: 1-line block ×4, first 2 shown]
	v_and_b32_e32 v74, 0xff, v10
	v_bfe_u32 v75, v10, 8, 8
	v_bfe_u32 v76, v10, 16, 8
	v_lshrrev_b32_e32 v10, 24, v10
	v_sub_nc_u32_e32 v66, v66, v45
	v_cvt_f32_i32_e32 v56, v56
	v_cvt_f32_i32_e32 v16, v16
	v_sub_nc_u32_e32 v68, v68, v48
	v_sub_nc_u32_e32 v69, v69, v48
	;; [unrolled: 1-line block ×3, first 2 shown]
	v_cvt_f32_i32_e32 v59, v59
	v_cvt_f32_i32_e32 v17, v17
	v_sub_nc_u32_e32 v71, v71, v47
	v_sub_nc_u32_e32 v9, v9, v47
	v_cvt_f32_i32_e32 v62, v62
	v_cvt_f32_i32_e32 v65, v65
	v_lshrrev_b32_e32 v18, 24, v18
	v_lshrrev_b32_e32 v19, 24, v19
	v_sub_nc_u32_e32 v64, v64, v46
	v_sub_nc_u32_e32 v67, v67, v45
	v_cvt_f32_i32_e32 v57, v57
	v_cvt_f32_i32_e32 v58, v58
	;; [unrolled: 1-line block ×3, first 2 shown]
	v_sub_nc_u32_e32 v72, v72, v47
	v_cvt_f32_i32_e32 v63, v63
	v_sub_nc_u32_e32 v76, v76, v46
	v_sub_nc_u32_e32 v10, v10, v46
	v_cvt_f32_i32_e32 v66, v66
	v_cvt_f16_f32_e32 v81, v56
	v_cvt_f16_f32_e32 v85, v16
	v_cvt_f32_i32_e32 v16, v68
	v_cvt_f32_i32_e32 v56, v69
	;; [unrolled: 1-line block ×3, first 2 shown]
	v_cvt_f16_f32_e32 v68, v59
	v_cvt_f16_f32_e32 v69, v17
	v_cvt_f32_i32_e32 v17, v71
	v_cvt_f32_i32_e32 v9, v9
	v_cvt_f16_f32_e32 v62, v62
	v_cvt_f16_f32_e32 v65, v65
	v_sub_nc_u32_e32 v61, v61, v47
	v_sub_nc_u32_e32 v18, v18, v46
	;; [unrolled: 1-line block ×3, first 2 shown]
	v_and_b32_e32 v77, 0xff, v11
	v_cvt_f32_i32_e32 v64, v64
	v_cvt_f32_i32_e32 v67, v67
	v_cvt_f16_f32_e32 v82, v57
	v_cvt_f16_f32_e32 v83, v58
	;; [unrolled: 1-line block ×3, first 2 shown]
	v_cvt_f32_i32_e32 v58, v72
	v_cvt_f16_f32_e32 v63, v63
	v_cvt_f32_i32_e32 v72, v76
	v_cvt_f32_i32_e32 v10, v10
	v_cvt_f16_f32_e32 v66, v66
	v_cvt_f16_f32_e32 v76, v16
	;; [unrolled: 1-line block ×5, first 2 shown]
	s_waitcnt lgkmcnt(3)
	v_fma_mix_f32 v8, v81, v12, 0 op_sel_hi:[1,1,0]
	v_fma_mix_f32 v9, v68, v12, 0 op_sel_hi:[1,1,0]
	;; [unrolled: 1-line block ×4, first 2 shown]
	v_bfe_u32 v78, v11, 8, 8
	v_sub_nc_u32_e32 v70, v70, v48
	v_cvt_f32_i32_e32 v61, v61
	v_sub_nc_u32_e32 v73, v73, v47
	v_cvt_f32_i32_e32 v18, v18
	;; [unrolled: 2-line block ×3, first 2 shown]
	v_sub_nc_u32_e32 v77, v77, v45
	v_cvt_f16_f32_e32 v64, v64
	v_cvt_f16_f32_e32 v67, v67
	v_fma_mix_f32 v8, v82, v12, v8 op_sel:[0,1,0] op_sel_hi:[1,1,0]
	v_cvt_f16_f32_e32 v94, v10
	v_fma_mix_f32 v9, v60, v12, v9 op_sel:[0,1,0] op_sel_hi:[1,1,0]
	v_fma_mix_f32 v10, v63, v12, v16 op_sel:[0,1,0] op_sel_hi:[1,1,0]
	;; [unrolled: 1-line block ×3, first 2 shown]
	v_bfe_u32 v79, v11, 16, 8
	v_sub_nc_u32_e32 v75, v75, v46
	v_sub_nc_u32_e32 v78, v78, v45
	v_cvt_f32_i32_e32 v57, v70
	v_cvt_f16_f32_e32 v61, v61
	v_cvt_f32_i32_e32 v59, v73
	v_cvt_f16_f32_e32 v70, v18
	;; [unrolled: 2-line block ×3, first 2 shown]
	v_cvt_f32_i32_e32 v19, v77
	v_fma_mix_f32 v10, v64, v13, v10 op_sel_hi:[1,1,0]
	v_fma_mix_f32 v12, v67, v13, v12 op_sel_hi:[1,1,0]
	v_fma_mix_f32 v8, v83, v13, v8 op_sel_hi:[1,1,0]
	v_lshrrev_b32_e32 v11, 24, v11
	v_sub_nc_u32_e32 v79, v79, v45
	v_cvt_f32_i32_e32 v71, v75
	v_cvt_f32_i32_e32 v74, v78
	v_cvt_f16_f32_e32 v86, v56
	v_cvt_f16_f32_e32 v87, v57
	;; [unrolled: 1-line block ×6, first 2 shown]
	v_fma_mix_f32 v9, v61, v13, v9 op_sel_hi:[1,1,0]
	v_fma_mix_f32 v10, v70, v13, v10 op_sel:[0,1,0] op_sel_hi:[1,1,0]
	v_fma_mix_f32 v12, v73, v13, v12 op_sel:[0,1,0] op_sel_hi:[1,1,0]
	ds_load_b128 v[56:59], v49 offset:512
	ds_load_b128 v[16:19], v49 offset:528
	v_fma_mix_f32 v8, v85, v13, v8 op_sel:[0,1,0] op_sel_hi:[1,1,0]
	v_sub_nc_u32_e32 v11, v11, v45
	v_cvt_f32_i32_e32 v75, v79
	v_cvt_f16_f32_e32 v71, v71
	v_cvt_f16_f32_e32 v74, v74
	v_fma_mix_f32 v9, v69, v13, v9 op_sel:[0,1,0] op_sel_hi:[1,1,0]
	v_fma_mix_f32 v10, v93, v14, v10 op_sel_hi:[1,1,0]
	v_fma_mix_f32 v12, v95, v14, v12 op_sel_hi:[1,1,0]
	;; [unrolled: 1-line block ×3, first 2 shown]
	v_cvt_f32_i32_e32 v11, v11
	v_cvt_f16_f32_e32 v72, v72
	v_cvt_f16_f32_e32 v75, v75
	v_fma_mix_f32 v9, v89, v14, v9 op_sel_hi:[1,1,0]
	v_fma_mix_f32 v10, v71, v14, v10 op_sel:[0,1,0] op_sel_hi:[1,1,0]
	v_fma_mix_f32 v12, v74, v14, v12 op_sel:[0,1,0] op_sel_hi:[1,1,0]
	v_fma_mix_f32 v8, v86, v14, v8 op_sel:[0,1,0] op_sel_hi:[1,1,0]
	v_cvt_f16_f32_e32 v96, v11
	v_fma_mix_f32 v9, v90, v14, v9 op_sel:[0,1,0] op_sel_hi:[1,1,0]
	v_fma_mix_f32 v10, v72, v15, v10 op_sel_hi:[1,1,0]
	v_fma_mix_f32 v11, v75, v15, v12 op_sel_hi:[1,1,0]
	;; [unrolled: 1-line block ×3, first 2 shown]
	global_load_b128 v[77:80], v[24:25], off
	v_fma_mix_f32 v9, v91, v15, v9 op_sel_hi:[1,1,0]
	v_fma_mix_f32 v99, v94, v15, v10 op_sel:[0,1,0] op_sel_hi:[1,1,0]
	v_fma_mix_f32 v100, v96, v15, v11 op_sel:[0,1,0] op_sel_hi:[1,1,0]
	s_waitcnt lgkmcnt(3)
	v_fma_mix_f32 v10, v81, v20, 0 op_sel_hi:[1,1,0]
	s_waitcnt lgkmcnt(1)
	v_fma_mix_f32 v11, v81, v56, 0 op_sel_hi:[1,1,0]
	v_fma_mix_f32 v97, v88, v15, v8 op_sel:[0,1,0] op_sel_hi:[1,1,0]
	v_add_co_u32 v8, vcc_lo, v24, s2
	v_fma_mix_f32 v98, v92, v15, v9 op_sel:[0,1,0] op_sel_hi:[1,1,0]
	v_add_co_ci_u32_e32 v9, vcc_lo, s3, v25, vcc_lo
	v_fma_mix_f32 v14, v82, v20, v10 op_sel:[0,1,0] op_sel_hi:[1,1,0]
	v_fma_mix_f32 v15, v82, v56, v11 op_sel:[0,1,0] op_sel_hi:[1,1,0]
	v_fma_mix_f32 v12, v68, v20, 0 op_sel_hi:[1,1,0]
	v_fma_mix_f32 v13, v68, v56, 0 op_sel_hi:[1,1,0]
	;; [unrolled: 1-line block ×5, first 2 shown]
	global_load_b128 v[81:84], v[8:9], off
	v_fma_mix_f32 v11, v65, v20, 0 op_sel_hi:[1,1,0]
	v_fma_mix_f32 v12, v60, v20, v12 op_sel:[0,1,0] op_sel_hi:[1,1,0]
	v_fma_mix_f32 v13, v60, v56, v13 op_sel:[0,1,0] op_sel_hi:[1,1,0]
	;; [unrolled: 1-line block ×3, first 2 shown]
	v_add_co_u32 v10, vcc_lo, v8, s2
	v_fma_mix_f32 v20, v66, v20, v11 op_sel:[0,1,0] op_sel_hi:[1,1,0]
	v_fma_mix_f32 v24, v62, v56, 0 op_sel_hi:[1,1,0]
	v_add_co_ci_u32_e32 v11, vcc_lo, s3, v9, vcc_lo
	v_fma_mix_f32 v12, v61, v21, v12 op_sel_hi:[1,1,0]
	v_fma_mix_f32 v8, v64, v21, v60 op_sel_hi:[1,1,0]
	;; [unrolled: 1-line block ×4, first 2 shown]
	v_fma_mix_f32 v24, v63, v56, v24 op_sel:[0,1,0] op_sel_hi:[1,1,0]
	v_fma_mix_f32 v13, v61, v57, v13 op_sel_hi:[1,1,0]
	v_fma_mix_f32 v14, v85, v21, v14 op_sel:[0,1,0] op_sel_hi:[1,1,0]
	v_fma_mix_f32 v60, v69, v21, v12 op_sel:[0,1,0] op_sel_hi:[1,1,0]
	;; [unrolled: 1-line block ×5, first 2 shown]
	v_fma_mix_f32 v20, v64, v57, v24 op_sel_hi:[1,1,0]
	v_add_co_u32 v24, vcc_lo, v10, s2
	v_fma_mix_f32 v21, v85, v57, v15 op_sel:[0,1,0] op_sel_hi:[1,1,0]
	v_fma_mix_f32 v61, v69, v57, v13 op_sel:[0,1,0] op_sel_hi:[1,1,0]
	v_fma_mix_f32 v62, v76, v22, v14 op_sel_hi:[1,1,0]
	global_load_b128 v[12:15], v[10:11], off
	v_fma_mix_f32 v10, v89, v22, v60 op_sel_hi:[1,1,0]
	v_fma_mix_f32 v8, v93, v22, v8 op_sel_hi:[1,1,0]
	v_fma_mix_f32 v9, v95, v22, v9 op_sel_hi:[1,1,0]
	v_fma_mix_f32 v56, v67, v57, v25 op_sel_hi:[1,1,0]
	v_add_co_ci_u32_e32 v25, vcc_lo, s3, v11, vcc_lo
	v_fma_mix_f32 v11, v86, v22, v62 op_sel:[0,1,0] op_sel_hi:[1,1,0]
	v_fma_mix_f32 v10, v90, v22, v10 op_sel:[0,1,0] op_sel_hi:[1,1,0]
	;; [unrolled: 1-line block ×5, first 2 shown]
	v_fma_mix_f32 v11, v87, v23, v11 op_sel_hi:[1,1,0]
	v_fma_mix_f32 v10, v91, v23, v10 op_sel_hi:[1,1,0]
	;; [unrolled: 1-line block ×4, first 2 shown]
	v_fma_mix_f32 v56, v73, v57, v56 op_sel:[0,1,0] op_sel_hi:[1,1,0]
	v_fma_mix_f32 v22, v88, v23, v11 op_sel:[0,1,0] op_sel_hi:[1,1,0]
	;; [unrolled: 1-line block ×5, first 2 shown]
	global_load_b128 v[8:11], v[24:25], off
	v_fma_mix_f32 v20, v93, v58, v20 op_sel_hi:[1,1,0]
	v_fma_mix_f32 v21, v76, v58, v21 op_sel_hi:[1,1,0]
	v_fma_mix_f32 v61, v89, v58, v61 op_sel_hi:[1,1,0]
	v_fma_mix_f32 v56, v95, v58, v56 op_sel_hi:[1,1,0]
	v_fma_mixlo_f16 v22, v22, v34, 0 op_sel_hi:[0,1,0]
	v_fma_mix_f32 v20, v71, v58, v20 op_sel:[0,1,0] op_sel_hi:[1,1,0]
	v_fma_mix_f32 v21, v86, v58, v21 op_sel:[0,1,0] op_sel_hi:[1,1,0]
	;; [unrolled: 1-line block ×4, first 2 shown]
	v_fma_mixlo_f16 v23, v23, v42, 0 op_sel_hi:[0,1,0]
	v_fma_mix_f32 v20, v72, v59, v20 op_sel_hi:[1,1,0]
	v_fma_mix_f32 v21, v87, v59, v21 op_sel_hi:[1,1,0]
	;; [unrolled: 1-line block ×4, first 2 shown]
	s_delay_alu instid0(VALU_DEP_4) | instskip(SKIP_1) | instid1(VALU_DEP_4)
	v_fma_mix_f32 v86, v94, v59, v20 op_sel:[0,1,0] op_sel_hi:[1,1,0]
	v_fma_mixlo_f16 v20, v97, v34, 0 op_sel_hi:[0,1,0]
	v_fma_mix_f32 v85, v92, v59, v61 op_sel:[0,1,0] op_sel_hi:[1,1,0]
	s_waitcnt vmcnt(3)
	v_bfe_u32 v57, v77, 8, 8
	v_and_b32_e32 v62, 0xff, v77
	v_bfe_u32 v64, v77, 16, 8
	v_lshrrev_b32_e32 v65, 24, v77
	v_and_b32_e32 v66, 0xff, v78
	v_bfe_u32 v67, v78, 8, 8
	v_bfe_u32 v68, v78, 16, 8
	v_lshrrev_b32_e32 v69, 24, v78
	v_and_b32_e32 v70, 0xff, v79
	v_bfe_u32 v58, v79, 8, 8
	v_bfe_u32 v71, v79, 16, 8
	v_lshrrev_b32_e32 v73, 24, v79
	v_fma_mix_f32 v77, v88, v59, v21 op_sel:[0,1,0] op_sel_hi:[1,1,0]
	v_sub_nc_u32_e32 v57, v57, v48
	v_fma_mix_f32 v59, v96, v59, v56 op_sel:[0,1,0] op_sel_hi:[1,1,0]
	v_add_f16_e32 v88, v53, v20
	v_fma_mixlo_f16 v20, v98, v39, 0 op_sel_hi:[0,1,0]
	v_fma_mixlo_f16 v21, v99, v35, 0 op_sel_hi:[0,1,0]
	v_and_b32_e32 v72, 0xff, v80
	s_waitcnt vmcnt(2)
	v_and_b32_e32 v61, 0xff, v81
	v_bfe_u32 v76, v81, 8, 8
	v_bfe_u32 v56, v81, 16, 8
	v_lshrrev_b32_e32 v78, 24, v81
	v_and_b32_e32 v79, 0xff, v82
	v_bfe_u32 v81, v82, 8, 8
	v_bfe_u32 v87, v82, 16, 8
	v_lshrrev_b32_e32 v53, 24, v82
	v_fma_mixlo_f16 v82, v100, v42, 0 op_sel_hi:[0,1,0]
	v_bfe_u32 v74, v80, 8, 8
	v_bfe_u32 v75, v80, 16, 8
	v_sub_nc_u32_e32 v62, v62, v48
	v_sub_nc_u32_e32 v66, v66, v47
	;; [unrolled: 1-line block ×6, first 2 shown]
	v_add_f16_e32 v89, v52, v20
	v_and_b32_e32 v90, 0xff, v83
	v_add_f16_e32 v20, v55, v21
	v_bfe_u32 v55, v83, 8, 8
	v_add_f16_e32 v21, v54, v82
	v_bfe_u32 v54, v83, 16, 8
	v_cvt_f32_i32_e32 v57, v57
	v_sub_nc_u32_e32 v61, v61, v48
	v_sub_nc_u32_e32 v64, v64, v48
	;; [unrolled: 1-line block ×4, first 2 shown]
	v_add_f16_e32 v52, v51, v22
	v_lshrrev_b32_e32 v22, 24, v83
	v_sub_nc_u32_e32 v51, v72, v45
	v_sub_nc_u32_e32 v83, v74, v45
	v_sub_nc_u32_e32 v91, v75, v45
	v_cvt_f32_i32_e32 v62, v62
	v_sub_nc_u32_e32 v72, v76, v48
	v_sub_nc_u32_e32 v74, v78, v48
	v_cvt_f32_i32_e32 v66, v66
	v_cvt_f32_i32_e32 v68, v68
	v_sub_nc_u32_e32 v75, v79, v47
	v_sub_nc_u32_e32 v76, v81, v47
	;; [unrolled: 1-line block ×4, first 2 shown]
	v_cvt_f32_i32_e32 v70, v70
	v_cvt_f32_i32_e32 v81, v58
	;; [unrolled: 1-line block ×3, first 2 shown]
	v_sub_nc_u32_e32 v82, v90, v46
	v_sub_nc_u32_e32 v55, v55, v46
	;; [unrolled: 1-line block ×3, first 2 shown]
	v_cvt_f16_f32_e32 v58, v57
	v_cvt_f32_i32_e32 v57, v61
	v_cvt_f32_i32_e32 v64, v64
	v_cvt_f32_i32_e32 v65, v65
	v_cvt_f32_i32_e32 v73, v73
	v_sub_nc_u32_e32 v90, v22, v46
	v_cvt_f16_f32_e32 v22, v62
	v_cvt_f32_i32_e32 v62, v72
	v_cvt_f16_f32_e32 v72, v66
	v_cvt_f16_f32_e32 v61, v68
	v_cvt_f32_i32_e32 v66, v75
	v_cvt_f32_i32_e32 v68, v76
	v_cvt_f32_i32_e32 v76, v78
	v_cvt_f32_i32_e32 v93, v79
	v_cvt_f16_f32_e32 v79, v70
	v_cvt_f16_f32_e32 v75, v81
	;; [unrolled: 1-line block ×3, first 2 shown]
	v_cvt_f32_i32_e32 v71, v82
	v_cvt_f32_i32_e32 v55, v55
	;; [unrolled: 1-line block ×3, first 2 shown]
	v_cvt_f16_f32_e32 v82, v57
	v_fma_mixlo_f16 v57, v63, v35, 0 op_sel_hi:[0,1,0]
	v_sub_nc_u32_e32 v67, v67, v47
	v_cvt_f16_f32_e32 v53, v64
	v_cvt_f16_f32_e32 v64, v65
	;; [unrolled: 1-line block ×3, first 2 shown]
	v_cvt_f32_i32_e32 v87, v90
	v_cvt_f16_f32_e32 v78, v62
	v_cvt_f16_f32_e32 v73, v66
	;; [unrolled: 1-line block ×6, first 2 shown]
	v_fma_mixlo_f16 v55, v60, v39, 0 op_sel_hi:[0,1,0]
	v_fma_mixlo_f16 v60, v77, v34, 0 op_sel_hi:[0,1,0]
	;; [unrolled: 1-line block ×5, first 2 shown]
	v_add_f16_e32 v90, v26, v57
	v_add_f16_e32 v81, v50, v23
	v_lshrrev_b32_e32 v23, 24, v80
	v_cvt_f32_i32_e32 v26, v51
	v_cvt_f32_i32_e32 v67, v67
	v_add_f16_e32 v77, v31, v60
	v_add_f16_e32 v59, v27, v85
	;; [unrolled: 1-line block ×3, first 2 shown]
	v_cvt_f32_i32_e32 v27, v83
	v_cvt_f32_i32_e32 v29, v91
	v_sub_nc_u32_e32 v23, v23, v45
	v_cvt_f16_f32_e32 v83, v26
	v_fma_mix_f32 v26, v22, v0, 0 op_sel_hi:[1,1,0]
	v_sub_nc_u32_e32 v69, v69, v47
	v_cvt_f16_f32_e32 v67, v67
	v_cvt_f16_f32_e32 v85, v27
	;; [unrolled: 1-line block ×3, first 2 shown]
	v_cvt_f32_i32_e32 v23, v23
	v_and_b32_e32 v27, 0xff, v84
	v_fma_mix_f32 v26, v58, v0, v26 op_sel:[0,1,0] op_sel_hi:[1,1,0]
	v_fma_mix_f32 v29, v72, v0, 0 op_sel_hi:[1,1,0]
	v_cvt_f32_i32_e32 v69, v69
	v_add_f16_e32 v63, v30, v63
	v_cvt_f16_f32_e32 v80, v87
	v_bfe_u32 v30, v84, 8, 8
	v_cvt_f16_f32_e32 v87, v23
	v_sub_nc_u32_e32 v23, v27, v45
	v_fma_mix_f32 v26, v53, v1, v26 op_sel_hi:[1,1,0]
	v_fma_mix_f32 v27, v67, v0, v29 op_sel:[0,1,0] op_sel_hi:[1,1,0]
	v_sub_nc_u32_e32 v56, v56, v48
	v_cvt_f16_f32_e32 v54, v69
	v_sub_nc_u32_e32 v29, v30, v45
	v_bfe_u32 v30, v84, 16, 8
	v_cvt_f32_i32_e32 v23, v23
	v_fma_mix_f32 v26, v64, v1, v26 op_sel:[0,1,0] op_sel_hi:[1,1,0]
	v_fma_mix_f32 v27, v61, v1, v27 op_sel_hi:[1,1,0]
	v_cvt_f32_i32_e32 v56, v56
	v_cvt_f32_i32_e32 v92, v74
	;; [unrolled: 1-line block ×3, first 2 shown]
	v_sub_nc_u32_e32 v30, v30, v45
	v_cvt_f16_f32_e32 v91, v23
	v_fma_mix_f32 v23, v82, v2, v26 op_sel_hi:[1,1,0]
	v_fma_mix_f32 v26, v54, v1, v27 op_sel:[0,1,0] op_sel_hi:[1,1,0]
	v_cvt_f16_f32_e32 v74, v56
	v_cvt_f16_f32_e32 v69, v92
	;; [unrolled: 1-line block ×4, first 2 shown]
	v_cvt_f32_i32_e32 v27, v30
	v_lshrrev_b32_e32 v29, 24, v84
	v_fma_mix_f32 v23, v78, v2, v23 op_sel:[0,1,0] op_sel_hi:[1,1,0]
	v_fma_mix_f32 v26, v73, v2, v26 op_sel_hi:[1,1,0]
	v_fma_mix_f32 v30, v79, v0, 0 op_sel_hi:[1,1,0]
	v_cvt_f16_f32_e32 v84, v27
	v_sub_nc_u32_e32 v27, v29, v45
	v_fma_mix_f32 v23, v74, v3, v23 op_sel_hi:[1,1,0]
	v_fma_mix_f32 v26, v68, v2, v26 op_sel:[0,1,0] op_sel_hi:[1,1,0]
	v_fma_mix_f32 v29, v75, v0, v30 op_sel:[0,1,0] op_sel_hi:[1,1,0]
	v_fma_mix_f32 v30, v83, v0, 0 op_sel_hi:[1,1,0]
	v_cvt_f16_f32_e32 v56, v93
	v_cvt_f32_i32_e32 v27, v27
	v_fma_mix_f32 v23, v69, v3, v23 op_sel:[0,1,0] op_sel_hi:[1,1,0]
	v_fma_mix_f32 v26, v62, v3, v26 op_sel_hi:[1,1,0]
	v_fma_mix_f32 v29, v70, v1, v29 op_sel_hi:[1,1,0]
	v_fma_mix_f32 v0, v85, v0, v30 op_sel:[0,1,0] op_sel_hi:[1,1,0]
	v_cvt_f16_f32_e32 v93, v27
	v_fma_mixlo_f16 v23, v23, v34, 0 op_sel_hi:[0,1,0]
	v_fma_mix_f32 v26, v56, v3, v26 op_sel:[0,1,0] op_sel_hi:[1,1,0]
	v_fma_mix_f32 v27, v65, v1, v29 op_sel:[0,1,0] op_sel_hi:[1,1,0]
	v_fma_mix_f32 v0, v86, v1, v0 op_sel_hi:[1,1,0]
	v_fma_mix_f32 v29, v22, v4, 0 op_sel_hi:[1,1,0]
	v_add_f16_e32 v50, v88, v23
	v_fma_mixlo_f16 v23, v26, v39, 0 op_sel_hi:[0,1,0]
	v_fma_mix_f32 v26, v76, v2, v27 op_sel_hi:[1,1,0]
	v_fma_mix_f32 v0, v87, v1, v0 op_sel:[0,1,0] op_sel_hi:[1,1,0]
	v_fma_mix_f32 v27, v72, v4, 0 op_sel_hi:[1,1,0]
	v_fma_mix_f32 v1, v58, v4, v29 op_sel:[0,1,0] op_sel_hi:[1,1,0]
	v_add_f16_e32 v51, v89, v23
	v_fma_mix_f32 v23, v71, v2, v26 op_sel:[0,1,0] op_sel_hi:[1,1,0]
	v_fma_mix_f32 v0, v91, v2, v0 op_sel_hi:[1,1,0]
	v_fma_mix_f32 v26, v67, v4, v27 op_sel:[0,1,0] op_sel_hi:[1,1,0]
	v_fma_mix_f32 v27, v79, v4, 0 op_sel_hi:[1,1,0]
	v_fma_mix_f32 v1, v53, v5, v1 op_sel_hi:[1,1,0]
	;; [unrolled: 1-line block ×3, first 2 shown]
	v_fma_mix_f32 v0, v92, v2, v0 op_sel:[0,1,0] op_sel_hi:[1,1,0]
	v_fma_mix_f32 v2, v61, v5, v26 op_sel_hi:[1,1,0]
	v_fma_mix_f32 v26, v75, v4, v27 op_sel:[0,1,0] op_sel_hi:[1,1,0]
	v_fma_mix_f32 v1, v64, v5, v1 op_sel:[0,1,0] op_sel_hi:[1,1,0]
	;; [unrolled: 1-line block ×3, first 2 shown]
	v_fma_mix_f32 v27, v84, v3, v0 op_sel_hi:[1,1,0]
	v_add_co_u32 v0, vcc_lo, v24, s2
	v_fma_mix_f32 v26, v70, v5, v26 op_sel_hi:[1,1,0]
	v_fma_mix_f32 v29, v82, v6, v1 op_sel_hi:[1,1,0]
	v_add_co_ci_u32_e32 v1, vcc_lo, s3, v25, vcc_lo
	v_fma_mix_f32 v3, v93, v3, v27 op_sel:[0,1,0] op_sel_hi:[1,1,0]
	s_delay_alu instid0(VALU_DEP_4) | instskip(NEXT) | instid1(VALU_DEP_4)
	v_fma_mix_f32 v30, v65, v5, v26 op_sel:[0,1,0] op_sel_hi:[1,1,0]
	v_fma_mix_f32 v29, v78, v6, v29 op_sel:[0,1,0] op_sel_hi:[1,1,0]
	global_load_b128 v[24:27], v[0:1], off
	v_fma_mixlo_f16 v23, v23, v35, 0 op_sel_hi:[0,1,0]
	v_add_co_u32 v0, vcc_lo, v0, s2
	v_fma_mix_f32 v30, v76, v6, v30 op_sel_hi:[1,1,0]
	v_fma_mixlo_f16 v3, v3, v42, 0 op_sel_hi:[0,1,0]
	v_fma_mix_f32 v29, v74, v7, v29 op_sel_hi:[1,1,0]
	v_add_f16_e32 v57, v20, v23
	v_add_co_ci_u32_e32 v1, vcc_lo, s3, v1, vcc_lo
	v_fma_mix_f32 v20, v71, v6, v30 op_sel:[0,1,0] op_sel_hi:[1,1,0]
	v_add_f16_e32 v28, v28, v55
	v_add_f16_e32 v55, v21, v3
	v_fma_mix_f32 v3, v69, v7, v29 op_sel:[0,1,0] op_sel_hi:[1,1,0]
	s_waitcnt lgkmcnt(0)
	v_fma_mix_f32 v31, v22, v16, 0 op_sel_hi:[1,1,0]
	v_fma_mix_f32 v29, v66, v7, v20 op_sel_hi:[1,1,0]
	global_load_b128 v[20:23], v[0:1], off
	v_fma_mix_f32 v30, v83, v4, 0 op_sel_hi:[1,1,0]
	v_fma_mixlo_f16 v0, v3, v34, 0 op_sel_hi:[0,1,0]
	v_fma_mix_f32 v2, v54, v5, v2 op_sel:[0,1,0] op_sel_hi:[1,1,0]
	v_fma_mix_f32 v72, v72, v16, 0 op_sel_hi:[1,1,0]
	v_add_co_u32 v36, vcc_lo, v36, s0
	v_fma_mix_f32 v3, v85, v4, v30 op_sel:[0,1,0] op_sel_hi:[1,1,0]
	v_fma_mix_f32 v4, v58, v16, v31 op_sel:[0,1,0] op_sel_hi:[1,1,0]
	v_fma_mix_f32 v2, v73, v6, v2 op_sel_hi:[1,1,0]
	v_fma_mix_f32 v67, v67, v16, v72 op_sel:[0,1,0] op_sel_hi:[1,1,0]
	v_add_f16_e32 v58, v52, v0
	v_fma_mix_f32 v89, v86, v5, v3 op_sel_hi:[1,1,0]
	v_fma_mix_f32 v4, v53, v17, v4 op_sel_hi:[1,1,0]
	v_fma_mix_f32 v2, v68, v6, v2 op_sel:[0,1,0] op_sel_hi:[1,1,0]
	v_add_co_ci_u32_e32 v37, vcc_lo, s1, v37, vcc_lo
	s_delay_alu instid0(VALU_DEP_4) | instskip(NEXT) | instid1(VALU_DEP_4)
	v_fma_mix_f32 v5, v87, v5, v89 op_sel:[0,1,0] op_sel_hi:[1,1,0]
	v_fma_mix_f32 v4, v64, v17, v4 op_sel:[0,1,0] op_sel_hi:[1,1,0]
	v_fma_mix_f32 v64, v79, v16, 0 op_sel_hi:[1,1,0]
	v_fma_mix_f32 v79, v83, v16, 0 op_sel_hi:[1,1,0]
	;; [unrolled: 1-line block ×5, first 2 shown]
	v_fma_mix_f32 v64, v75, v16, v64 op_sel:[0,1,0] op_sel_hi:[1,1,0]
	v_fma_mix_f32 v16, v85, v16, v79 op_sel:[0,1,0] op_sel_hi:[1,1,0]
	;; [unrolled: 1-line block ×4, first 2 shown]
	v_fma_mix_f32 v6, v61, v17, v67 op_sel_hi:[1,1,0]
	v_fma_mix_f32 v4, v78, v18, v4 op_sel:[0,1,0] op_sel_hi:[1,1,0]
	v_fma_mix_f32 v61, v70, v17, v64 op_sel_hi:[1,1,0]
	v_fma_mix_f32 v16, v86, v17, v16 op_sel_hi:[1,1,0]
	;; [unrolled: 1-line block ×3, first 2 shown]
	v_fma_mix_f32 v6, v54, v17, v6 op_sel:[0,1,0] op_sel_hi:[1,1,0]
	v_fma_mix_f32 v4, v74, v19, v4 op_sel_hi:[1,1,0]
	v_fma_mix_f32 v54, v65, v17, v61 op_sel:[0,1,0] op_sel_hi:[1,1,0]
	v_fma_mixlo_f16 v1, v2, v39, 0 op_sel_hi:[0,1,0]
	v_fma_mix_f32 v2, v80, v7, v29 op_sel:[0,1,0] op_sel_hi:[1,1,0]
	v_fma_mix_f32 v16, v87, v17, v16 op_sel:[0,1,0] op_sel_hi:[1,1,0]
	v_fma_mix_f32 v5, v93, v7, v5 op_sel:[0,1,0] op_sel_hi:[1,1,0]
	v_fma_mix_f32 v6, v73, v18, v6 op_sel_hi:[1,1,0]
	v_fma_mix_f32 v4, v69, v19, v4 op_sel:[0,1,0] op_sel_hi:[1,1,0]
	v_fma_mix_f32 v7, v76, v18, v54 op_sel_hi:[1,1,0]
	v_fma_mix_f32 v16, v91, v18, v16 op_sel_hi:[1,1,0]
	v_fma_mixlo_f16 v5, v5, v42, 0 op_sel_hi:[0,1,0]
	v_fma_mix_f32 v6, v68, v18, v6 op_sel:[0,1,0] op_sel_hi:[1,1,0]
	v_fma_mixlo_f16 v4, v4, v34, 0 op_sel_hi:[0,1,0]
	v_fma_mix_f32 v7, v71, v18, v7 op_sel:[0,1,0] op_sel_hi:[1,1,0]
	v_fma_mix_f32 v18, v92, v18, v16 op_sel:[0,1,0] op_sel_hi:[1,1,0]
	v_add_f16_e32 v17, v81, v5
	v_fma_mix_f32 v5, v62, v19, v6 op_sel_hi:[1,1,0]
	v_add_f16_e32 v16, v77, v4
	v_fma_mix_f32 v4, v66, v19, v7 op_sel_hi:[1,1,0]
	v_fma_mix_f32 v6, v84, v19, v18 op_sel_hi:[1,1,0]
	s_waitcnt vmcnt(3)
	v_bfe_u32 v18, v12, 8, 8
	v_fma_mix_f32 v5, v56, v19, v5 op_sel:[0,1,0] op_sel_hi:[1,1,0]
	v_and_b32_e32 v7, 0xff, v12
	v_fma_mix_f32 v4, v80, v19, v4 op_sel:[0,1,0] op_sel_hi:[1,1,0]
	v_fma_mix_f32 v6, v93, v19, v6 op_sel:[0,1,0] op_sel_hi:[1,1,0]
	v_sub_nc_u32_e32 v18, v18, v48
	v_fma_mixlo_f16 v5, v5, v39, 0 op_sel_hi:[0,1,0]
	v_sub_nc_u32_e32 v7, v7, v48
	v_fma_mixlo_f16 v4, v4, v35, 0 op_sel_hi:[0,1,0]
	v_fma_mixlo_f16 v6, v6, v42, 0 op_sel_hi:[0,1,0]
	v_add_f16_e32 v52, v28, v1
	v_add_f16_e32 v54, v63, v5
	v_cvt_f32_i32_e32 v5, v18
	v_add_f16_e32 v18, v59, v4
	v_bfe_u32 v4, v12, 16, 8
	v_cvt_f32_i32_e32 v7, v7
	v_add_f16_e32 v19, v60, v6
	v_cvt_f16_f32_e32 v56, v5
	v_lshrrev_b32_e32 v5, 24, v12
	v_sub_nc_u32_e32 v4, v4, v48
	s_waitcnt vmcnt(2)
	v_bfe_u32 v12, v8, 16, 8
	v_cvt_f16_f32_e32 v60, v7
	v_and_b32_e32 v6, 0xff, v8
	v_bfe_u32 v7, v8, 8, 8
	v_sub_nc_u32_e32 v5, v5, v48
	v_cvt_f32_i32_e32 v4, v4
	v_sub_nc_u32_e32 v12, v12, v48
	v_sub_nc_u32_e32 v6, v6, v48
	;; [unrolled: 1-line block ×3, first 2 shown]
	v_cvt_f32_i32_e32 v5, v5
	v_cvt_f16_f32_e32 v62, v4
	v_cvt_f32_i32_e32 v4, v12
	v_cvt_f32_i32_e32 v6, v6
	;; [unrolled: 1-line block ×3, first 2 shown]
	v_cvt_f16_f32_e32 v61, v5
	v_lshrrev_b32_e32 v5, 24, v8
	v_cvt_f16_f32_e32 v8, v4
	v_and_b32_e32 v4, 0xff, v13
	v_cvt_f16_f32_e32 v59, v6
	v_cvt_f16_f32_e32 v12, v7
	v_bfe_u32 v6, v13, 8, 8
	v_bfe_u32 v7, v13, 16, 8
	v_sub_nc_u32_e32 v5, v5, v48
	v_lshrrev_b32_e32 v13, 24, v13
	v_sub_nc_u32_e32 v4, v4, v47
	v_sub_nc_u32_e32 v6, v6, v47
	;; [unrolled: 1-line block ×3, first 2 shown]
	v_cvt_f32_i32_e32 v5, v5
	v_sub_nc_u32_e32 v63, v13, v47
	v_cvt_f32_i32_e32 v4, v4
	v_cvt_f32_i32_e32 v6, v6
	;; [unrolled: 1-line block ×3, first 2 shown]
	v_cvt_f16_f32_e32 v13, v5
	v_cvt_f32_i32_e32 v5, v63
	v_cvt_f16_f32_e32 v75, v4
	v_and_b32_e32 v4, 0xff, v9
	v_cvt_f16_f32_e32 v76, v6
	v_cvt_f16_f32_e32 v77, v7
	;; [unrolled: 1-line block ×3, first 2 shown]
	v_bfe_u32 v5, v9, 8, 8
	v_bfe_u32 v6, v9, 16, 8
	v_lshrrev_b32_e32 v7, 24, v9
	v_sub_nc_u32_e32 v4, v4, v47
	v_and_b32_e32 v9, 0xff, v14
	v_sub_nc_u32_e32 v5, v5, v47
	v_sub_nc_u32_e32 v6, v6, v47
	;; [unrolled: 1-line block ×3, first 2 shown]
	v_cvt_f32_i32_e32 v4, v4
	v_sub_nc_u32_e32 v9, v9, v46
	v_cvt_f32_i32_e32 v5, v5
	v_cvt_f32_i32_e32 v6, v6
	;; [unrolled: 1-line block ×3, first 2 shown]
	v_cvt_f16_f32_e32 v79, v4
	v_cvt_f32_i32_e32 v4, v9
	v_cvt_f16_f32_e32 v9, v5
	v_bfe_u32 v5, v14, 8, 8
	v_cvt_f16_f32_e32 v80, v6
	v_lshrrev_b32_e32 v6, 24, v14
	v_cvt_f16_f32_e32 v82, v4
	v_bfe_u32 v4, v14, 16, 8
	v_sub_nc_u32_e32 v5, v5, v46
	v_bfe_u32 v14, v10, 8, 8
	v_cvt_f16_f32_e32 v81, v7
	v_and_b32_e32 v7, 0xff, v10
	v_sub_nc_u32_e32 v4, v4, v46
	v_sub_nc_u32_e32 v6, v6, v46
	v_cvt_f32_i32_e32 v5, v5
	v_sub_nc_u32_e32 v14, v14, v46
	v_sub_nc_u32_e32 v7, v7, v46
	v_cvt_f32_i32_e32 v4, v4
	v_cvt_f32_i32_e32 v6, v6
	v_cvt_f16_f32_e32 v83, v5
	v_cvt_f32_i32_e32 v5, v14
	v_fma_mixlo_f16 v88, v2, v35, 0 op_sel_hi:[0,1,0]
	v_cvt_f16_f32_e32 v14, v4
	v_bfe_u32 v4, v10, 16, 8
	ds_load_b128 v[28:31], v49 offset:32
	ds_load_b128 v[0:3], v49 offset:48
	v_cvt_f32_i32_e32 v7, v7
	v_cvt_f16_f32_e32 v84, v6
	v_cvt_f16_f32_e32 v86, v5
	v_lshrrev_b32_e32 v5, 24, v10
	v_and_b32_e32 v6, 0xff, v15
	v_sub_nc_u32_e32 v4, v4, v46
	v_bfe_u32 v10, v15, 16, 8
	v_cvt_f16_f32_e32 v85, v7
	v_bfe_u32 v7, v15, 8, 8
	v_sub_nc_u32_e32 v5, v5, v46
	v_sub_nc_u32_e32 v6, v6, v45
	v_cvt_f32_i32_e32 v4, v4
	v_sub_nc_u32_e32 v10, v10, v45
	v_sub_nc_u32_e32 v7, v7, v45
	v_cvt_f32_i32_e32 v5, v5
	v_cvt_f32_i32_e32 v6, v6
	v_cvt_f16_f32_e32 v87, v4
	v_cvt_f32_i32_e32 v4, v10
	v_add_f16_e32 v53, v90, v88
	v_cvt_f32_i32_e32 v7, v7
	v_cvt_f16_f32_e32 v10, v5
	v_cvt_f16_f32_e32 v88, v6
	s_waitcnt lgkmcnt(1)
	v_fma_mix_f32 v5, v60, v28, 0 op_sel_hi:[1,1,0]
	v_cvt_f16_f32_e32 v90, v4
	v_lshrrev_b32_e32 v4, 24, v15
	v_fma_mix_f32 v6, v75, v28, 0 op_sel_hi:[1,1,0]
	v_cvt_f16_f32_e32 v89, v7
	v_and_b32_e32 v7, 0xff, v11
	v_fma_mix_f32 v5, v56, v28, v5 op_sel:[0,1,0] op_sel_hi:[1,1,0]
	v_sub_nc_u32_e32 v4, v4, v45
	v_fma_mix_f32 v6, v76, v28, v6 op_sel:[0,1,0] op_sel_hi:[1,1,0]
	v_bfe_u32 v15, v11, 8, 8
	v_sub_nc_u32_e32 v7, v7, v45
	v_fma_mix_f32 v5, v62, v29, v5 op_sel_hi:[1,1,0]
	v_cvt_f32_i32_e32 v4, v4
	v_fma_mix_f32 v6, v77, v29, v6 op_sel_hi:[1,1,0]
	ds_load_b128 v[63:66], v49 offset:288
	v_cvt_f32_i32_e32 v7, v7
	v_fma_mix_f32 v5, v61, v29, v5 op_sel:[0,1,0] op_sel_hi:[1,1,0]
	v_cvt_f16_f32_e32 v91, v4
	v_fma_mix_f32 v4, v78, v29, v6 op_sel:[0,1,0] op_sel_hi:[1,1,0]
	v_bfe_u32 v6, v11, 16, 8
	v_cvt_f16_f32_e32 v92, v7
	v_fma_mix_f32 v5, v59, v30, v5 op_sel_hi:[1,1,0]
	v_lshrrev_b32_e32 v7, 24, v11
	v_fma_mix_f32 v4, v79, v30, v4 op_sel_hi:[1,1,0]
	v_fma_mix_f32 v11, v82, v28, 0 op_sel_hi:[1,1,0]
	v_sub_nc_u32_e32 v6, v6, v45
	v_fma_mix_f32 v5, v12, v30, v5 op_sel:[0,1,0] op_sel_hi:[1,1,0]
	v_sub_nc_u32_e32 v7, v7, v45
	v_fma_mix_f32 v4, v9, v30, v4 op_sel:[0,1,0] op_sel_hi:[1,1,0]
	v_fma_mix_f32 v11, v83, v28, v11 op_sel:[0,1,0] op_sel_hi:[1,1,0]
	v_cvt_f32_i32_e32 v6, v6
	v_fma_mix_f32 v5, v8, v31, v5 op_sel_hi:[1,1,0]
	v_cvt_f32_i32_e32 v7, v7
	v_fma_mix_f32 v4, v80, v31, v4 op_sel_hi:[1,1,0]
	v_fma_mix_f32 v11, v14, v29, v11 op_sel_hi:[1,1,0]
	v_cvt_f16_f32_e32 v93, v6
	v_fma_mix_f32 v5, v13, v31, v5 op_sel:[0,1,0] op_sel_hi:[1,1,0]
	v_cvt_f16_f32_e32 v94, v7
	v_fma_mix_f32 v4, v81, v31, v4 op_sel:[0,1,0] op_sel_hi:[1,1,0]
	v_fma_mix_f32 v11, v84, v29, v11 op_sel:[0,1,0] op_sel_hi:[1,1,0]
	v_fma_mix_f32 v69, v88, v28, 0 op_sel_hi:[1,1,0]
	v_fma_mixlo_f16 v67, v5, v34, 0 op_sel_hi:[0,1,0]
	v_sub_nc_u32_e32 v15, v15, v45
	v_fma_mixlo_f16 v68, v4, v39, 0 op_sel_hi:[0,1,0]
	ds_load_b128 v[4:7], v49 offset:304
	s_waitcnt lgkmcnt(1)
	v_fma_mix_f32 v70, v60, v63, 0 op_sel_hi:[1,1,0]
	v_fma_mix_f32 v11, v85, v30, v11 op_sel_hi:[1,1,0]
	v_add_f16_e32 v50, v50, v67
	v_add_f16_e32 v51, v51, v68
	v_fma_mix_f32 v28, v89, v28, v69 op_sel:[0,1,0] op_sel_hi:[1,1,0]
	v_fma_mix_f32 v67, v56, v63, v70 op_sel:[0,1,0] op_sel_hi:[1,1,0]
	;; [unrolled: 1-line block ×3, first 2 shown]
	v_fma_mix_f32 v68, v75, v63, 0 op_sel_hi:[1,1,0]
	v_fma_mix_f32 v69, v82, v63, 0 op_sel_hi:[1,1,0]
	;; [unrolled: 1-line block ×5, first 2 shown]
	v_fma_mix_f32 v68, v76, v63, v68 op_sel:[0,1,0] op_sel_hi:[1,1,0]
	v_fma_mix_f32 v69, v83, v63, v69 op_sel:[0,1,0] op_sel_hi:[1,1,0]
	v_cvt_f32_i32_e32 v15, v15
	v_fma_mix_f32 v28, v91, v29, v28 op_sel:[0,1,0] op_sel_hi:[1,1,0]
	v_fma_mix_f32 v29, v61, v64, v67 op_sel:[0,1,0] op_sel_hi:[1,1,0]
	;; [unrolled: 1-line block ×3, first 2 shown]
	v_fma_mix_f32 v67, v77, v64, v68 op_sel_hi:[1,1,0]
	v_fma_mix_f32 v68, v14, v64, v69 op_sel_hi:[1,1,0]
	v_cvt_f16_f32_e32 v15, v15
	v_fma_mix_f32 v28, v92, v30, v28 op_sel_hi:[1,1,0]
	v_fma_mixlo_f16 v11, v11, v35, 0 op_sel_hi:[0,1,0]
	v_fma_mix_f32 v67, v78, v64, v67 op_sel:[0,1,0] op_sel_hi:[1,1,0]
	v_fma_mix_f32 v68, v84, v64, v68 op_sel:[0,1,0] op_sel_hi:[1,1,0]
	ds_load_b128 v[71:74], v49 offset:560
	v_fma_mix_f32 v28, v15, v30, v28 op_sel:[0,1,0] op_sel_hi:[1,1,0]
	v_add_f16_e32 v11, v57, v11
	v_fma_mix_f32 v30, v79, v65, v67 op_sel_hi:[1,1,0]
	v_fma_mix_f32 v57, v85, v65, v68 op_sel_hi:[1,1,0]
	ds_load_b128 v[67:70], v49 offset:544
	v_fma_mix_f32 v28, v93, v31, v28 op_sel_hi:[1,1,0]
	v_fma_mix_f32 v29, v59, v65, v29 op_sel_hi:[1,1,0]
	v_fma_mix_f32 v30, v9, v65, v30 op_sel:[0,1,0] op_sel_hi:[1,1,0]
	v_fma_mix_f32 v57, v86, v65, v57 op_sel:[0,1,0] op_sel_hi:[1,1,0]
	s_delay_alu instid0(VALU_DEP_4) | instskip(NEXT) | instid1(VALU_DEP_4)
	v_fma_mix_f32 v28, v94, v31, v28 op_sel:[0,1,0] op_sel_hi:[1,1,0]
	v_fma_mix_f32 v29, v12, v65, v29 op_sel:[0,1,0] op_sel_hi:[1,1,0]
	s_delay_alu instid0(VALU_DEP_4) | instskip(NEXT) | instid1(VALU_DEP_4)
	v_fma_mix_f32 v30, v80, v66, v30 op_sel_hi:[1,1,0]
	v_fma_mix_f32 v31, v87, v66, v57 op_sel_hi:[1,1,0]
	;; [unrolled: 1-line block ×3, first 2 shown]
	v_fma_mixlo_f16 v28, v28, v42, 0 op_sel_hi:[0,1,0]
	v_fma_mix_f32 v29, v8, v66, v29 op_sel_hi:[1,1,0]
	v_fma_mix_f32 v30, v81, v66, v30 op_sel:[0,1,0] op_sel_hi:[1,1,0]
	v_fma_mix_f32 v31, v10, v66, v31 op_sel:[0,1,0] op_sel_hi:[1,1,0]
	;; [unrolled: 1-line block ×3, first 2 shown]
	v_add_f16_e32 v28, v55, v28
	v_fma_mix_f32 v29, v13, v66, v29 op_sel:[0,1,0] op_sel_hi:[1,1,0]
	v_fma_mixlo_f16 v30, v30, v39, 0 op_sel_hi:[0,1,0]
	v_fma_mixlo_f16 v31, v31, v35, 0 op_sel_hi:[0,1,0]
	v_fma_mix_f32 v55, v90, v64, v57 op_sel_hi:[1,1,0]
	s_waitcnt lgkmcnt(0)
	v_fma_mix_f32 v49, v60, v67, 0 op_sel_hi:[1,1,0]
	v_fma_mix_f32 v57, v75, v67, 0 op_sel_hi:[1,1,0]
	v_add_f16_e32 v30, v52, v30
	v_add_f16_e32 v31, v53, v31
	v_fma_mix_f32 v52, v91, v64, v55 op_sel:[0,1,0] op_sel_hi:[1,1,0]
	v_fma_mix_f32 v49, v56, v67, v49 op_sel:[0,1,0] op_sel_hi:[1,1,0]
	v_fma_mix_f32 v55, v82, v67, 0 op_sel_hi:[1,1,0]
	v_fma_mix_f32 v56, v88, v67, 0 op_sel_hi:[1,1,0]
	v_fma_mix_f32 v53, v76, v67, v57 op_sel:[0,1,0] op_sel_hi:[1,1,0]
	v_fma_mix_f32 v52, v92, v65, v52 op_sel_hi:[1,1,0]
	v_fma_mix_f32 v49, v62, v68, v49 op_sel_hi:[1,1,0]
	v_fma_mix_f32 v55, v83, v67, v55 op_sel:[0,1,0] op_sel_hi:[1,1,0]
	v_fma_mix_f32 v56, v89, v67, v56 op_sel:[0,1,0] op_sel_hi:[1,1,0]
	v_fma_mix_f32 v53, v77, v68, v53 op_sel_hi:[1,1,0]
	v_fma_mix_f32 v52, v15, v65, v52 op_sel:[0,1,0] op_sel_hi:[1,1,0]
	v_fma_mix_f32 v49, v61, v68, v49 op_sel:[0,1,0] op_sel_hi:[1,1,0]
	v_fma_mix_f32 v14, v14, v68, v55 op_sel_hi:[1,1,0]
	v_fma_mix_f32 v55, v90, v68, v56 op_sel_hi:[1,1,0]
	v_fma_mix_f32 v53, v78, v68, v53 op_sel:[0,1,0] op_sel_hi:[1,1,0]
	v_fma_mix_f32 v52, v93, v66, v52 op_sel_hi:[1,1,0]
	v_fma_mix_f32 v49, v59, v69, v49 op_sel_hi:[1,1,0]
	v_fma_mix_f32 v14, v84, v68, v14 op_sel:[0,1,0] op_sel_hi:[1,1,0]
	v_fma_mix_f32 v55, v91, v68, v55 op_sel:[0,1,0] op_sel_hi:[1,1,0]
	v_fma_mix_f32 v53, v79, v69, v53 op_sel_hi:[1,1,0]
	v_fma_mix_f32 v52, v94, v66, v52 op_sel:[0,1,0] op_sel_hi:[1,1,0]
	v_fma_mix_f32 v12, v12, v69, v49 op_sel:[0,1,0] op_sel_hi:[1,1,0]
	v_fma_mix_f32 v14, v85, v69, v14 op_sel_hi:[1,1,0]
	v_fma_mix_f32 v49, v92, v69, v55 op_sel_hi:[1,1,0]
	v_fma_mix_f32 v9, v9, v69, v53 op_sel:[0,1,0] op_sel_hi:[1,1,0]
	v_fma_mixlo_f16 v52, v52, v42, 0 op_sel_hi:[0,1,0]
	v_fma_mix_f32 v8, v8, v70, v12 op_sel_hi:[1,1,0]
	v_fma_mix_f32 v12, v86, v69, v14 op_sel:[0,1,0] op_sel_hi:[1,1,0]
	v_fma_mix_f32 v14, v15, v69, v49 op_sel:[0,1,0] op_sel_hi:[1,1,0]
	v_fma_mix_f32 v9, v80, v70, v9 op_sel_hi:[1,1,0]
	v_add_f16_e32 v15, v17, v52
	v_fma_mix_f32 v8, v13, v70, v8 op_sel:[0,1,0] op_sel_hi:[1,1,0]
	v_fma_mix_f32 v12, v87, v70, v12 op_sel_hi:[1,1,0]
	v_fma_mix_f32 v13, v93, v70, v14 op_sel_hi:[1,1,0]
	s_waitcnt vmcnt(1)
	v_bfe_u32 v52, v25, 16, 8
	v_fma_mix_f32 v9, v81, v70, v9 op_sel:[0,1,0] op_sel_hi:[1,1,0]
	v_and_b32_e32 v14, 0xff, v24
	v_fma_mix_f32 v10, v10, v70, v12 op_sel:[0,1,0] op_sel_hi:[1,1,0]
	v_fma_mix_f32 v12, v94, v70, v13 op_sel:[0,1,0] op_sel_hi:[1,1,0]
	v_sub_nc_u32_e32 v52, v52, v47
	v_fma_mixlo_f16 v8, v8, v34, 0 op_sel_hi:[0,1,0]
	v_fma_mixlo_f16 v9, v9, v39, 0 op_sel_hi:[0,1,0]
	;; [unrolled: 1-line block ×4, first 2 shown]
	v_cvt_f32_i32_e32 v52, v52
	v_sub_nc_u32_e32 v13, v14, v48
	v_add_f16_e32 v8, v16, v8
	s_waitcnt vmcnt(0)
	v_and_b32_e32 v53, 0xff, v21
	v_add_f16_e32 v9, v54, v9
	v_bfe_u32 v14, v24, 8, 8
	v_bfe_u32 v16, v24, 16, 8
	v_add_f16_e32 v10, v18, v10
	v_add_f16_e32 v12, v19, v12
	v_lshrrev_b32_e32 v17, 24, v24
	v_and_b32_e32 v18, 0xff, v20
	v_bfe_u32 v19, v20, 8, 8
	v_bfe_u32 v24, v20, 16, 8
	v_lshrrev_b32_e32 v20, 24, v20
	v_cvt_f16_f32_e32 v56, v52
	v_sub_nc_u32_e32 v52, v53, v47
	v_bfe_u32 v53, v21, 8, 8
	v_bfe_u32 v54, v21, 16, 8
	v_sub_nc_u32_e32 v14, v14, v48
	v_sub_nc_u32_e32 v16, v16, v48
	;; [unrolled: 1-line block ×7, first 2 shown]
	v_and_b32_e32 v48, 0xff, v25
	v_bfe_u32 v49, v25, 8, 8
	v_lshrrev_b32_e32 v25, 24, v25
	v_lshrrev_b32_e32 v21, 24, v21
	v_cvt_f32_i32_e32 v52, v52
	v_sub_nc_u32_e32 v53, v53, v47
	v_sub_nc_u32_e32 v54, v54, v47
	v_fma_mixlo_f16 v29, v29, v34, 0 op_sel_hi:[0,1,0]
	v_sub_nc_u32_e32 v48, v48, v47
	v_sub_nc_u32_e32 v49, v49, v47
	;; [unrolled: 1-line block ×4, first 2 shown]
	v_cvt_f16_f32_e32 v47, v52
	v_cvt_f32_i32_e32 v52, v53
	v_cvt_f32_i32_e32 v53, v54
	v_and_b32_e32 v54, 0xff, v26
	v_bfe_u32 v55, v26, 8, 8
	v_add_f16_e32 v29, v58, v29
	v_cvt_f16_f32_e32 v57, v52
	v_cvt_f16_f32_e32 v58, v53
	v_sub_nc_u32_e32 v52, v54, v46
	v_sub_nc_u32_e32 v53, v55, v46
	v_bfe_u32 v54, v26, 16, 8
	v_lshrrev_b32_e32 v26, 24, v26
	v_and_b32_e32 v55, 0xff, v22
	v_cvt_f32_i32_e32 v52, v52
	v_cvt_f32_i32_e32 v53, v53
	v_sub_nc_u32_e32 v54, v54, v46
	v_sub_nc_u32_e32 v26, v26, v46
	;; [unrolled: 1-line block ×3, first 2 shown]
	v_cvt_f16_f32_e32 v59, v52
	v_cvt_f16_f32_e32 v60, v53
	v_cvt_f32_i32_e32 v52, v54
	v_cvt_f32_i32_e32 v26, v26
	;; [unrolled: 1-line block ×3, first 2 shown]
	v_bfe_u32 v54, v22, 8, 8
	v_bfe_u32 v55, v22, 16, 8
	v_cvt_f32_i32_e32 v13, v13
	v_cvt_f32_i32_e32 v48, v48
	v_cvt_f16_f32_e32 v61, v52
	v_cvt_f16_f32_e32 v62, v26
	;; [unrolled: 1-line block ×3, first 2 shown]
	v_sub_nc_u32_e32 v26, v54, v46
	v_sub_nc_u32_e32 v52, v55, v46
	v_lshrrev_b32_e32 v22, 24, v22
	v_and_b32_e32 v53, 0xff, v27
	v_bfe_u32 v54, v27, 8, 8
	v_cvt_f16_f32_e32 v13, v13
	v_cvt_f32_i32_e32 v14, v14
	v_cvt_f32_i32_e32 v49, v49
	v_cvt_f16_f32_e32 v48, v48
	v_cvt_f32_i32_e32 v26, v26
	v_cvt_f32_i32_e32 v52, v52
	v_sub_nc_u32_e32 v22, v22, v46
	v_sub_nc_u32_e32 v46, v53, v45
	;; [unrolled: 1-line block ×3, first 2 shown]
	v_cvt_f32_i32_e32 v16, v16
	v_cvt_f16_f32_e32 v14, v14
	v_cvt_f16_f32_e32 v49, v49
	;; [unrolled: 1-line block ×4, first 2 shown]
	v_cvt_f32_i32_e32 v26, v46
	v_cvt_f32_i32_e32 v46, v53
	v_fma_mix_f32 v52, v13, v0, 0 op_sel_hi:[1,1,0]
	v_fma_mix_f32 v53, v48, v0, 0 op_sel_hi:[1,1,0]
	v_cvt_f16_f32_e32 v16, v16
	v_cvt_f32_i32_e32 v17, v17
	v_cvt_f32_i32_e32 v25, v25
	v_cvt_f16_f32_e32 v66, v26
	v_fma_mix_f32 v26, v14, v0, v52 op_sel:[0,1,0] op_sel_hi:[1,1,0]
	v_fma_mix_f32 v52, v49, v0, v53 op_sel:[0,1,0] op_sel_hi:[1,1,0]
	v_cvt_f32_i32_e32 v18, v18
	v_cvt_f16_f32_e32 v17, v17
	v_cvt_f16_f32_e32 v25, v25
	v_fma_mix_f32 v26, v16, v1, v26 op_sel_hi:[1,1,0]
	v_fma_mix_f32 v52, v56, v1, v52 op_sel_hi:[1,1,0]
	v_cvt_f32_i32_e32 v19, v19
	v_cvt_f16_f32_e32 v18, v18
	v_bfe_u32 v53, v27, 16, 8
	v_and_b32_e32 v54, 0xff, v23
	v_fma_mix_f32 v26, v17, v1, v26 op_sel:[0,1,0] op_sel_hi:[1,1,0]
	v_fma_mix_f32 v52, v25, v1, v52 op_sel:[0,1,0] op_sel_hi:[1,1,0]
	v_cvt_f16_f32_e32 v19, v19
	v_cvt_f32_i32_e32 v24, v24
	v_sub_nc_u32_e32 v53, v53, v45
	v_sub_nc_u32_e32 v54, v54, v45
	v_fma_mix_f32 v26, v18, v2, v26 op_sel_hi:[1,1,0]
	v_fma_mix_f32 v52, v47, v2, v52 op_sel_hi:[1,1,0]
	v_cvt_f32_i32_e32 v20, v20
	v_cvt_f16_f32_e32 v24, v24
	v_cvt_f32_i32_e32 v21, v21
	v_cvt_f32_i32_e32 v53, v53
	;; [unrolled: 1-line block ×3, first 2 shown]
	v_fma_mix_f32 v26, v19, v2, v26 op_sel:[0,1,0] op_sel_hi:[1,1,0]
	v_fma_mix_f32 v52, v57, v2, v52 op_sel:[0,1,0] op_sel_hi:[1,1,0]
	v_cvt_f16_f32_e32 v20, v20
	v_cvt_f16_f32_e32 v21, v21
	v_lshrrev_b32_e32 v27, 24, v27
	v_cvt_f16_f32_e32 v67, v53
	v_cvt_f16_f32_e32 v68, v54
	v_bfe_u32 v53, v23, 8, 8
	v_bfe_u32 v54, v23, 16, 8
	v_lshrrev_b32_e32 v23, 24, v23
	v_fma_mix_f32 v26, v24, v3, v26 op_sel_hi:[1,1,0]
	v_fma_mix_f32 v52, v58, v3, v52 op_sel_hi:[1,1,0]
	v_sub_nc_u32_e32 v27, v27, v45
	v_sub_nc_u32_e32 v53, v53, v45
	;; [unrolled: 1-line block ×4, first 2 shown]
	v_fma_mix_f32 v26, v20, v3, v26 op_sel:[0,1,0] op_sel_hi:[1,1,0]
	v_fma_mix_f32 v45, v21, v3, v52 op_sel:[0,1,0] op_sel_hi:[1,1,0]
	v_cvt_f32_i32_e32 v52, v53
	v_cvt_f32_i32_e32 v53, v54
	v_cvt_f16_f32_e32 v46, v46
	v_fma_mixlo_f16 v26, v26, v34, 0 op_sel_hi:[0,1,0]
	v_fma_mixlo_f16 v45, v45, v39, 0 op_sel_hi:[0,1,0]
	v_cvt_f16_f32_e32 v69, v52
	v_cvt_f16_f32_e32 v70, v53
	v_fma_mix_f32 v54, v59, v4, 0 op_sel_hi:[1,1,0]
	v_add_f16_e32 v53, v50, v26
	v_add_f16_e32 v52, v51, v45
	v_fma_mix_f32 v26, v59, v0, 0 op_sel_hi:[1,1,0]
	v_fma_mix_f32 v45, v66, v0, 0 op_sel_hi:[1,1,0]
	;; [unrolled: 1-line block ×4, first 2 shown]
	v_cvt_f32_i32_e32 v27, v27
	v_fma_mix_f32 v26, v60, v0, v26 op_sel:[0,1,0] op_sel_hi:[1,1,0]
	v_fma_mix_f32 v0, v46, v0, v45 op_sel:[0,1,0] op_sel_hi:[1,1,0]
	;; [unrolled: 1-line block ×5, first 2 shown]
	v_cvt_f16_f32_e32 v27, v27
	v_fma_mix_f32 v26, v61, v1, v26 op_sel_hi:[1,1,0]
	v_fma_mix_f32 v0, v67, v1, v0 op_sel_hi:[1,1,0]
	;; [unrolled: 1-line block ×5, first 2 shown]
	v_fma_mix_f32 v26, v62, v1, v26 op_sel:[0,1,0] op_sel_hi:[1,1,0]
	v_fma_mix_f32 v0, v27, v1, v0 op_sel:[0,1,0] op_sel_hi:[1,1,0]
	;; [unrolled: 1-line block ×5, first 2 shown]
	v_fma_mix_f32 v26, v63, v2, v26 op_sel_hi:[1,1,0]
	v_fma_mix_f32 v0, v68, v2, v0 op_sel_hi:[1,1,0]
	;; [unrolled: 1-line block ×5, first 2 shown]
	v_cvt_f32_i32_e32 v22, v22
	v_cvt_f32_i32_e32 v23, v23
	v_fma_mix_f32 v26, v64, v2, v26 op_sel:[0,1,0] op_sel_hi:[1,1,0]
	v_fma_mix_f32 v0, v69, v2, v0 op_sel:[0,1,0] op_sel_hi:[1,1,0]
	;; [unrolled: 1-line block ×5, first 2 shown]
	v_cvt_f16_f32_e32 v22, v22
	v_cvt_f16_f32_e32 v23, v23
	v_fma_mix_f32 v26, v65, v3, v26 op_sel_hi:[1,1,0]
	v_fma_mix_f32 v0, v70, v3, v0 op_sel_hi:[1,1,0]
	v_fma_mix_f32 v1, v24, v7, v1 op_sel_hi:[1,1,0]
	v_fma_mix_f32 v2, v58, v7, v2 op_sel_hi:[1,1,0]
	v_fma_mix_f32 v45, v65, v7, v45 op_sel_hi:[1,1,0]
	v_fma_mix_f32 v26, v22, v3, v26 op_sel:[0,1,0] op_sel_hi:[1,1,0]
	v_fma_mix_f32 v0, v23, v3, v0 op_sel:[0,1,0] op_sel_hi:[1,1,0]
	;; [unrolled: 1-line block ×5, first 2 shown]
	v_fma_mixlo_f16 v26, v26, v35, 0 op_sel_hi:[0,1,0]
	v_fma_mixlo_f16 v0, v0, v42, 0 op_sel_hi:[0,1,0]
	;; [unrolled: 1-line block ×5, first 2 shown]
	v_add_f16_e32 v55, v11, v26
	v_add_f16_e32 v54, v28, v0
	;; [unrolled: 1-line block ×5, first 2 shown]
	v_fma_mix_f32 v0, v66, v4, 0 op_sel_hi:[1,1,0]
	v_fma_mix_f32 v1, v13, v71, 0 op_sel_hi:[1,1,0]
	v_fma_mix_f32 v2, v48, v71, 0 op_sel_hi:[1,1,0]
	v_fma_mix_f32 v3, v59, v71, 0 op_sel_hi:[1,1,0]
	v_fma_mix_f32 v11, v66, v71, 0 op_sel_hi:[1,1,0]
	v_fma_mix_f32 v0, v46, v4, v0 op_sel:[0,1,0] op_sel_hi:[1,1,0]
	v_fma_mix_f32 v1, v14, v71, v1 op_sel:[0,1,0] op_sel_hi:[1,1,0]
	v_fma_mix_f32 v2, v49, v71, v2 op_sel:[0,1,0] op_sel_hi:[1,1,0]
	v_fma_mix_f32 v3, v60, v71, v3 op_sel:[0,1,0] op_sel_hi:[1,1,0]
	v_fma_mix_f32 v4, v46, v71, v11 op_sel:[0,1,0] op_sel_hi:[1,1,0]
	v_fma_mix_f32 v0, v67, v5, v0 op_sel_hi:[1,1,0]
	v_fma_mix_f32 v1, v16, v72, v1 op_sel_hi:[1,1,0]
	v_fma_mix_f32 v2, v56, v72, v2 op_sel_hi:[1,1,0]
	v_fma_mix_f32 v3, v61, v72, v3 op_sel_hi:[1,1,0]
	v_fma_mix_f32 v4, v67, v72, v4 op_sel_hi:[1,1,0]
	v_fma_mix_f32 v0, v27, v5, v0 op_sel:[0,1,0] op_sel_hi:[1,1,0]
	v_fma_mix_f32 v1, v17, v72, v1 op_sel:[0,1,0] op_sel_hi:[1,1,0]
	v_fma_mix_f32 v2, v25, v72, v2 op_sel:[0,1,0] op_sel_hi:[1,1,0]
	v_fma_mix_f32 v3, v62, v72, v3 op_sel:[0,1,0] op_sel_hi:[1,1,0]
	v_fma_mix_f32 v4, v27, v72, v4 op_sel:[0,1,0] op_sel_hi:[1,1,0]
	;; [unrolled: 10-line block ×4, first 2 shown]
	v_fma_mixlo_f16 v0, v0, v42, 0 op_sel_hi:[0,1,0]
	v_fma_mixlo_f16 v1, v1, v34, 0 op_sel_hi:[0,1,0]
	;; [unrolled: 1-line block ×5, first 2 shown]
	v_add_f16_e32 v50, v15, v0
	v_add_f16_e32 v31, v8, v1
	;; [unrolled: 1-line block ×5, first 2 shown]
	s_cbranch_scc1 .LBB26_14
.LBB26_12:                              ; =>This Inner Loop Header: Depth=1
	s_cmp_lg_u32 s15, s4
	s_cbranch_scc1 .LBB26_11
; %bb.13:                               ;   in Loop: Header=BB26_12 Depth=1
	s_add_i32 s18, s18, 1
	s_add_i32 s4, s4, s14
	s_mul_i32 s5, s18, s16
	s_delay_alu instid0(SALU_CYCLE_1) | instskip(SKIP_2) | instid1(SALU_CYCLE_1)
	s_ashr_i32 s17, s5, 31
	v_add_nc_u32_e32 v0, s5, v32
	s_lshr_b32 s17, s17, 30
	s_add_i32 s5, s5, s17
	s_delay_alu instid0(VALU_DEP_1) | instskip(SKIP_1) | instid1(SALU_CYCLE_1)
	v_ashrrev_i32_e32 v1, 31, v0
	s_ashr_i32 s5, s5, 2
	v_add_nc_u32_e32 v2, s5, v38
	s_delay_alu instid0(VALU_DEP_2) | instskip(NEXT) | instid1(VALU_DEP_2)
	v_lshlrev_b64 v[0:1], 1, v[0:1]
	v_ashrrev_i32_e32 v3, 31, v2
	s_delay_alu instid0(VALU_DEP_2) | instskip(NEXT) | instid1(VALU_DEP_2)
	v_add_co_u32 v0, vcc_lo, s8, v0
	v_lshlrev_b64 v[2:3], 2, v[2:3]
	s_delay_alu instid0(VALU_DEP_4) | instskip(NEXT) | instid1(VALU_DEP_2)
	v_add_co_ci_u32_e32 v1, vcc_lo, s9, v1, vcc_lo
	v_add_co_u32 v2, vcc_lo, s6, v2
	s_delay_alu instid0(VALU_DEP_3)
	v_add_co_ci_u32_e32 v3, vcc_lo, s7, v3, vcc_lo
	global_load_b64 v[34:35], v[0:1], off
	global_load_b32 v0, v[2:3], off
	s_waitcnt vmcnt(1)
	v_lshrrev_b32_e32 v39, 16, v34
	s_waitcnt vmcnt(0)
	v_and_b32_e32 v40, 0xff, v0
	v_bfe_u32 v41, v0, 8, 8
	v_bfe_u32 v43, v0, 16, 8
	v_lshrrev_b32_e32 v44, 24, v0
	v_lshrrev_b32_e32 v42, 16, v35
	s_branch .LBB26_11
.LBB26_14:
	v_mad_u64_u32 v[0:1], null, s12, s16, v[32:33]
	v_perm_b32 v5, v52, v53, 0x5040100
	s_mov_b32 s0, 0
	s_delay_alu instid0(VALU_DEP_2) | instskip(NEXT) | instid1(VALU_DEP_1)
	v_ashrrev_i32_e32 v1, 31, v0
	v_lshlrev_b64 v[1:2], 1, v[0:1]
	s_delay_alu instid0(VALU_DEP_1) | instskip(NEXT) | instid1(VALU_DEP_2)
	v_add_co_u32 v1, vcc_lo, s10, v1
	v_add_co_ci_u32_e32 v2, vcc_lo, s11, v2, vcc_lo
	global_load_b32 v4, v[1:2], off
.LBB26_15:                              ; =>This Inner Loop Header: Depth=1
	s_waitcnt vmcnt(0)
	v_pk_add_f16 v3, v5, v4
	global_atomic_cmpswap_b32 v3, v[1:2], v[3:4], off glc
	s_waitcnt vmcnt(0)
	v_cmp_eq_u32_e32 vcc_lo, v4, v3
	v_mov_b32_e32 v4, v3
	s_or_b32 s0, vcc_lo, s0
	s_delay_alu instid0(SALU_CYCLE_1)
	s_and_not1_b32 exec_lo, exec_lo, s0
	s_cbranch_execnz .LBB26_15
; %bb.16:
	s_or_b32 exec_lo, exec_lo, s0
	global_load_b32 v4, v[1:2], off offset:4
	v_perm_b32 v5, v54, v55, 0x5040100
	s_mov_b32 s0, 0
.LBB26_17:                              ; =>This Inner Loop Header: Depth=1
	s_waitcnt vmcnt(0)
	s_delay_alu instid0(VALU_DEP_1)
	v_pk_add_f16 v3, v5, v4
	global_atomic_cmpswap_b32 v3, v[1:2], v[3:4], off offset:4 glc
	s_waitcnt vmcnt(0)
	v_cmp_eq_u32_e32 vcc_lo, v4, v3
	v_mov_b32_e32 v4, v3
	s_or_b32 s0, vcc_lo, s0
	s_delay_alu instid0(SALU_CYCLE_1)
	s_and_not1_b32 exec_lo, exec_lo, s0
	s_cbranch_execnz .LBB26_17
; %bb.18:
	s_or_b32 exec_lo, exec_lo, s0
	v_add_nc_u32_e32 v0, s16, v0
	v_perm_b32 v5, v28, v51, 0x5040100
	s_mov_b32 s0, 0
	s_delay_alu instid0(VALU_DEP_2) | instskip(NEXT) | instid1(VALU_DEP_1)
	v_ashrrev_i32_e32 v1, 31, v0
	v_lshlrev_b64 v[1:2], 1, v[0:1]
	s_delay_alu instid0(VALU_DEP_1) | instskip(NEXT) | instid1(VALU_DEP_2)
	v_add_co_u32 v1, vcc_lo, s10, v1
	v_add_co_ci_u32_e32 v2, vcc_lo, s11, v2, vcc_lo
	global_load_b32 v4, v[1:2], off
.LBB26_19:                              ; =>This Inner Loop Header: Depth=1
	s_waitcnt vmcnt(0)
	v_pk_add_f16 v3, v5, v4
	global_atomic_cmpswap_b32 v3, v[1:2], v[3:4], off glc
	s_waitcnt vmcnt(0)
	v_cmp_eq_u32_e32 vcc_lo, v4, v3
	v_mov_b32_e32 v4, v3
	s_or_b32 s0, vcc_lo, s0
	s_delay_alu instid0(SALU_CYCLE_1)
	s_and_not1_b32 exec_lo, exec_lo, s0
	s_cbranch_execnz .LBB26_19
; %bb.20:
	s_or_b32 exec_lo, exec_lo, s0
	global_load_b32 v4, v[1:2], off offset:4
	v_perm_b32 v5, v50, v26, 0x5040100
	s_mov_b32 s0, 0
.LBB26_21:                              ; =>This Inner Loop Header: Depth=1
	s_waitcnt vmcnt(0)
	s_delay_alu instid0(VALU_DEP_1)
	v_pk_add_f16 v3, v5, v4
	global_atomic_cmpswap_b32 v3, v[1:2], v[3:4], off offset:4 glc
	s_waitcnt vmcnt(0)
	v_cmp_eq_u32_e32 vcc_lo, v4, v3
	v_mov_b32_e32 v4, v3
	s_or_b32 s0, vcc_lo, s0
	s_delay_alu instid0(SALU_CYCLE_1)
	s_and_not1_b32 exec_lo, exec_lo, s0
	s_cbranch_execnz .LBB26_21
; %bb.22:
	s_or_b32 exec_lo, exec_lo, s0
	v_add_nc_u32_e32 v0, s16, v0
	v_perm_b32 v4, v30, v31, 0x5040100
	s_mov_b32 s0, 0
	s_delay_alu instid0(VALU_DEP_2) | instskip(NEXT) | instid1(VALU_DEP_1)
	v_ashrrev_i32_e32 v1, 31, v0
	v_lshlrev_b64 v[0:1], 1, v[0:1]
	s_delay_alu instid0(VALU_DEP_1) | instskip(NEXT) | instid1(VALU_DEP_2)
	v_add_co_u32 v0, vcc_lo, s10, v0
	v_add_co_ci_u32_e32 v1, vcc_lo, s11, v1, vcc_lo
	global_load_b32 v3, v[0:1], off
.LBB26_23:                              ; =>This Inner Loop Header: Depth=1
	s_waitcnt vmcnt(0)
	v_pk_add_f16 v2, v4, v3
	global_atomic_cmpswap_b32 v2, v[0:1], v[2:3], off glc
	s_waitcnt vmcnt(0)
	v_cmp_eq_u32_e32 vcc_lo, v3, v2
	v_mov_b32_e32 v3, v2
	s_or_b32 s0, vcc_lo, s0
	s_delay_alu instid0(SALU_CYCLE_1)
	s_and_not1_b32 exec_lo, exec_lo, s0
	s_cbranch_execnz .LBB26_23
; %bb.24:
	s_or_b32 exec_lo, exec_lo, s0
	global_load_b32 v3, v[0:1], off offset:4
	v_perm_b32 v4, v29, v27, 0x5040100
	s_mov_b32 s0, 0
.LBB26_25:                              ; =>This Inner Loop Header: Depth=1
	s_waitcnt vmcnt(0)
	s_delay_alu instid0(VALU_DEP_1)
	v_pk_add_f16 v2, v4, v3
	global_atomic_cmpswap_b32 v2, v[0:1], v[2:3], off offset:4 glc
	s_waitcnt vmcnt(0)
	v_cmp_eq_u32_e32 vcc_lo, v3, v2
	v_mov_b32_e32 v3, v2
	s_or_b32 s0, vcc_lo, s0
	s_delay_alu instid0(SALU_CYCLE_1)
	s_and_not1_b32 exec_lo, exec_lo, s0
	s_cbranch_execnz .LBB26_25
.LBB26_26:
	s_endpgm
	.section	.rodata,"a",@progbits
	.p2align	6, 0x0
	.amdhsa_kernel _ZN4vllm4gptq33gemm_half_q_half_gptq_8bit_kernelILb1ELi3EEEvPK6__halfPKjS6_S4_PS2_iiiibPKi
		.amdhsa_group_segment_fixed_size 768
		.amdhsa_private_segment_fixed_size 0
		.amdhsa_kernarg_size 72
		.amdhsa_user_sgpr_count 13
		.amdhsa_user_sgpr_dispatch_ptr 0
		.amdhsa_user_sgpr_queue_ptr 0
		.amdhsa_user_sgpr_kernarg_segment_ptr 1
		.amdhsa_user_sgpr_dispatch_id 0
		.amdhsa_user_sgpr_private_segment_size 0
		.amdhsa_wavefront_size32 1
		.amdhsa_uses_dynamic_stack 0
		.amdhsa_enable_private_segment 0
		.amdhsa_system_sgpr_workgroup_id_x 1
		.amdhsa_system_sgpr_workgroup_id_y 1
		.amdhsa_system_sgpr_workgroup_id_z 1
		.amdhsa_system_sgpr_workgroup_info 0
		.amdhsa_system_vgpr_workitem_id 0
		.amdhsa_next_free_vgpr 101
		.amdhsa_next_free_sgpr 24
		.amdhsa_reserve_vcc 1
		.amdhsa_float_round_mode_32 0
		.amdhsa_float_round_mode_16_64 0
		.amdhsa_float_denorm_mode_32 3
		.amdhsa_float_denorm_mode_16_64 3
		.amdhsa_dx10_clamp 1
		.amdhsa_ieee_mode 1
		.amdhsa_fp16_overflow 0
		.amdhsa_workgroup_processor_mode 1
		.amdhsa_memory_ordered 1
		.amdhsa_forward_progress 0
		.amdhsa_shared_vgpr_count 0
		.amdhsa_exception_fp_ieee_invalid_op 0
		.amdhsa_exception_fp_denorm_src 0
		.amdhsa_exception_fp_ieee_div_zero 0
		.amdhsa_exception_fp_ieee_overflow 0
		.amdhsa_exception_fp_ieee_underflow 0
		.amdhsa_exception_fp_ieee_inexact 0
		.amdhsa_exception_int_div_zero 0
	.end_amdhsa_kernel
	.section	.text._ZN4vllm4gptq33gemm_half_q_half_gptq_8bit_kernelILb1ELi3EEEvPK6__halfPKjS6_S4_PS2_iiiibPKi,"axG",@progbits,_ZN4vllm4gptq33gemm_half_q_half_gptq_8bit_kernelILb1ELi3EEEvPK6__halfPKjS6_S4_PS2_iiiibPKi,comdat
.Lfunc_end26:
	.size	_ZN4vllm4gptq33gemm_half_q_half_gptq_8bit_kernelILb1ELi3EEEvPK6__halfPKjS6_S4_PS2_iiiibPKi, .Lfunc_end26-_ZN4vllm4gptq33gemm_half_q_half_gptq_8bit_kernelILb1ELi3EEEvPK6__halfPKjS6_S4_PS2_iiiibPKi
                                        ; -- End function
	.section	.AMDGPU.csdata,"",@progbits
; Kernel info:
; codeLenInByte = 8312
; NumSgprs: 26
; NumVgprs: 101
; ScratchSize: 0
; MemoryBound: 0
; FloatMode: 240
; IeeeMode: 1
; LDSByteSize: 768 bytes/workgroup (compile time only)
; SGPRBlocks: 3
; VGPRBlocks: 12
; NumSGPRsForWavesPerEU: 26
; NumVGPRsForWavesPerEU: 101
; Occupancy: 12
; WaveLimiterHint : 0
; COMPUTE_PGM_RSRC2:SCRATCH_EN: 0
; COMPUTE_PGM_RSRC2:USER_SGPR: 13
; COMPUTE_PGM_RSRC2:TRAP_HANDLER: 0
; COMPUTE_PGM_RSRC2:TGID_X_EN: 1
; COMPUTE_PGM_RSRC2:TGID_Y_EN: 1
; COMPUTE_PGM_RSRC2:TGID_Z_EN: 1
; COMPUTE_PGM_RSRC2:TIDIG_COMP_CNT: 0
	.section	.text._ZN4vllm4gptq33gemm_half_q_half_gptq_2bit_kernelILb1ELi4EEEvPK6__halfPKjS6_S4_PS2_iiiibPKi,"axG",@progbits,_ZN4vllm4gptq33gemm_half_q_half_gptq_2bit_kernelILb1ELi4EEEvPK6__halfPKjS6_S4_PS2_iiiibPKi,comdat
	.protected	_ZN4vllm4gptq33gemm_half_q_half_gptq_2bit_kernelILb1ELi4EEEvPK6__halfPKjS6_S4_PS2_iiiibPKi ; -- Begin function _ZN4vllm4gptq33gemm_half_q_half_gptq_2bit_kernelILb1ELi4EEEvPK6__halfPKjS6_S4_PS2_iiiibPKi
	.globl	_ZN4vllm4gptq33gemm_half_q_half_gptq_2bit_kernelILb1ELi4EEEvPK6__halfPKjS6_S4_PS2_iiiibPKi
	.p2align	8
	.type	_ZN4vllm4gptq33gemm_half_q_half_gptq_2bit_kernelILb1ELi4EEEvPK6__halfPKjS6_S4_PS2_iiiibPKi,@function
_ZN4vllm4gptq33gemm_half_q_half_gptq_2bit_kernelILb1ELi4EEEvPK6__halfPKjS6_S4_PS2_iiiibPKi: ; @_ZN4vllm4gptq33gemm_half_q_half_gptq_2bit_kernelILb1ELi4EEEvPK6__halfPKjS6_S4_PS2_iiiibPKi
; %bb.0:
	s_load_b128 s[16:19], s[0:1], 0x2c
	s_lshl_b32 s15, s15, 7
	s_load_b256 s[4:11], s[0:1], 0x8
	s_add_i32 s2, s15, 0x80
	s_lshl_b32 s12, s14, 2
	v_cvt_f64_u32_e32 v[1:2], s2
	s_mov_b32 s14, exec_lo
	s_waitcnt lgkmcnt(0)
	v_cvt_f64_i32_e32 v[3:4], s17
	s_delay_alu instid0(VALU_DEP_1) | instskip(NEXT) | instid1(VALU_DEP_1)
	v_min_f64 v[1:2], v[1:2], v[3:4]
	v_cvt_i32_f64_e32 v2, v[1:2]
	v_add_nc_u32_e32 v1, s15, v0
	s_delay_alu instid0(VALU_DEP_2) | instskip(NEXT) | instid1(VALU_DEP_2)
	v_readfirstlane_b32 s20, v2
	v_cmpx_lt_u32_e64 v1, v2
	s_cbranch_execz .LBB27_10
; %bb.1:
	s_clause 0x1
	s_load_b64 s[2:3], s[0:1], 0x40
	s_load_b64 s[0:1], s[0:1], 0x0
	v_mov_b32_e32 v2, 0
	s_delay_alu instid0(VALU_DEP_1) | instskip(SKIP_2) | instid1(VALU_DEP_2)
	v_lshlrev_b64 v[3:4], 2, v[1:2]
	v_dual_mov_b32 v6, v2 :: v_dual_mov_b32 v5, v1
	s_waitcnt lgkmcnt(0)
	v_add_co_u32 v3, vcc_lo, s2, v3
	s_delay_alu instid0(VALU_DEP_3)
	v_add_co_ci_u32_e32 v4, vcc_lo, s3, v4, vcc_lo
	s_cmp_lg_u64 s[2:3], 0
	s_cselect_b32 s21, -1, 0
	s_cmp_eq_u64 s[2:3], 0
	s_cbranch_scc1 .LBB27_3
; %bb.2:
	global_load_b32 v5, v[3:4], off
	s_waitcnt vmcnt(0)
	v_ashrrev_i32_e32 v6, 31, v5
.LBB27_3:
	s_mul_i32 s2, s12, s17
	s_delay_alu instid0(VALU_DEP_1)
	v_lshlrev_b64 v[5:6], 1, v[5:6]
	s_ashr_i32 s3, s2, 31
	v_lshlrev_b32_e32 v7, 1, v0
	s_lshl_b64 s[22:23], s[2:3], 1
	v_cndmask_b32_e64 v8, 0, 1, s21
	s_add_u32 s3, s0, s22
	s_addc_u32 s22, s1, s23
	v_add_co_u32 v5, vcc_lo, s3, v5
	v_add_co_ci_u32_e32 v6, vcc_lo, s22, v6, vcc_lo
	s_and_not1_b32 vcc_lo, exec_lo, s21
	global_load_u16 v9, v[5:6], off
	v_dual_mov_b32 v6, v2 :: v_dual_mov_b32 v5, v1
	s_waitcnt vmcnt(0)
	ds_store_b16 v7, v9
	s_cbranch_vccnz .LBB27_5
; %bb.4:
	global_load_b32 v5, v[3:4], off
	s_waitcnt vmcnt(0)
	v_ashrrev_i32_e32 v6, 31, v5
.LBB27_5:
	s_add_i32 s2, s2, s17
	s_delay_alu instid0(VALU_DEP_1) | instskip(SKIP_1) | instid1(SALU_CYCLE_1)
	v_lshlrev_b64 v[5:6], 1, v[5:6]
	s_ashr_i32 s3, s2, 31
	s_lshl_b64 s[22:23], s[2:3], 1
	s_delay_alu instid0(SALU_CYCLE_1) | instskip(SKIP_1) | instid1(VALU_DEP_1)
	s_add_u32 s3, s0, s22
	s_addc_u32 s21, s1, s23
	v_add_co_u32 v5, vcc_lo, s3, v5
	v_add_co_ci_u32_e32 v6, vcc_lo, s21, v6, vcc_lo
	v_cmp_ne_u32_e32 vcc_lo, 1, v8
	global_load_u16 v9, v[5:6], off
	v_dual_mov_b32 v6, v2 :: v_dual_mov_b32 v5, v1
	s_waitcnt vmcnt(0)
	ds_store_b16 v7, v9 offset:256
	s_cbranch_vccnz .LBB27_7
; %bb.6:
	global_load_b32 v5, v[3:4], off
	s_waitcnt vmcnt(0)
	v_ashrrev_i32_e32 v6, 31, v5
.LBB27_7:
	s_add_i32 s2, s2, s17
	s_delay_alu instid0(VALU_DEP_1) | instskip(SKIP_1) | instid1(SALU_CYCLE_1)
	v_lshlrev_b64 v[5:6], 1, v[5:6]
	s_ashr_i32 s3, s2, 31
	s_lshl_b64 s[22:23], s[2:3], 1
	s_delay_alu instid0(SALU_CYCLE_1) | instskip(SKIP_1) | instid1(VALU_DEP_1)
	s_add_u32 s3, s0, s22
	s_addc_u32 s21, s1, s23
	v_add_co_u32 v5, vcc_lo, s3, v5
	v_add_co_ci_u32_e32 v6, vcc_lo, s21, v6, vcc_lo
	v_cmp_ne_u32_e32 vcc_lo, 1, v8
	global_load_u16 v5, v[5:6], off
	s_waitcnt vmcnt(0)
	ds_store_b16 v7, v5 offset:512
	s_cbranch_vccnz .LBB27_9
; %bb.8:
	global_load_b32 v1, v[3:4], off
	s_waitcnt vmcnt(0)
	v_ashrrev_i32_e32 v2, 31, v1
.LBB27_9:
	s_add_i32 s2, s2, s17
	s_delay_alu instid0(VALU_DEP_1) | instskip(SKIP_1) | instid1(SALU_CYCLE_1)
	v_lshlrev_b64 v[1:2], 1, v[1:2]
	s_ashr_i32 s3, s2, 31
	s_lshl_b64 s[2:3], s[2:3], 1
	s_delay_alu instid0(SALU_CYCLE_1) | instskip(SKIP_1) | instid1(VALU_DEP_1)
	s_add_u32 s0, s0, s2
	s_addc_u32 s1, s1, s3
	v_add_co_u32 v1, vcc_lo, s0, v1
	v_add_co_ci_u32_e32 v2, vcc_lo, s1, v2, vcc_lo
	global_load_u16 v1, v[1:2], off
	s_waitcnt vmcnt(0)
	ds_store_b16 v7, v1 offset:768
.LBB27_10:
	s_or_b32 exec_lo, exec_lo, s14
	v_lshlrev_b32_e32 v1, 2, v0
	s_mov_b32 s0, exec_lo
	s_delay_alu instid0(VALU_DEP_1) | instskip(NEXT) | instid1(VALU_DEP_1)
	v_lshl_add_u32 v1, s13, 9, v1
	v_cmpx_gt_i32_e64 s16, v1
	s_cbranch_execz .LBB27_32
; %bb.11:
	s_abs_i32 s0, s18
	v_dual_mov_b32 v13, 0 :: v_dual_mov_b32 v12, 0
	v_cvt_f32_u32_e32 v2, s0
	v_dual_mov_b32 v11, 0 :: v_dual_mov_b32 v10, 0
	v_dual_mov_b32 v9, 0 :: v_dual_mov_b32 v8, 0
	s_delay_alu instid0(VALU_DEP_3)
	v_rcp_iflag_f32_e32 v2, v2
	v_mov_b32_e32 v7, 0
	s_cmp_ge_i32 s15, s20
	s_mov_b32 s2, 0
	s_waitcnt lgkmcnt(0)
	s_barrier
	buffer_gl0_inv
	v_dual_mov_b32 v15, 0 :: v_dual_mul_f32 v2, 0x4f7ffffe, v2
	s_delay_alu instid0(VALU_DEP_1) | instskip(NEXT) | instid1(VALU_DEP_1)
	v_cvt_u32_f32_e32 v2, v2
	v_readfirstlane_b32 s1, v2
	s_cbranch_scc1 .LBB27_16
; %bb.12:
	s_sub_i32 s3, 0, s0
	s_abs_i32 s13, s17
	s_delay_alu instid0(VALU_DEP_1)
	s_mul_i32 s3, s3, s1
	s_ashr_i32 s14, s18, 31
	s_mul_hi_u32 s3, s1, s3
	v_dual_mov_b32 v7, 0 :: v_dual_lshlrev_b32 v16, 3, v0
	s_add_i32 s1, s1, s3
	s_ashr_i32 s3, s17, 31
	s_mul_hi_u32 s1, s13, s1
	s_xor_b32 s3, s3, s14
	s_mul_i32 s17, s1, s0
	s_add_i32 s14, s1, 1
	s_sub_i32 s13, s13, s17
	v_dual_mov_b32 v11, 0 :: v_dual_and_b32 v0, 24, v16
	s_sub_i32 s17, s13, s0
	s_cmp_ge_u32 s13, s0
	v_dual_mov_b32 v9, 0 :: v_dual_mov_b32 v12, 0
	s_cselect_b32 s1, s14, s1
	s_cselect_b32 s13, s17, s13
	s_add_i32 s14, s1, 1
	s_cmp_ge_u32 s13, s0
	v_mov_b32_e32 v13, 0
	s_cselect_b32 s0, s14, s1
	v_mov_b32_e32 v10, 0
	s_xor_b32 s0, s0, s3
	v_mov_b32_e32 v8, 0
	s_sub_i32 s3, s0, s3
	s_bitcmp1_b32 s19, 0
	v_cvt_f32_u32_e32 v2, s3
	s_cselect_b32 s1, -1, 0
	s_sub_i32 s13, 0, s3
	s_xor_b32 s1, s1, -1
	s_delay_alu instid0(VALU_DEP_1) | instskip(SKIP_2) | instid1(VALU_DEP_1)
	v_rcp_iflag_f32_e32 v2, v2
	s_waitcnt_depctr 0xfff
	v_mul_f32_e32 v2, 0x4f7ffffe, v2
	v_cvt_u32_f32_e32 v2, v2
	s_delay_alu instid0(VALU_DEP_1) | instskip(SKIP_1) | instid1(VALU_DEP_2)
	v_readfirstlane_b32 s0, v2
	v_ashrrev_i32_e32 v2, 31, v1
	s_mul_i32 s13, s13, s0
	s_delay_alu instid0(VALU_DEP_1) | instskip(SKIP_1) | instid1(SALU_CYCLE_1)
	v_lshrrev_b32_e32 v3, 28, v2
	s_mul_hi_u32 s13, s0, s13
	s_add_i32 s0, s0, s13
	s_delay_alu instid0(VALU_DEP_1) | instskip(SKIP_1) | instid1(SALU_CYCLE_1)
	v_add_nc_u32_e32 v3, v1, v3
	s_mul_hi_u32 s0, s15, s0
	s_mul_i32 s13, s0, s3
	s_add_i32 s14, s0, 1
	s_sub_i32 s13, s15, s13
	v_ashrrev_i32_e32 v14, 4, v3
	s_sub_i32 s17, s13, s3
	s_cmp_ge_u32 s13, s3
	s_cselect_b32 s0, s14, s0
	s_cselect_b32 s13, s17, s13
	s_add_i32 s14, s0, 1
	s_cmp_ge_u32 s13, s3
	s_cselect_b32 s13, s14, s0
	s_add_i32 s18, s3, s15
	s_mul_i32 s0, s13, s16
	s_ashr_i32 s17, s16, 31
	s_ashr_i32 s14, s0, 31
	v_add_nc_u32_e32 v5, s0, v1
	s_lshr_b32 s14, s14, 28
	s_delay_alu instid0(SALU_CYCLE_1)
	s_add_i32 s14, s0, s14
	s_lshr_b32 s0, s15, 4
	s_ashr_i32 s14, s14, 4
	v_ashrrev_i32_e32 v6, 31, v5
	v_add_nc_u32_e32 v3, s14, v14
	s_mul_i32 s0, s0, s16
	s_mov_b32 s14, 0x30003
	s_delay_alu instid0(VALU_DEP_1) | instskip(NEXT) | instid1(VALU_DEP_1)
	v_ashrrev_i32_e32 v4, 31, v3
	v_lshlrev_b64 v[3:4], 2, v[3:4]
	s_delay_alu instid0(VALU_DEP_1) | instskip(NEXT) | instid1(VALU_DEP_2)
	v_add_co_u32 v3, vcc_lo, s6, v3
	v_add_co_ci_u32_e32 v4, vcc_lo, s7, v4, vcc_lo
	global_load_b32 v15, v[3:4], off
	v_lshlrev_b64 v[3:4], 1, v[5:6]
	v_lshlrev_b64 v[5:6], 2, v[1:2]
	v_cndmask_b32_e64 v2, 0, 1, s1
	s_ashr_i32 s1, s0, 31
	s_delay_alu instid0(SALU_CYCLE_1) | instskip(NEXT) | instid1(VALU_DEP_3)
	s_lshl_b64 s[0:1], s[0:1], 2
	v_add_co_u32 v3, vcc_lo, s8, v3
	v_add_co_ci_u32_e32 v4, vcc_lo, s9, v4, vcc_lo
	s_add_u32 s4, s4, s0
	s_addc_u32 s5, s5, s1
	v_add_co_u32 v5, vcc_lo, s4, v5
	global_load_b64 v[3:4], v[3:4], off
	v_add_co_ci_u32_e32 v6, vcc_lo, s5, v6, vcc_lo
	v_add_co_u32 v5, vcc_lo, v5, 8
	s_lshl_b64 s[0:1], s[16:17], 2
	s_delay_alu instid0(VALU_DEP_2)
	v_add_co_ci_u32_e32 v6, vcc_lo, 0, v6, vcc_lo
	s_mov_b32 s4, 0xc000c
	s_mov_b32 s5, 0x300030
	;; [unrolled: 1-line block ×3, first 2 shown]
	s_waitcnt vmcnt(1)
	v_lshrrev_b32_e32 v19, v16, v15
	v_bfe_u32 v16, v15, v0, 2
	v_mov_b32_e32 v15, 0
	s_delay_alu instid0(VALU_DEP_3)
	v_bfe_u32 v17, v19, 2, 2
	v_bfe_u32 v18, v19, 4, 2
	;; [unrolled: 1-line block ×3, first 2 shown]
	s_branch .LBB27_14
.LBB27_13:                              ;   in Loop: Header=BB27_14 Depth=1
	global_load_b128 v[20:23], v[5:6], off offset:-8
	v_add_nc_u32_e32 v24, v16, v2
	v_dual_mov_b32 v54, s2 :: v_dual_add_nc_u32 v25, v17, v2
	v_add_nc_u32_e32 v26, v18, v2
	v_add_nc_u32_e32 v27, v19, v2
	s_delay_alu instid0(VALU_DEP_4) | instskip(NEXT) | instid1(VALU_DEP_4)
	v_cvt_f32_i32_e32 v48, v24
	v_cvt_f32_i32_e32 v58, v25
	v_or_b32_e32 v56, 0xffffe400, v24
	v_cvt_f32_i32_e32 v60, v26
	v_cvt_f32_i32_e32 v62, v27
	v_cvt_f16_f32_e32 v63, v48
	v_or_b32_e32 v57, 0xffffe400, v25
	v_or_b32_e32 v59, 0xffffe400, v26
	;; [unrolled: 1-line block ×3, first 2 shown]
	ds_load_2addr_b32 v[24:25], v54 offset1:1
	ds_load_2addr_b32 v[26:27], v54 offset0:2 offset1:3
	ds_load_2addr_b32 v[28:29], v54 offset0:4 offset1:5
	ds_load_2addr_b32 v[30:31], v54 offset0:6 offset1:7
	ds_load_2addr_b32 v[32:33], v54 offset0:64 offset1:65
	ds_load_2addr_b32 v[34:35], v54 offset0:66 offset1:67
	ds_load_2addr_b32 v[36:37], v54 offset0:68 offset1:69
	ds_load_2addr_b32 v[38:39], v54 offset0:70 offset1:71
	ds_load_2addr_b32 v[40:41], v54 offset0:128 offset1:129
	ds_load_2addr_b32 v[42:43], v54 offset0:130 offset1:131
	ds_load_2addr_b32 v[44:45], v54 offset0:132 offset1:133
	ds_load_2addr_b32 v[46:47], v54 offset0:134 offset1:135
	ds_load_2addr_b32 v[48:49], v54 offset0:192 offset1:193
	ds_load_2addr_b32 v[50:51], v54 offset0:194 offset1:195
	ds_load_2addr_b32 v[52:53], v54 offset0:196 offset1:197
	ds_load_2addr_b32 v[54:55], v54 offset0:198 offset1:199
	v_cvt_f16_f32_e32 v58, v58
	v_cvt_f16_f32_e32 v60, v60
	v_cvt_f16_f32_e32 v62, v62
	v_sub_f16_e32 v64, 0xdc00, v63
	v_sub_f16_e32 v65, 0xd400, v63
	;; [unrolled: 1-line block ×12, first 2 shown]
	v_add_co_u32 v5, vcc_lo, v5, s0
	v_add_co_ci_u32_e32 v6, vcc_lo, s1, v6, vcc_lo
	s_add_i32 s15, s15, 16
	s_add_i32 s2, s2, 32
	s_cmp_ge_i32 s15, s20
	s_waitcnt vmcnt(0)
	v_and_or_b32 v72, v20, s14, 0x64006400
	v_and_or_b32 v73, v20, s4, 0x64006400
	v_and_or_b32 v74, v20, s5, 0x64006400
	v_and_or_b32 v75, v20, s17, 0x64006400
	v_lshrrev_b32_e32 v20, 8, v20
	v_and_or_b32 v76, v21, s14, 0x64006400
	v_and_or_b32 v77, v21, s4, 0x64006400
	v_and_or_b32 v78, v21, s5, 0x64006400
	v_and_or_b32 v79, v21, s17, 0x64006400
	v_lshrrev_b32_e32 v21, 8, v21
	v_and_or_b32 v80, v22, s14, 0x64006400
	v_and_or_b32 v81, v22, s4, 0x64006400
	v_and_or_b32 v82, v22, s5, 0x64006400
	v_and_or_b32 v83, v22, s17, 0x64006400
	v_lshrrev_b32_e32 v22, 8, v22
	v_and_or_b32 v84, v23, s14, 0x64006400
	v_and_or_b32 v85, v23, s4, 0x64006400
	v_and_or_b32 v86, v23, s5, 0x64006400
	v_and_or_b32 v87, v23, s17, 0x64006400
	v_lshrrev_b32_e32 v23, 8, v23
	v_and_or_b32 v88, v20, s14, 0x64006400
	v_and_or_b32 v89, v20, s4, 0x64006400
	v_and_or_b32 v90, v20, s5, 0x64006400
	v_and_or_b32 v20, v20, s17, 0x64006400
	v_and_or_b32 v91, v21, s14, 0x64006400
	v_pk_add_f16 v72, v56, v72 op_sel_hi:[0,1]
	v_pk_fma_f16 v73, 0x3400, v73, v64 op_sel_hi:[0,1,0]
	v_pk_fma_f16 v74, 0x2c00, v74, v65 op_sel_hi:[0,1,0]
	;; [unrolled: 1-line block ×3, first 2 shown]
	v_and_or_b32 v92, v21, s4, 0x64006400
	v_and_or_b32 v93, v21, s5, 0x64006400
	;; [unrolled: 1-line block ×3, first 2 shown]
	v_pk_add_f16 v76, v57, v76 op_sel_hi:[0,1]
	v_and_or_b32 v94, v22, s14, 0x64006400
	v_pk_add_f16 v56, v56, v88 op_sel_hi:[0,1]
	v_and_or_b32 v88, v22, s4, 0x64006400
	v_pk_fma_f16 v64, 0x3400, v89, v64 op_sel_hi:[0,1,0]
	v_and_or_b32 v89, v22, s5, 0x64006400
	v_and_or_b32 v22, v22, s17, 0x64006400
	v_pk_add_f16 v80, v59, v80 op_sel_hi:[0,1]
	v_pk_fma_f16 v65, 0x2c00, v90, v65 op_sel_hi:[0,1,0]
	v_and_or_b32 v90, v23, s14, 0x64006400
	v_pk_fma_f16 v20, 0x2400, v20, v63 op_sel_hi:[0,1,0]
	v_and_or_b32 v63, v23, s4, 0x64006400
	v_pk_add_f16 v57, v57, v91 op_sel_hi:[0,1]
	v_and_or_b32 v91, v23, s5, 0x64006400
	v_and_or_b32 v23, v23, s17, 0x64006400
	v_pk_add_f16 v84, v61, v84 op_sel_hi:[0,1]
	v_pk_fma_f16 v77, 0x3400, v77, v66 op_sel_hi:[0,1,0]
	v_pk_fma_f16 v79, 0x2400, v79, v58 op_sel_hi:[0,1,0]
	;; [unrolled: 1-line block ×8, first 2 shown]
	v_pk_add_f16 v58, v59, v94 op_sel_hi:[0,1]
	v_pk_fma_f16 v59, 0x3400, v88, v68 op_sel_hi:[0,1,0]
	v_pk_fma_f16 v68, 0x2c00, v89, v69 op_sel_hi:[0,1,0]
	;; [unrolled: 1-line block ×3, first 2 shown]
	v_pk_add_f16 v60, v61, v90 op_sel_hi:[0,1]
	v_pk_fma_f16 v61, 0x3400, v63, v70 op_sel_hi:[0,1,0]
	v_pk_fma_f16 v23, 0x2400, v23, v62 op_sel_hi:[0,1,0]
	s_waitcnt lgkmcnt(15)
	v_pk_fma_f16 v62, v72, v24, 0
	v_pk_fma_f16 v69, v76, v24, 0
	;; [unrolled: 1-line block ×4, first 2 shown]
	v_pk_fma_f16 v86, 0x2c00, v86, v71 op_sel_hi:[0,1,0]
	v_pk_fma_f16 v66, 0x3400, v92, v66 op_sel_hi:[0,1,0]
	;; [unrolled: 1-line block ×3, first 2 shown]
	s_waitcnt lgkmcnt(11)
	v_pk_fma_f16 v71, v72, v32, 0
	v_pk_fma_f16 v88, v76, v32, 0
	v_pk_fma_f16 v89, v80, v32, 0
	v_pk_fma_f16 v32, v84, v32, 0
	s_waitcnt lgkmcnt(7)
	v_pk_fma_f16 v90, v72, v40, 0
	v_pk_fma_f16 v91, v76, v40, 0
	;; [unrolled: 1-line block ×8, first 2 shown]
	s_waitcnt lgkmcnt(3)
	v_pk_fma_f16 v40, v72, v48, 0
	v_pk_fma_f16 v72, v76, v48, 0
	;; [unrolled: 1-line block ×4, first 2 shown]
	v_pk_fma_f16 v78, 0x2c00, v78, v67 op_sel_hi:[0,1,0]
	v_pk_fma_f16 v71, v73, v33, v71
	v_pk_fma_f16 v80, v77, v33, v88
	;; [unrolled: 1-line block ×24, first 2 shown]
	s_waitcnt lgkmcnt(2)
	v_pk_fma_f16 v40, v74, v50, v40
	v_pk_fma_f16 v41, v78, v50, v41
	;; [unrolled: 1-line block ×32, first 2 shown]
	s_waitcnt lgkmcnt(1)
	v_pk_fma_f16 v36, v56, v52, v40
	v_pk_fma_f16 v40, v57, v52, v41
	;; [unrolled: 1-line block ×4, first 2 shown]
	v_pk_fma_f16 v67, 0x2c00, v93, v67 op_sel_hi:[0,1,0]
	v_pk_fma_f16 v43, v64, v29, v48
	v_pk_fma_f16 v44, v66, v29, v49
	v_pk_fma_f16 v48, v59, v29, v50
	v_pk_fma_f16 v24, v61, v29, v24
	v_pk_fma_f16 v26, v64, v37, v26
	v_pk_fma_f16 v27, v66, v37, v27
	v_pk_fma_f16 v28, v59, v37, v28
	v_pk_fma_f16 v29, v61, v37, v32
	v_pk_fma_f16 v32, v64, v45, v33
	v_pk_fma_f16 v33, v66, v45, v34
	v_pk_fma_f16 v34, v59, v45, v35
	v_pk_fma_f16 v25, v61, v45, v25
	v_pk_fma_f16 v35, v64, v53, v36
	v_pk_fma_f16 v36, v66, v53, v40
	v_pk_fma_f16 v37, v59, v53, v41
	v_pk_fma_f16 v40, v61, v53, v42
	v_pk_fma_f16 v41, v65, v30, v43
	v_pk_fma_f16 v42, v67, v30, v44
	v_pk_fma_f16 v43, v68, v30, v48
	v_pk_fma_f16 v24, v63, v30, v24
	v_pk_fma_f16 v26, v65, v38, v26
	v_pk_fma_f16 v27, v67, v38, v27
	v_pk_fma_f16 v28, v68, v38, v28
	v_pk_fma_f16 v29, v63, v38, v29
	v_pk_fma_f16 v30, v65, v46, v32
	v_pk_fma_f16 v32, v67, v46, v33
	v_pk_fma_f16 v33, v68, v46, v34
	v_pk_fma_f16 v25, v63, v46, v25
	s_waitcnt lgkmcnt(0)
	v_pk_fma_f16 v34, v65, v54, v35
	v_pk_fma_f16 v35, v67, v54, v36
	;; [unrolled: 1-line block ×20, first 2 shown]
	v_pack_b32_f16 v33, v38, v40
	v_perm_b32 v34, v40, v38, 0x7060302
	v_pack_b32_f16 v35, v41, v24
	v_perm_b32 v24, v24, v41, 0x7060302
	;; [unrolled: 2-line block ×8, first 2 shown]
	v_pk_add_f16 v23, v33, v34
	v_pk_add_f16 v24, v35, v24
	;; [unrolled: 1-line block ×8, first 2 shown]
	v_pk_fma_f16 v15, v23, v3, v15
	v_pk_fma_f16 v13, v24, v4, v13
	;; [unrolled: 1-line block ×8, first 2 shown]
	s_cbranch_scc1 .LBB27_16
.LBB27_14:                              ; =>This Inner Loop Header: Depth=1
	s_cmp_lg_u32 s15, s18
	s_cbranch_scc1 .LBB27_13
; %bb.15:                               ;   in Loop: Header=BB27_14 Depth=1
	s_add_i32 s13, s13, 1
	s_add_i32 s18, s18, s3
	s_mul_i32 s19, s13, s16
	s_delay_alu instid0(SALU_CYCLE_1) | instskip(SKIP_2) | instid1(SALU_CYCLE_1)
	s_ashr_i32 s21, s19, 31
	v_add_nc_u32_e32 v16, s19, v1
	s_lshr_b32 s21, s21, 28
	s_add_i32 s21, s19, s21
	s_delay_alu instid0(VALU_DEP_1) | instskip(SKIP_3) | instid1(VALU_DEP_2)
	v_ashrrev_i32_e32 v17, 31, v16
	s_ashr_i32 s21, s21, 4
	s_waitcnt vmcnt(0)
	v_add_nc_u32_e32 v3, s21, v14
	v_lshlrev_b64 v[16:17], 1, v[16:17]
	s_delay_alu instid0(VALU_DEP_2) | instskip(NEXT) | instid1(VALU_DEP_1)
	v_ashrrev_i32_e32 v4, 31, v3
	v_lshlrev_b64 v[3:4], 2, v[3:4]
	s_delay_alu instid0(VALU_DEP_1) | instskip(NEXT) | instid1(VALU_DEP_2)
	v_add_co_u32 v3, vcc_lo, s6, v3
	v_add_co_ci_u32_e32 v4, vcc_lo, s7, v4, vcc_lo
	global_load_b32 v18, v[3:4], off
	v_add_co_u32 v3, vcc_lo, s8, v16
	v_add_co_ci_u32_e32 v4, vcc_lo, s9, v17, vcc_lo
	global_load_b64 v[3:4], v[3:4], off
	s_waitcnt vmcnt(1)
	v_lshrrev_b32_e32 v19, v0, v18
	v_bfe_u32 v16, v18, v0, 2
	s_delay_alu instid0(VALU_DEP_2)
	v_bfe_u32 v17, v19, 2, 2
	v_bfe_u32 v18, v19, 4, 2
	;; [unrolled: 1-line block ×3, first 2 shown]
	s_branch .LBB27_13
.LBB27_16:
	v_mad_u64_u32 v[2:3], null, s12, s16, v[1:2]
	s_mov_b32 s0, 0
	s_delay_alu instid0(VALU_DEP_1) | instskip(NEXT) | instid1(VALU_DEP_1)
	v_ashrrev_i32_e32 v3, 31, v2
	v_lshlrev_b64 v[0:1], 1, v[2:3]
	s_delay_alu instid0(VALU_DEP_1) | instskip(NEXT) | instid1(VALU_DEP_2)
	v_add_co_u32 v0, vcc_lo, s10, v0
	v_add_co_ci_u32_e32 v1, vcc_lo, s11, v1, vcc_lo
	global_load_b32 v4, v[0:1], off
.LBB27_17:                              ; =>This Inner Loop Header: Depth=1
	s_waitcnt vmcnt(0)
	v_pk_add_f16 v3, v15, v4
	global_atomic_cmpswap_b32 v3, v[0:1], v[3:4], off glc
	s_waitcnt vmcnt(0)
	v_cmp_eq_u32_e32 vcc_lo, v4, v3
	v_mov_b32_e32 v4, v3
	s_or_b32 s0, vcc_lo, s0
	s_delay_alu instid0(SALU_CYCLE_1)
	s_and_not1_b32 exec_lo, exec_lo, s0
	s_cbranch_execnz .LBB27_17
; %bb.18:
	s_or_b32 exec_lo, exec_lo, s0
	global_load_b32 v4, v[0:1], off offset:4
	s_mov_b32 s0, 0
.LBB27_19:                              ; =>This Inner Loop Header: Depth=1
	s_waitcnt vmcnt(0)
	v_pk_add_f16 v3, v13, v4
	global_atomic_cmpswap_b32 v3, v[0:1], v[3:4], off offset:4 glc
	s_waitcnt vmcnt(0)
	v_cmp_eq_u32_e32 vcc_lo, v4, v3
	v_mov_b32_e32 v4, v3
	s_or_b32 s0, vcc_lo, s0
	s_delay_alu instid0(SALU_CYCLE_1)
	s_and_not1_b32 exec_lo, exec_lo, s0
	s_cbranch_execnz .LBB27_19
; %bb.20:
	s_or_b32 exec_lo, exec_lo, s0
	v_add_nc_u32_e32 v0, s16, v2
	s_mov_b32 s0, 0
	s_delay_alu instid0(VALU_DEP_1) | instskip(NEXT) | instid1(VALU_DEP_1)
	v_ashrrev_i32_e32 v1, 31, v0
	v_lshlrev_b64 v[1:2], 1, v[0:1]
	s_delay_alu instid0(VALU_DEP_1) | instskip(NEXT) | instid1(VALU_DEP_2)
	v_add_co_u32 v1, vcc_lo, s10, v1
	v_add_co_ci_u32_e32 v2, vcc_lo, s11, v2, vcc_lo
	global_load_b32 v4, v[1:2], off
.LBB27_21:                              ; =>This Inner Loop Header: Depth=1
	s_waitcnt vmcnt(0)
	v_pk_add_f16 v3, v12, v4
	global_atomic_cmpswap_b32 v3, v[1:2], v[3:4], off glc
	s_waitcnt vmcnt(0)
	v_cmp_eq_u32_e32 vcc_lo, v4, v3
	v_mov_b32_e32 v4, v3
	s_or_b32 s0, vcc_lo, s0
	s_delay_alu instid0(SALU_CYCLE_1)
	s_and_not1_b32 exec_lo, exec_lo, s0
	s_cbranch_execnz .LBB27_21
; %bb.22:
	s_or_b32 exec_lo, exec_lo, s0
	global_load_b32 v4, v[1:2], off offset:4
	s_mov_b32 s0, 0
.LBB27_23:                              ; =>This Inner Loop Header: Depth=1
	s_waitcnt vmcnt(0)
	v_pk_add_f16 v3, v11, v4
	global_atomic_cmpswap_b32 v3, v[1:2], v[3:4], off offset:4 glc
	s_waitcnt vmcnt(0)
	v_cmp_eq_u32_e32 vcc_lo, v4, v3
	v_mov_b32_e32 v4, v3
	s_or_b32 s0, vcc_lo, s0
	s_delay_alu instid0(SALU_CYCLE_1)
	s_and_not1_b32 exec_lo, exec_lo, s0
	s_cbranch_execnz .LBB27_23
; %bb.24:
	s_or_b32 exec_lo, exec_lo, s0
	v_add_nc_u32_e32 v0, s16, v0
	;; [unrolled: 37-line block ×3, first 2 shown]
	s_mov_b32 s0, 0
	s_delay_alu instid0(VALU_DEP_1) | instskip(NEXT) | instid1(VALU_DEP_1)
	v_ashrrev_i32_e32 v1, 31, v0
	v_lshlrev_b64 v[0:1], 1, v[0:1]
	s_delay_alu instid0(VALU_DEP_1) | instskip(NEXT) | instid1(VALU_DEP_2)
	v_add_co_u32 v0, vcc_lo, s10, v0
	v_add_co_ci_u32_e32 v1, vcc_lo, s11, v1, vcc_lo
	global_load_b32 v3, v[0:1], off
.LBB27_29:                              ; =>This Inner Loop Header: Depth=1
	s_waitcnt vmcnt(0)
	v_pk_add_f16 v2, v8, v3
	global_atomic_cmpswap_b32 v2, v[0:1], v[2:3], off glc
	s_waitcnt vmcnt(0)
	v_cmp_eq_u32_e32 vcc_lo, v3, v2
	v_mov_b32_e32 v3, v2
	s_or_b32 s0, vcc_lo, s0
	s_delay_alu instid0(SALU_CYCLE_1)
	s_and_not1_b32 exec_lo, exec_lo, s0
	s_cbranch_execnz .LBB27_29
; %bb.30:
	s_or_b32 exec_lo, exec_lo, s0
	global_load_b32 v3, v[0:1], off offset:4
	s_mov_b32 s0, 0
.LBB27_31:                              ; =>This Inner Loop Header: Depth=1
	s_waitcnt vmcnt(0)
	v_pk_add_f16 v2, v7, v3
	global_atomic_cmpswap_b32 v2, v[0:1], v[2:3], off offset:4 glc
	s_waitcnt vmcnt(0)
	v_cmp_eq_u32_e32 vcc_lo, v3, v2
	v_mov_b32_e32 v3, v2
	s_or_b32 s0, vcc_lo, s0
	s_delay_alu instid0(SALU_CYCLE_1)
	s_and_not1_b32 exec_lo, exec_lo, s0
	s_cbranch_execnz .LBB27_31
.LBB27_32:
	s_endpgm
	.section	.rodata,"a",@progbits
	.p2align	6, 0x0
	.amdhsa_kernel _ZN4vllm4gptq33gemm_half_q_half_gptq_2bit_kernelILb1ELi4EEEvPK6__halfPKjS6_S4_PS2_iiiibPKi
		.amdhsa_group_segment_fixed_size 1024
		.amdhsa_private_segment_fixed_size 0
		.amdhsa_kernarg_size 72
		.amdhsa_user_sgpr_count 13
		.amdhsa_user_sgpr_dispatch_ptr 0
		.amdhsa_user_sgpr_queue_ptr 0
		.amdhsa_user_sgpr_kernarg_segment_ptr 1
		.amdhsa_user_sgpr_dispatch_id 0
		.amdhsa_user_sgpr_private_segment_size 0
		.amdhsa_wavefront_size32 1
		.amdhsa_uses_dynamic_stack 0
		.amdhsa_enable_private_segment 0
		.amdhsa_system_sgpr_workgroup_id_x 1
		.amdhsa_system_sgpr_workgroup_id_y 1
		.amdhsa_system_sgpr_workgroup_id_z 1
		.amdhsa_system_sgpr_workgroup_info 0
		.amdhsa_system_vgpr_workitem_id 0
		.amdhsa_next_free_vgpr 95
		.amdhsa_next_free_sgpr 24
		.amdhsa_reserve_vcc 1
		.amdhsa_float_round_mode_32 0
		.amdhsa_float_round_mode_16_64 0
		.amdhsa_float_denorm_mode_32 3
		.amdhsa_float_denorm_mode_16_64 3
		.amdhsa_dx10_clamp 1
		.amdhsa_ieee_mode 1
		.amdhsa_fp16_overflow 0
		.amdhsa_workgroup_processor_mode 1
		.amdhsa_memory_ordered 1
		.amdhsa_forward_progress 0
		.amdhsa_shared_vgpr_count 0
		.amdhsa_exception_fp_ieee_invalid_op 0
		.amdhsa_exception_fp_denorm_src 0
		.amdhsa_exception_fp_ieee_div_zero 0
		.amdhsa_exception_fp_ieee_overflow 0
		.amdhsa_exception_fp_ieee_underflow 0
		.amdhsa_exception_fp_ieee_inexact 0
		.amdhsa_exception_int_div_zero 0
	.end_amdhsa_kernel
	.section	.text._ZN4vllm4gptq33gemm_half_q_half_gptq_2bit_kernelILb1ELi4EEEvPK6__halfPKjS6_S4_PS2_iiiibPKi,"axG",@progbits,_ZN4vllm4gptq33gemm_half_q_half_gptq_2bit_kernelILb1ELi4EEEvPK6__halfPKjS6_S4_PS2_iiiibPKi,comdat
.Lfunc_end27:
	.size	_ZN4vllm4gptq33gemm_half_q_half_gptq_2bit_kernelILb1ELi4EEEvPK6__halfPKjS6_S4_PS2_iiiibPKi, .Lfunc_end27-_ZN4vllm4gptq33gemm_half_q_half_gptq_2bit_kernelILb1ELi4EEEvPK6__halfPKjS6_S4_PS2_iiiibPKi
                                        ; -- End function
	.section	.AMDGPU.csdata,"",@progbits
; Kernel info:
; codeLenInByte = 4492
; NumSgprs: 26
; NumVgprs: 95
; ScratchSize: 0
; MemoryBound: 0
; FloatMode: 240
; IeeeMode: 1
; LDSByteSize: 1024 bytes/workgroup (compile time only)
; SGPRBlocks: 3
; VGPRBlocks: 11
; NumSGPRsForWavesPerEU: 26
; NumVGPRsForWavesPerEU: 95
; Occupancy: 16
; WaveLimiterHint : 0
; COMPUTE_PGM_RSRC2:SCRATCH_EN: 0
; COMPUTE_PGM_RSRC2:USER_SGPR: 13
; COMPUTE_PGM_RSRC2:TRAP_HANDLER: 0
; COMPUTE_PGM_RSRC2:TGID_X_EN: 1
; COMPUTE_PGM_RSRC2:TGID_Y_EN: 1
; COMPUTE_PGM_RSRC2:TGID_Z_EN: 1
; COMPUTE_PGM_RSRC2:TIDIG_COMP_CNT: 0
	.section	.text._ZN4vllm4gptq33gemm_half_q_half_gptq_3bit_kernelILb1ELi4EEEvPK6__halfPKjS6_S4_PS2_iiiibPKi,"axG",@progbits,_ZN4vllm4gptq33gemm_half_q_half_gptq_3bit_kernelILb1ELi4EEEvPK6__halfPKjS6_S4_PS2_iiiibPKi,comdat
	.protected	_ZN4vllm4gptq33gemm_half_q_half_gptq_3bit_kernelILb1ELi4EEEvPK6__halfPKjS6_S4_PS2_iiiibPKi ; -- Begin function _ZN4vllm4gptq33gemm_half_q_half_gptq_3bit_kernelILb1ELi4EEEvPK6__halfPKjS6_S4_PS2_iiiibPKi
	.globl	_ZN4vllm4gptq33gemm_half_q_half_gptq_3bit_kernelILb1ELi4EEEvPK6__halfPKjS6_S4_PS2_iiiibPKi
	.p2align	8
	.type	_ZN4vllm4gptq33gemm_half_q_half_gptq_3bit_kernelILb1ELi4EEEvPK6__halfPKjS6_S4_PS2_iiiibPKi,@function
_ZN4vllm4gptq33gemm_half_q_half_gptq_3bit_kernelILb1ELi4EEEvPK6__halfPKjS6_S4_PS2_iiiibPKi: ; @_ZN4vllm4gptq33gemm_half_q_half_gptq_3bit_kernelILb1ELi4EEEvPK6__halfPKjS6_S4_PS2_iiiibPKi
; %bb.0:
	s_load_b128 s[16:19], s[0:1], 0x2c
	s_lshl_b32 s15, s15, 7
	s_load_b256 s[4:11], s[0:1], 0x8
	s_add_i32 s2, s15, 0x80
	s_lshl_b32 s12, s14, 2
	v_cvt_f64_u32_e32 v[1:2], s2
	s_mov_b32 s14, exec_lo
	s_waitcnt lgkmcnt(0)
	v_cvt_f64_i32_e32 v[3:4], s17
	s_delay_alu instid0(VALU_DEP_1) | instskip(NEXT) | instid1(VALU_DEP_1)
	v_min_f64 v[1:2], v[1:2], v[3:4]
	v_cvt_i32_f64_e32 v2, v[1:2]
	v_add_nc_u32_e32 v1, s15, v0
	s_delay_alu instid0(VALU_DEP_2) | instskip(NEXT) | instid1(VALU_DEP_2)
	v_readfirstlane_b32 s20, v2
	v_cmpx_lt_u32_e64 v1, v2
	s_cbranch_execz .LBB28_10
; %bb.1:
	s_clause 0x1
	s_load_b64 s[2:3], s[0:1], 0x40
	s_load_b64 s[0:1], s[0:1], 0x0
	v_mov_b32_e32 v2, 0
	s_delay_alu instid0(VALU_DEP_1) | instskip(SKIP_2) | instid1(VALU_DEP_2)
	v_lshlrev_b64 v[3:4], 2, v[1:2]
	v_dual_mov_b32 v6, v2 :: v_dual_mov_b32 v5, v1
	s_waitcnt lgkmcnt(0)
	v_add_co_u32 v3, vcc_lo, s2, v3
	s_delay_alu instid0(VALU_DEP_3)
	v_add_co_ci_u32_e32 v4, vcc_lo, s3, v4, vcc_lo
	s_cmp_lg_u64 s[2:3], 0
	s_cselect_b32 s21, -1, 0
	s_cmp_eq_u64 s[2:3], 0
	s_cbranch_scc1 .LBB28_3
; %bb.2:
	global_load_b32 v5, v[3:4], off
	s_waitcnt vmcnt(0)
	v_ashrrev_i32_e32 v6, 31, v5
.LBB28_3:
	s_mul_i32 s2, s12, s17
	s_delay_alu instid0(VALU_DEP_1)
	v_lshlrev_b64 v[5:6], 1, v[5:6]
	s_ashr_i32 s3, s2, 31
	v_lshlrev_b32_e32 v7, 1, v0
	s_lshl_b64 s[22:23], s[2:3], 1
	v_cndmask_b32_e64 v8, 0, 1, s21
	s_add_u32 s3, s0, s22
	s_addc_u32 s22, s1, s23
	v_add_co_u32 v5, vcc_lo, s3, v5
	v_add_co_ci_u32_e32 v6, vcc_lo, s22, v6, vcc_lo
	s_and_not1_b32 vcc_lo, exec_lo, s21
	global_load_u16 v9, v[5:6], off
	v_dual_mov_b32 v6, v2 :: v_dual_mov_b32 v5, v1
	s_waitcnt vmcnt(0)
	ds_store_b16 v7, v9
	s_cbranch_vccnz .LBB28_5
; %bb.4:
	global_load_b32 v5, v[3:4], off
	s_waitcnt vmcnt(0)
	v_ashrrev_i32_e32 v6, 31, v5
.LBB28_5:
	s_add_i32 s2, s2, s17
	s_delay_alu instid0(VALU_DEP_1) | instskip(SKIP_1) | instid1(SALU_CYCLE_1)
	v_lshlrev_b64 v[5:6], 1, v[5:6]
	s_ashr_i32 s3, s2, 31
	s_lshl_b64 s[22:23], s[2:3], 1
	s_delay_alu instid0(SALU_CYCLE_1) | instskip(SKIP_1) | instid1(VALU_DEP_1)
	s_add_u32 s3, s0, s22
	s_addc_u32 s21, s1, s23
	v_add_co_u32 v5, vcc_lo, s3, v5
	v_add_co_ci_u32_e32 v6, vcc_lo, s21, v6, vcc_lo
	v_cmp_ne_u32_e32 vcc_lo, 1, v8
	global_load_u16 v9, v[5:6], off
	v_dual_mov_b32 v6, v2 :: v_dual_mov_b32 v5, v1
	s_waitcnt vmcnt(0)
	ds_store_b16 v7, v9 offset:256
	s_cbranch_vccnz .LBB28_7
; %bb.6:
	global_load_b32 v5, v[3:4], off
	s_waitcnt vmcnt(0)
	v_ashrrev_i32_e32 v6, 31, v5
.LBB28_7:
	s_add_i32 s2, s2, s17
	s_delay_alu instid0(VALU_DEP_1) | instskip(SKIP_1) | instid1(SALU_CYCLE_1)
	v_lshlrev_b64 v[5:6], 1, v[5:6]
	s_ashr_i32 s3, s2, 31
	s_lshl_b64 s[22:23], s[2:3], 1
	s_delay_alu instid0(SALU_CYCLE_1) | instskip(SKIP_1) | instid1(VALU_DEP_1)
	s_add_u32 s3, s0, s22
	s_addc_u32 s21, s1, s23
	v_add_co_u32 v5, vcc_lo, s3, v5
	v_add_co_ci_u32_e32 v6, vcc_lo, s21, v6, vcc_lo
	v_cmp_ne_u32_e32 vcc_lo, 1, v8
	global_load_u16 v5, v[5:6], off
	s_waitcnt vmcnt(0)
	ds_store_b16 v7, v5 offset:512
	s_cbranch_vccnz .LBB28_9
; %bb.8:
	global_load_b32 v1, v[3:4], off
	s_waitcnt vmcnt(0)
	v_ashrrev_i32_e32 v2, 31, v1
.LBB28_9:
	s_add_i32 s2, s2, s17
	s_delay_alu instid0(VALU_DEP_1) | instskip(SKIP_1) | instid1(SALU_CYCLE_1)
	v_lshlrev_b64 v[1:2], 1, v[1:2]
	s_ashr_i32 s3, s2, 31
	s_lshl_b64 s[2:3], s[2:3], 1
	s_delay_alu instid0(SALU_CYCLE_1) | instskip(SKIP_1) | instid1(VALU_DEP_1)
	s_add_u32 s0, s0, s2
	s_addc_u32 s1, s1, s3
	v_add_co_u32 v1, vcc_lo, s0, v1
	v_add_co_ci_u32_e32 v2, vcc_lo, s1, v2, vcc_lo
	global_load_u16 v1, v[1:2], off
	s_waitcnt vmcnt(0)
	ds_store_b16 v7, v1 offset:768
.LBB28_10:
	s_or_b32 exec_lo, exec_lo, s14
	v_lshlrev_b32_e32 v0, 2, v0
	s_mov_b32 s0, exec_lo
	s_delay_alu instid0(VALU_DEP_1) | instskip(NEXT) | instid1(VALU_DEP_1)
	v_lshl_add_u32 v12, s13, 9, v0
	v_cmpx_gt_i32_e64 s16, v12
	s_cbranch_execz .LBB28_64
; %bb.11:
	s_abs_i32 s0, s18
	s_abs_i32 s3, s17
	v_cvt_f32_u32_e32 v1, s0
	s_sub_i32 s2, 0, s0
	s_waitcnt lgkmcnt(0)
	s_barrier
	buffer_gl0_inv
	v_rcp_iflag_f32_e32 v1, v1
                                        ; implicit-def: $vgpr3
                                        ; implicit-def: $vgpr4
	v_and_b32_e32 v2, 28, v0
	s_delay_alu instid0(VALU_DEP_1) | instskip(SKIP_2) | instid1(VALU_DEP_1)
	v_cmp_lt_u32_e32 vcc_lo, 4, v2
	s_waitcnt_depctr 0xfff
	v_mul_f32_e32 v1, 0x4f7ffffe, v1
	v_cvt_u32_f32_e32 v1, v1
	s_delay_alu instid0(VALU_DEP_1) | instskip(NEXT) | instid1(VALU_DEP_1)
	v_readfirstlane_b32 s1, v1
	s_mul_i32 s2, s2, s1
	s_delay_alu instid0(SALU_CYCLE_1) | instskip(NEXT) | instid1(SALU_CYCLE_1)
	s_mul_hi_u32 s2, s1, s2
	s_add_i32 s1, s1, s2
	s_xor_b32 s2, s17, s18
	s_mul_hi_u32 s1, s3, s1
	s_ashr_i32 s2, s2, 31
	s_mul_i32 s13, s1, s0
	s_delay_alu instid0(SALU_CYCLE_1)
	s_sub_i32 s3, s3, s13
	s_add_i32 s13, s1, 1
	s_sub_i32 s14, s3, s0
	s_cmp_ge_u32 s3, s0
	s_cselect_b32 s1, s13, s1
	s_cselect_b32 s3, s14, s3
	s_add_i32 s13, s1, 1
	s_cmp_ge_u32 s3, s0
	s_cselect_b32 s0, s13, s1
	s_delay_alu instid0(SALU_CYCLE_1) | instskip(NEXT) | instid1(SALU_CYCLE_1)
	s_xor_b32 s0, s0, s2
	s_sub_i32 s13, s0, s2
	s_delay_alu instid0(SALU_CYCLE_1) | instskip(SKIP_1) | instid1(VALU_DEP_1)
	v_cvt_f32_u32_e32 v1, s13
	s_sub_i32 s1, 0, s13
	v_rcp_iflag_f32_e32 v1, v1
	s_waitcnt_depctr 0xfff
	v_mul_f32_e32 v1, 0x4f7ffffe, v1
	s_delay_alu instid0(VALU_DEP_1) | instskip(NEXT) | instid1(VALU_DEP_1)
	v_cvt_u32_f32_e32 v1, v1
	v_readfirstlane_b32 s0, v1
	s_delay_alu instid0(VALU_DEP_1) | instskip(NEXT) | instid1(SALU_CYCLE_1)
	s_mul_i32 s1, s1, s0
	s_mul_hi_u32 s1, s0, s1
	s_delay_alu instid0(SALU_CYCLE_1) | instskip(NEXT) | instid1(SALU_CYCLE_1)
	s_add_i32 s0, s0, s1
	s_mul_hi_u32 s0, s15, s0
	s_delay_alu instid0(SALU_CYCLE_1) | instskip(SKIP_2) | instid1(SALU_CYCLE_1)
	s_mul_i32 s1, s0, s13
	s_add_i32 s2, s0, 1
	s_sub_i32 s1, s15, s1
	s_sub_i32 s3, s1, s13
	s_cmp_ge_u32 s1, s13
	s_cselect_b32 s0, s2, s0
	s_cselect_b32 s1, s3, s1
	s_add_i32 s2, s0, 1
	s_cmp_ge_u32 s1, s13
	s_cselect_b32 s14, s2, s0
	s_and_saveexec_b32 s0, vcc_lo
	s_delay_alu instid0(SALU_CYCLE_1)
	s_xor_b32 s1, exec_lo, s0
	s_cbranch_execz .LBB28_25
; %bb.12:
	s_mov_b32 s2, exec_lo
                                        ; implicit-def: $vgpr3
                                        ; implicit-def: $vgpr4
	v_cmpx_ne_u32_e32 8, v2
	s_xor_b32 s2, exec_lo, s2
	s_cbranch_execz .LBB28_22
; %bb.13:
	s_mov_b32 s3, exec_lo
                                        ; implicit-def: $vgpr3
                                        ; implicit-def: $vgpr4
	v_cmpx_lt_u32_e32 16, v2
	s_xor_b32 s3, exec_lo, s3
	s_cbranch_execz .LBB28_19
; %bb.14:
	v_lshl_add_u32 v0, v12, 1, v12
	s_mul_i32 s17, s14, s16
	s_delay_alu instid0(SALU_CYCLE_1) | instskip(NEXT) | instid1(SALU_CYCLE_1)
	s_ashr_i32 s0, s17, 31
	s_lshr_b32 s0, s0, 27
	s_delay_alu instid0(VALU_DEP_1) | instskip(SKIP_1) | instid1(SALU_CYCLE_1)
	v_ashrrev_i32_e32 v1, 31, v0
	s_add_i32 s0, s17, s0
	s_ashr_i32 s0, s0, 5
	s_delay_alu instid0(VALU_DEP_1) | instskip(NEXT) | instid1(VALU_DEP_1)
	v_lshrrev_b32_e32 v1, 27, v1
	v_add_nc_u32_e32 v0, v0, v1
	s_delay_alu instid0(VALU_DEP_1) | instskip(NEXT) | instid1(VALU_DEP_1)
	v_ashrrev_i32_e32 v0, 5, v0
	v_mad_u64_u32 v[3:4], null, s0, 3, v[0:1]
	s_delay_alu instid0(VALU_DEP_1) | instskip(NEXT) | instid1(VALU_DEP_1)
	v_ashrrev_i32_e32 v4, 31, v3
	v_lshlrev_b64 v[0:1], 2, v[3:4]
                                        ; implicit-def: $vgpr3
	s_delay_alu instid0(VALU_DEP_1) | instskip(NEXT) | instid1(VALU_DEP_1)
	v_add_co_u32 v0, s0, s6, v0
	v_add_co_ci_u32_e64 v1, s0, s7, v1, s0
	v_cmp_ne_u32_e64 s0, 20, v2
	global_load_b32 v5, v[0:1], off
	s_and_saveexec_b32 s18, s0
	s_delay_alu instid0(SALU_CYCLE_1)
	s_xor_b32 s0, exec_lo, s18
	s_cbranch_execz .LBB28_16
; %bb.15:
	v_mad_u32_u24 v0, v2, 3, 0xffffffc0
	s_waitcnt vmcnt(0)
	s_delay_alu instid0(VALU_DEP_1)
	v_lshrrev_b32_e32 v3, v0, v5
                                        ; implicit-def: $vgpr0_vgpr1
                                        ; implicit-def: $vgpr5
.LBB28_16:
	s_or_saveexec_b32 s0, s0
	v_mov_b32_e32 v4, s17
	s_xor_b32 exec_lo, exec_lo, s0
	s_cbranch_execz .LBB28_18
; %bb.17:
	global_load_b32 v0, v[0:1], off offset:4
	v_mov_b32_e32 v4, s17
	s_waitcnt vmcnt(0)
	v_alignbit_b32 v0, v0, v5, 28
	s_delay_alu instid0(VALU_DEP_1)
	v_and_b32_e32 v3, 0xfff, v0
.LBB28_18:
	s_or_b32 exec_lo, exec_lo, s0
.LBB28_19:
	s_and_not1_saveexec_b32 s3, s3
	s_cbranch_execz .LBB28_21
; %bb.20:
	v_lshl_add_u32 v0, v12, 1, v12
	s_mul_i32 s17, s14, s16
	s_delay_alu instid0(SALU_CYCLE_1) | instskip(NEXT) | instid1(SALU_CYCLE_1)
	s_ashr_i32 s0, s17, 31
	s_lshr_b32 s0, s0, 27
	s_delay_alu instid0(VALU_DEP_1) | instskip(SKIP_1) | instid1(SALU_CYCLE_1)
	v_ashrrev_i32_e32 v1, 31, v0
	s_add_i32 s0, s17, s0
	s_ashr_i32 s0, s0, 5
	s_delay_alu instid0(VALU_DEP_1) | instskip(NEXT) | instid1(VALU_DEP_1)
	v_lshrrev_b32_e32 v1, 27, v1
	v_add_nc_u32_e32 v0, v0, v1
	s_delay_alu instid0(VALU_DEP_1) | instskip(NEXT) | instid1(VALU_DEP_1)
	v_ashrrev_i32_e32 v0, 5, v0
	v_mad_u64_u32 v[3:4], null, s0, 3, v[0:1]
	s_delay_alu instid0(VALU_DEP_1) | instskip(NEXT) | instid1(VALU_DEP_1)
	v_ashrrev_i32_e32 v4, 31, v3
	v_lshlrev_b64 v[0:1], 2, v[3:4]
	v_mov_b32_e32 v4, s17
	s_delay_alu instid0(VALU_DEP_2) | instskip(NEXT) | instid1(VALU_DEP_1)
	v_add_co_u32 v0, s0, s6, v0
	v_add_co_ci_u32_e64 v1, s0, s7, v1, s0
	global_load_b32 v0, v[0:1], off
	v_mad_u32_u24 v1, v2, 3, 0xffffffe0
	s_waitcnt vmcnt(0)
	s_delay_alu instid0(VALU_DEP_1)
	v_lshrrev_b32_e32 v3, v1, v0
.LBB28_21:
	s_or_b32 exec_lo, exec_lo, s3
.LBB28_22:
	s_and_not1_saveexec_b32 s2, s2
	s_cbranch_execz .LBB28_24
; %bb.23:
	v_lshl_add_u32 v0, v12, 1, v12
	s_mul_i32 s3, s14, s16
	s_delay_alu instid0(SALU_CYCLE_1) | instskip(NEXT) | instid1(SALU_CYCLE_1)
	s_ashr_i32 s0, s3, 31
	s_lshr_b32 s0, s0, 27
	s_delay_alu instid0(VALU_DEP_1) | instskip(SKIP_1) | instid1(SALU_CYCLE_1)
	v_ashrrev_i32_e32 v1, 31, v0
	s_add_i32 s0, s3, s0
	s_ashr_i32 s0, s0, 5
	s_delay_alu instid0(VALU_DEP_1) | instskip(NEXT) | instid1(VALU_DEP_1)
	v_lshrrev_b32_e32 v1, 27, v1
	v_add_nc_u32_e32 v0, v0, v1
	s_delay_alu instid0(VALU_DEP_1) | instskip(NEXT) | instid1(VALU_DEP_1)
	v_ashrrev_i32_e32 v0, 5, v0
	v_mad_u64_u32 v[3:4], null, s0, 3, v[0:1]
	s_delay_alu instid0(VALU_DEP_1) | instskip(NEXT) | instid1(VALU_DEP_1)
	v_ashrrev_i32_e32 v4, 31, v3
	v_lshlrev_b64 v[0:1], 2, v[3:4]
	v_mov_b32_e32 v4, s3
	s_delay_alu instid0(VALU_DEP_2) | instskip(NEXT) | instid1(VALU_DEP_1)
	v_add_co_u32 v0, s0, s6, v0
	v_add_co_ci_u32_e64 v1, s0, s7, v1, s0
	global_load_b64 v[0:1], v[0:1], off
	s_waitcnt vmcnt(0)
	v_perm_b32 v0, v0, v1, 0x2010007
	s_delay_alu instid0(VALU_DEP_1)
	v_and_b32_e32 v3, 0xfff, v0
.LBB28_24:
	s_or_b32 exec_lo, exec_lo, s2
.LBB28_25:
	s_or_saveexec_b32 s1, s1
	v_lshl_add_u32 v0, v12, 1, v12
	v_mul_u32_u24_e32 v22, 3, v2
	s_delay_alu instid0(VALU_DEP_2)
	v_ashrrev_i32_e32 v1, 31, v0
	s_xor_b32 exec_lo, exec_lo, s1
	s_cbranch_execz .LBB28_27
; %bb.26:
	s_delay_alu instid0(VALU_DEP_1) | instskip(SKIP_1) | instid1(SALU_CYCLE_1)
	v_lshrrev_b32_e32 v3, 27, v1
	s_mul_i32 s2, s14, s16
	s_ashr_i32 s0, s2, 31
	s_delay_alu instid0(SALU_CYCLE_1) | instskip(NEXT) | instid1(VALU_DEP_1)
	s_lshr_b32 s0, s0, 27
	v_add_nc_u32_e32 v3, v0, v3
	s_add_i32 s0, s2, s0
	s_delay_alu instid0(SALU_CYCLE_1) | instskip(NEXT) | instid1(VALU_DEP_1)
	s_ashr_i32 s0, s0, 5
	v_ashrrev_i32_e32 v3, 5, v3
	s_waitcnt vmcnt(0)
	s_delay_alu instid0(VALU_DEP_1) | instskip(NEXT) | instid1(VALU_DEP_1)
	v_mad_u64_u32 v[4:5], null, s0, 3, v[3:4]
	v_ashrrev_i32_e32 v5, 31, v4
	s_delay_alu instid0(VALU_DEP_1) | instskip(NEXT) | instid1(VALU_DEP_1)
	v_lshlrev_b64 v[3:4], 2, v[4:5]
	v_add_co_u32 v3, s0, s6, v3
	s_delay_alu instid0(VALU_DEP_1)
	v_add_co_ci_u32_e64 v4, s0, s7, v4, s0
	global_load_b32 v3, v[3:4], off
	v_mov_b32_e32 v4, s2
	s_waitcnt vmcnt(0)
	v_lshrrev_b32_e32 v3, v22, v3
.LBB28_27:
	s_or_b32 exec_lo, exec_lo, s1
	v_dual_mov_b32 v26, 0 :: v_dual_mov_b32 v25, 0
	v_dual_mov_b32 v24, 0 :: v_dual_mov_b32 v23, 0
	;; [unrolled: 1-line block ×3, first 2 shown]
	v_mov_b32_e32 v19, 0
	v_mov_b32_e32 v13, 0
	s_cmp_ge_i32 s15, s20
	s_mov_b32 s18, 0
	s_cbranch_scc1 .LBB28_48
; %bb.28:
	v_lshrrev_b32_e32 v1, 27, v1
	v_add_nc_u32_e32 v4, v4, v12
	v_ashrrev_i32_e32 v13, 31, v12
	s_add_i32 s21, s13, s15
	v_dual_mov_b32 v19, 0 :: v_dual_and_b32 v30, 7, v3
	v_dual_mov_b32 v21, 0 :: v_dual_add_nc_u32 v0, v0, v1
	v_bfe_u32 v31, v3, 3, 3
	v_bfe_u32 v32, v3, 6, 3
	v_bfe_u32 v33, v3, 9, 3
	s_delay_alu instid0(VALU_DEP_4)
	v_ashrrev_i32_e32 v14, 5, v0
	v_lshlrev_b64 v[0:1], 2, v[12:13]
	v_mov_b32_e32 v13, 0
	s_waitcnt vmcnt(0)
	v_ashrrev_i32_e32 v5, 31, v4
	v_cmp_lt_u32_e64 s1, 16, v2
	v_cmp_ne_u32_e64 s2, 20, v2
	v_mad_u32_u24 v28, v2, 3, 0xffffffc0
	v_mad_u32_u24 v29, v2, 3, 0xffffffe0
	v_lshlrev_b64 v[4:5], 1, v[4:5]
	v_dual_mov_b32 v20, 0 :: v_dual_mov_b32 v23, 0
	v_dual_mov_b32 v24, 0 :: v_dual_mov_b32 v25, 0
	v_mov_b32_e32 v26, 0
	s_delay_alu instid0(VALU_DEP_4) | instskip(NEXT) | instid1(VALU_DEP_1)
	v_add_co_u32 v4, s0, s8, v4
	v_add_co_ci_u32_e64 v5, s0, s9, v5, s0
	s_lshr_b32 s0, s15, 5
	s_mov_b32 s24, 0x1c001c0
	s_mul_i32 s0, s0, s16
	global_load_b64 v[17:18], v[4:5], off
	s_mul_i32 s22, s0, 3
	s_delay_alu instid0(SALU_CYCLE_1)
	s_ashr_i32 s23, s22, 31
	s_bitcmp1_b32 s19, 0
	s_mul_hi_i32 s19, s16, 12
	s_cselect_b32 s0, -1, 0
	s_lshl_b64 s[22:23], s[22:23], 2
	s_xor_b32 s0, s0, -1
	s_ashr_i32 s17, s16, 31
	s_add_u32 s3, s4, s22
	s_addc_u32 s4, s5, s23
	v_add_co_u32 v15, s3, s3, v0
	v_cndmask_b32_e64 v27, 0, 1, s0
	v_cmp_ne_u32_e64 s0, 8, v2
	v_add_co_ci_u32_e64 v16, s3, s4, v1, s3
	s_mul_i32 s22, s16, 12
	s_lshl_b64 s[4:5], s[16:17], 2
	s_mov_b32 s17, 0x70007
	s_mov_b32 s23, 0x380038
	s_branch .LBB28_31
.LBB28_29:                              ;   in Loop: Header=BB28_31 Depth=1
	s_or_b32 exec_lo, exec_lo, s3
	v_add_nc_u32_e32 v0, s25, v12
	s_delay_alu instid0(VALU_DEP_2)
	v_and_b32_e32 v30, 7, v2
	v_bfe_u32 v31, v2, 3, 3
	v_bfe_u32 v32, v2, 6, 3
	;; [unrolled: 1-line block ×3, first 2 shown]
	v_ashrrev_i32_e32 v1, 31, v0
	s_add_i32 s21, s21, s13
	s_delay_alu instid0(VALU_DEP_1) | instskip(NEXT) | instid1(VALU_DEP_1)
	v_lshlrev_b64 v[0:1], 1, v[0:1]
	v_add_co_u32 v0, s3, s8, v0
	s_delay_alu instid0(VALU_DEP_1)
	v_add_co_ci_u32_e64 v1, s3, s9, v1, s3
	global_load_b64 v[17:18], v[0:1], off
.LBB28_30:                              ;   in Loop: Header=BB28_31 Depth=1
	global_load_b128 v[8:11], v[15:16], off
	v_add_co_u32 v0, s3, v15, s4
	s_delay_alu instid0(VALU_DEP_1) | instskip(SKIP_4) | instid1(VALU_DEP_1)
	v_add_co_ci_u32_e64 v1, s3, s5, v16, s3
	v_dual_mov_b32 v34, s18 :: v_dual_add_nc_u32 v35, v30, v27
	v_add_nc_u32_e32 v36, v31, v27
	global_load_b128 v[4:7], v[0:1], off
	v_add_co_u32 v0, s3, v0, s4
	v_add_co_ci_u32_e64 v1, s3, s5, v1, s3
	v_add_nc_u32_e32 v37, v32, v27
	v_add_nc_u32_e32 v38, v33, v27
	ds_load_2addr_b32 v[75:76], v34 offset1:1
	ds_load_2addr_b32 v[99:100], v34 offset0:2 offset1:3
	global_load_b128 v[0:3], v[0:1], off
	v_or_b32_e32 v45, 0xffffe400, v35
	v_cvt_f32_i32_e32 v35, v35
	v_cvt_f32_i32_e32 v39, v36
	v_or_b32_e32 v48, 0xffffe400, v37
	v_cvt_f32_i32_e32 v37, v37
	v_cvt_f32_i32_e32 v40, v38
	v_or_b32_e32 v47, 0xffffe400, v36
	v_or_b32_e32 v50, 0xffffe400, v38
	v_cvt_f16_f32_e32 v36, v35
	v_cvt_f16_f32_e32 v35, v39
	;; [unrolled: 1-line block ×4, first 2 shown]
	ds_load_2addr_b32 v[89:90], v34 offset0:128 offset1:129
	v_sub_f16_e32 v42, 0xd800, v36
	v_sub_f16_e32 v38, 0xd800, v35
	;; [unrolled: 1-line block ×4, first 2 shown]
	v_add_co_u32 v15, s3, v15, s22
	s_delay_alu instid0(VALU_DEP_1)
	v_add_co_ci_u32_e64 v16, s3, s19, v16, s3
	s_add_i32 s15, s15, 32
	s_add_i32 s18, s18, 64
	s_cmp_ge_i32 s15, s20
	s_waitcnt vmcnt(2)
	v_and_or_b32 v46, v8, s17, 0x64006400
	v_and_or_b32 v49, v8, s23, 0x64006400
	v_lshrrev_b32_e32 v53, 6, v8
	v_lshrrev_b32_e32 v60, 15, v8
	v_and_or_b32 v8, v9, s17, 0x64006400
	v_and_or_b32 v54, v10, s17, 0x64006400
	;; [unrolled: 1-line block ×3, first 2 shown]
	v_lshrrev_b32_e32 v41, 6, v10
	v_lshrrev_b32_e32 v52, 15, v10
	v_and_or_b32 v10, v11, s17, 0x64006400
	v_and_or_b32 v51, v9, s23, 0x64006400
	;; [unrolled: 1-line block ×3, first 2 shown]
	v_pk_add_f16 v80, v45, v46 op_sel_hi:[0,1]
	v_pk_add_f16 v92, v47, v8 op_sel_hi:[0,1]
	;; [unrolled: 1-line block ×4, first 2 shown]
	v_pk_fma_f16 v83, 0x3000, v49, v42 op_sel_hi:[0,1,0]
	v_pk_fma_f16 v93, 0x3000, v51, v38 op_sel_hi:[0,1,0]
	;; [unrolled: 1-line block ×4, first 2 shown]
	s_waitcnt lgkmcnt(2)
	v_pk_fma_f16 v77, v80, v75, 0
	v_pk_fma_f16 v78, v92, v75, 0
	;; [unrolled: 1-line block ×4, first 2 shown]
	v_lshrrev_b32_e32 v59, 6, v9
	v_pk_fma_f16 v84, v83, v76, v77
	v_pk_fma_f16 v85, v93, v76, v78
	;; [unrolled: 1-line block ×4, first 2 shown]
	ds_load_2addr_b32 v[76:77], v34 offset0:64 offset1:65
	v_lshrrev_b32_e32 v39, 15, v9
	v_lshrrev_b32_e32 v9, 6, v11
	s_waitcnt vmcnt(1)
	v_lshrrev_b32_e32 v64, 14, v4
	v_lshrrev_b32_e32 v69, 14, v5
	v_lshrrev_b32_e32 v72, 14, v6
	v_lshrrev_b32_e32 v73, 14, v7
	s_waitcnt vmcnt(0)
	v_lshrrev_b32_e32 v74, 13, v0
	v_and_b32_e32 v64, 0x20002, v64
	v_lshrrev_b32_e32 v57, 15, v11
	v_lshrrev_b32_e32 v51, 6, v4
	v_lshrrev_b32_e32 v66, 6, v0
	v_lshrrev_b32_e32 v70, 13, v1
	v_and_or_b32 v60, 0x10001, v60, v64
	v_and_or_b32 v62, v4, s23, 0x64006400
	v_lshrrev_b32_e32 v54, 6, v5
	v_and_or_b32 v68, v0, s23, 0x64006400
	v_lshrrev_b32_e32 v58, 6, v1
	;; [unrolled: 2-line block ×3, first 2 shown]
	s_waitcnt lgkmcnt(0)
	v_pk_fma_f16 v75, v80, v76, 0
	v_pk_fma_f16 v78, v92, v76, 0
	;; [unrolled: 1-line block ×4, first 2 shown]
	v_and_or_b32 v65, v1, s23, 0x64006400
	v_pk_fma_f16 v75, v83, v77, v75
	v_pk_fma_f16 v78, v93, v77, v78
	;; [unrolled: 1-line block ×6, first 2 shown]
	v_lshrrev_b32_e32 v71, 6, v2
	v_lshrrev_b32_e32 v67, 13, v2
	v_pk_fma_f16 v64, 0x3000, v62, v42 op_sel_hi:[0,1,0]
	v_pk_fma_f16 v79, v93, v90, v77
	v_pk_fma_f16 v77, v94, v89, 0
	;; [unrolled: 1-line block ×3, first 2 shown]
	v_and_or_b32 v46, v6, s23, 0x64006400
	v_and_or_b32 v63, v2, s23, 0x64006400
	v_pk_fma_f16 v62, 0x3000, v56, v38 op_sel_hi:[0,1,0]
	v_pk_fma_f16 v82, v95, v90, v77
	v_pk_fma_f16 v77, v96, v89, 0
	v_and_b32_e32 v67, 0x40004, v67
	v_and_or_b32 v10, v4, s17, 0x64006400
	v_and_or_b32 v8, v5, s17, 0x64006400
	v_and_or_b32 v11, v6, s17, 0x64006400
	v_pk_fma_f16 v89, v97, v90, v77
	ds_load_2addr_b32 v[90:91], v34 offset0:192 offset1:193
	v_and_or_b32 v5, v7, s17, 0x64006400
	v_and_or_b32 v49, v7, s23, 0x64006400
	v_lshrrev_b32_e32 v4, 6, v7
	v_and_or_b32 v61, v0, s17, 0x64006400
	v_and_or_b32 v6, v1, s17, 0x64006400
	;; [unrolled: 1-line block ×5, first 2 shown]
	v_lshrrev_b32_e32 v0, 6, v3
	v_lshrrev_b32_e32 v3, 13, v3
	s_delay_alu instid0(VALU_DEP_1) | instskip(SKIP_3) | instid1(VALU_DEP_2)
	v_and_b32_e32 v3, 0x40004, v3
	s_waitcnt lgkmcnt(0)
	v_pk_fma_f16 v77, v80, v90, 0
	v_pk_fma_f16 v80, v92, v90, 0
	;; [unrolled: 1-line block ×5, first 2 shown]
	s_delay_alu instid0(VALU_DEP_4) | instskip(SKIP_1) | instid1(VALU_DEP_4)
	v_pk_fma_f16 v80, v93, v91, v80
	v_and_or_b32 v93, v59, s17, 0x64006400
	v_pk_fma_f16 v83, v95, v91, v83
	s_delay_alu instid0(VALU_DEP_4) | instskip(SKIP_1) | instid1(VALU_DEP_4)
	v_pk_fma_f16 v90, v97, v91, v90
	v_and_or_b32 v91, v53, s17, 0x64006400
	v_pk_add_f16 v94, v47, v93 op_sel_hi:[0,1]
	v_and_or_b32 v93, v59, s23, 0x64006400
	v_and_or_b32 v95, v41, s17, 0x64006400
	;; [unrolled: 1-line block ×3, first 2 shown]
	v_pk_add_f16 v92, v45, v91 op_sel_hi:[0,1]
	v_and_or_b32 v91, v53, s23, 0x64006400
	v_pk_fma_f16 v93, 0x3000, v93, v38 op_sel_hi:[0,1,0]
	v_pk_add_f16 v96, v48, v95 op_sel_hi:[0,1]
	v_pk_add_f16 v98, v50, v97 op_sel_hi:[0,1]
	v_pk_fma_f16 v84, v92, v99, v84
	v_pk_fma_f16 v91, 0x3000, v91, v42 op_sel_hi:[0,1,0]
	v_pk_fma_f16 v85, v94, v99, v85
	v_pk_fma_f16 v86, v96, v99, v86
	;; [unrolled: 1-line block ×3, first 2 shown]
	v_and_or_b32 v95, v41, s23, 0x64006400
	v_pk_fma_f16 v99, v91, v100, v84
	v_pk_fma_f16 v101, v93, v100, v85
	ds_load_2addr_b32 v[84:85], v34 offset0:66 offset1:67
	v_and_or_b32 v97, v9, s23, 0x64006400
	v_pk_fma_f16 v95, 0x3000, v95, v40 op_sel_hi:[0,1,0]
	v_and_or_b32 v59, v59, s24, 0x64006400
	s_delay_alu instid0(VALU_DEP_3) | instskip(NEXT) | instid1(VALU_DEP_3)
	v_pk_fma_f16 v97, 0x3000, v97, v44 op_sel_hi:[0,1,0]
	v_pk_fma_f16 v86, v95, v100, v86
	s_delay_alu instid0(VALU_DEP_2)
	v_pk_fma_f16 v100, v97, v100, v87
	s_waitcnt lgkmcnt(0)
	v_pk_fma_f16 v75, v92, v84, v75
	v_pk_fma_f16 v78, v94, v84, v78
	;; [unrolled: 1-line block ×4, first 2 shown]
	s_delay_alu instid0(VALU_DEP_4) | instskip(NEXT) | instid1(VALU_DEP_4)
	v_pk_fma_f16 v102, v91, v85, v75
	v_pk_fma_f16 v78, v93, v85, v78
	s_delay_alu instid0(VALU_DEP_4) | instskip(NEXT) | instid1(VALU_DEP_4)
	v_pk_fma_f16 v103, v95, v85, v81
	v_pk_fma_f16 v104, v97, v85, v84
	ds_load_2addr_b32 v[84:85], v34 offset0:130 offset1:131
	s_waitcnt lgkmcnt(0)
	v_pk_fma_f16 v75, v92, v84, v76
	v_pk_fma_f16 v76, v94, v84, v79
	;; [unrolled: 1-line block ×4, first 2 shown]
	s_delay_alu instid0(VALU_DEP_4) | instskip(NEXT) | instid1(VALU_DEP_4)
	v_pk_fma_f16 v82, v91, v85, v75
	v_pk_fma_f16 v84, v93, v85, v76
	ds_load_2addr_b32 v[75:76], v34 offset0:194 offset1:195
	v_pk_fma_f16 v79, v95, v85, v79
	v_pk_fma_f16 v85, v97, v85, v81
	s_waitcnt lgkmcnt(0)
	v_pk_fma_f16 v77, v92, v75, v77
	v_pk_fma_f16 v80, v94, v75, v80
	;; [unrolled: 1-line block ×4, first 2 shown]
	s_delay_alu instid0(VALU_DEP_4)
	v_pk_fma_f16 v88, v91, v76, v77
	v_sub_f16_e32 v77, 0xcc00, v36
	v_and_or_b32 v36, v53, s24, 0x64006400
	v_and_b32_e32 v53, 0x20002, v69
	v_sub_f16_e32 v69, 0xcc00, v35
	v_and_b32_e32 v35, 0x20002, v72
	v_pk_fma_f16 v87, v93, v76, v80
	v_pk_fma_f16 v75, v95, v76, v81
	v_and_or_b32 v72, 0x10001, v39, v53
	v_and_b32_e32 v39, 0x20002, v73
	v_and_b32_e32 v53, 0x40004, v74
	v_pk_fma_f16 v76, v97, v76, v83
	v_pk_fma_f16 v89, 0x2400, v36, v77 op_sel_hi:[0,1,0]
	v_and_or_b32 v36, v51, s23, 0x64006400
	v_and_or_b32 v73, 0x10001, v52, v35
	;; [unrolled: 1-line block ×5, first 2 shown]
	v_or3_b32 v83, v60, v53, 0x64006400
	v_and_or_b32 v57, v66, s24, 0x64006400
	v_and_b32_e32 v60, 0x40004, v70
	v_pk_fma_f16 v53, 0x3000, v36, v42 op_sel_hi:[0,1,0]
	v_pk_fma_f16 v39, 0x3000, v68, v42 op_sel_hi:[0,1,0]
	;; [unrolled: 1-line block ×3, first 2 shown]
	v_and_or_b32 v42, v54, s23, 0x64006400
	v_pk_fma_f16 v52, 0x2400, v35, v77 op_sel_hi:[0,1,0]
	v_pk_fma_f16 v35, 0x2400, v57, v77 op_sel_hi:[0,1,0]
	v_and_or_b32 v57, v58, s23, 0x64006400
	v_or3_b32 v77, v72, v60, 0x64006400
	v_and_or_b32 v60, v54, s24, 0x64006400
	v_pk_fma_f16 v56, 0x3000, v42, v38 op_sel_hi:[0,1,0]
	v_pk_fma_f16 v42, 0x3000, v65, v38 op_sel_hi:[0,1,0]
	;; [unrolled: 1-line block ×3, first 2 shown]
	v_and_or_b32 v65, v58, s24, 0x64006400
	v_pk_fma_f16 v90, 0x2400, v59, v69 op_sel_hi:[0,1,0]
	v_pk_fma_f16 v57, 0x2400, v60, v69 op_sel_hi:[0,1,0]
	v_and_or_b32 v59, v55, s23, 0x64006400
	v_and_or_b32 v60, v71, s23, 0x64006400
	v_sub_f16_e32 v68, 0xcc00, v37
	v_pk_fma_f16 v37, 0x2400, v65, v69 op_sel_hi:[0,1,0]
	v_or3_b32 v91, v73, v67, 0x64006400
	v_and_or_b32 v65, v41, s24, 0x64006400
	v_pk_fma_f16 v67, 0x3000, v46, v40 op_sel_hi:[0,1,0]
	v_pk_fma_f16 v59, 0x3000, v59, v40 op_sel_hi:[0,1,0]
	;; [unrolled: 1-line block ×4, first 2 shown]
	v_and_or_b32 v40, v55, s24, 0x64006400
	v_pk_fma_f16 v80, 0x2400, v65, v68 op_sel_hi:[0,1,0]
	v_or3_b32 v92, v74, v3, 0x64006400
	v_and_or_b32 v3, v4, s23, 0x64006400
	v_pk_add_f16 v72, v47, v8 op_sel_hi:[0,1]
	v_pk_fma_f16 v60, 0x2400, v40, v68 op_sel_hi:[0,1,0]
	v_and_or_b32 v40, v71, s24, 0x64006400
	v_pk_add_f16 v73, v48, v11 op_sel_hi:[0,1]
	v_pk_fma_f16 v63, 0x3000, v3, v44 op_sel_hi:[0,1,0]
	;; [unrolled: 3-line block ×3, first 2 shown]
	v_pk_fma_f16 v68, 0x3000, v49, v44 op_sel_hi:[0,1,0]
	v_pk_fma_f16 v49, 0x3000, v2, v44 op_sel_hi:[0,1,0]
	v_and_or_b32 v2, v0, s23, 0x64006400
	v_and_or_b32 v8, v58, s17, 0x64006400
	v_pk_add_f16 v58, v47, v6 op_sel_hi:[0,1]
	v_pk_add_f16 v74, v50, v5 op_sel_hi:[0,1]
	s_delay_alu instid0(VALU_DEP_4) | instskip(SKIP_1) | instid1(VALU_DEP_1)
	v_pk_fma_f16 v44, 0x3000, v2, v44 op_sel_hi:[0,1,0]
	v_sub_f16_e32 v2, 0xcc00, v43
	v_pk_fma_f16 v81, 0x2400, v3, v2 op_sel_hi:[0,1,0]
	v_and_or_b32 v3, v4, s24, 0x64006400
	v_and_or_b32 v4, v4, s17, 0x64006400
	s_delay_alu instid0(VALU_DEP_2) | instskip(SKIP_2) | instid1(VALU_DEP_2)
	v_pk_fma_f16 v65, 0x2400, v3, v2 op_sel_hi:[0,1,0]
	v_and_or_b32 v3, v0, s24, 0x64006400
	v_and_or_b32 v0, v0, s17, 0x64006400
	v_pk_fma_f16 v43, 0x2400, v3, v2 op_sel_hi:[0,1,0]
	v_and_or_b32 v2, v51, s17, 0x64006400
	v_and_or_b32 v3, v66, s17, 0x64006400
	v_pk_add_f16 v66, v45, v61 op_sel_hi:[0,1]
	v_pk_add_f16 v61, v48, v7 op_sel_hi:[0,1]
	s_delay_alu instid0(VALU_DEP_4)
	v_pk_add_f16 v69, v45, v2 op_sel_hi:[0,1]
	v_and_or_b32 v2, v54, s17, 0x64006400
	v_pk_add_f16 v51, v45, v3 op_sel_hi:[0,1]
	v_and_or_b32 v3, v55, s17, 0x64006400
	v_pk_add_f16 v54, v47, v8 op_sel_hi:[0,1]
	v_pk_add_f16 v45, v45, v83 op_sel_hi:[0,1]
	;; [unrolled: 1-line block ×3, first 2 shown]
	v_and_or_b32 v2, v71, s17, 0x64006400
	v_pk_add_f16 v71, v48, v3 op_sel_hi:[0,1]
	v_pk_add_f16 v47, v47, v77 op_sel_hi:[0,1]
	s_delay_alu instid0(VALU_DEP_3)
	v_pk_add_f16 v55, v48, v2 op_sel_hi:[0,1]
	ds_load_2addr_b32 v[2:3], v34 offset0:4 offset1:5
	v_pk_add_f16 v48, v48, v91 op_sel_hi:[0,1]
	s_waitcnt lgkmcnt(0)
	v_pk_fma_f16 v5, v89, v2, v99
	v_pk_fma_f16 v6, v90, v2, v101
	v_pk_fma_f16 v7, v80, v2, v86
	v_pk_fma_f16 v2, v81, v2, v100
	s_delay_alu instid0(VALU_DEP_4) | instskip(NEXT) | instid1(VALU_DEP_4)
	v_pk_fma_f16 v5, v9, v3, v5
	v_pk_fma_f16 v6, v72, v3, v6
	s_delay_alu instid0(VALU_DEP_4) | instskip(NEXT) | instid1(VALU_DEP_4)
	v_pk_fma_f16 v7, v73, v3, v7
	v_pk_fma_f16 v8, v74, v3, v2
	ds_load_2addr_b32 v[2:3], v34 offset0:68 offset1:69
	s_waitcnt lgkmcnt(0)
	v_pk_fma_f16 v10, v89, v2, v102
	v_pk_fma_f16 v11, v90, v2, v78
	v_pk_fma_f16 v77, v80, v2, v103
	v_pk_fma_f16 v2, v81, v2, v104
	s_delay_alu instid0(VALU_DEP_4) | instskip(NEXT) | instid1(VALU_DEP_4)
	v_pk_fma_f16 v10, v9, v3, v10
	v_pk_fma_f16 v11, v72, v3, v11
	s_delay_alu instid0(VALU_DEP_4) | instskip(NEXT) | instid1(VALU_DEP_4)
	v_pk_fma_f16 v78, v73, v3, v77
	v_pk_fma_f16 v83, v74, v3, v2
	ds_load_2addr_b32 v[2:3], v34 offset0:132 offset1:133
	;; [unrolled: 12-line block ×3, first 2 shown]
	v_pk_add_f16 v77, v50, v4 op_sel_hi:[0,1]
	s_waitcnt lgkmcnt(0)
	v_pk_fma_f16 v4, v64, v2, v5
	v_pk_fma_f16 v5, v62, v2, v6
	v_pk_fma_f16 v6, v67, v2, v7
	v_pk_fma_f16 v2, v68, v2, v8
	s_delay_alu instid0(VALU_DEP_4) | instskip(NEXT) | instid1(VALU_DEP_4)
	v_pk_fma_f16 v4, v69, v3, v4
	v_pk_fma_f16 v5, v70, v3, v5
	s_delay_alu instid0(VALU_DEP_4) | instskip(NEXT) | instid1(VALU_DEP_4)
	v_pk_fma_f16 v6, v71, v3, v6
	v_pk_fma_f16 v7, v77, v3, v2
	ds_load_2addr_b32 v[2:3], v34 offset0:70 offset1:71
	s_waitcnt lgkmcnt(0)
	v_pk_fma_f16 v8, v64, v2, v10
	v_pk_fma_f16 v10, v62, v2, v11
	v_pk_fma_f16 v11, v67, v2, v78
	v_pk_fma_f16 v2, v68, v2, v83
	s_delay_alu instid0(VALU_DEP_4) | instskip(NEXT) | instid1(VALU_DEP_4)
	v_pk_fma_f16 v8, v69, v3, v8
	v_pk_fma_f16 v10, v70, v3, v10
	s_delay_alu instid0(VALU_DEP_4) | instskip(NEXT) | instid1(VALU_DEP_4)
	v_pk_fma_f16 v11, v71, v3, v11
	v_pk_fma_f16 v78, v77, v3, v2
	ds_load_2addr_b32 v[2:3], v34 offset0:134 offset1:135
	;; [unrolled: 12-line block ×4, first 2 shown]
	s_waitcnt lgkmcnt(0)
	v_pk_fma_f16 v8, v53, v2, v8
	v_pk_fma_f16 v10, v56, v2, v10
	;; [unrolled: 1-line block ×4, first 2 shown]
	v_pk_add_f16 v78, v50, v1 op_sel_hi:[0,1]
	v_pk_fma_f16 v8, v52, v3, v8
	v_pk_fma_f16 v10, v57, v3, v10
	;; [unrolled: 1-line block ×4, first 2 shown]
	ds_load_2addr_b32 v[2:3], v34 offset0:10 offset1:11
	s_waitcnt lgkmcnt(0)
	v_pk_fma_f16 v1, v66, v2, v4
	v_pk_fma_f16 v4, v58, v2, v5
	;; [unrolled: 1-line block ×4, first 2 shown]
	s_delay_alu instid0(VALU_DEP_4) | instskip(NEXT) | instid1(VALU_DEP_4)
	v_pk_fma_f16 v6, v39, v3, v1
	v_pk_fma_f16 v4, v42, v3, v4
	s_delay_alu instid0(VALU_DEP_4) | instskip(NEXT) | instid1(VALU_DEP_4)
	v_pk_fma_f16 v5, v46, v3, v5
	v_pk_fma_f16 v3, v49, v3, v2
	ds_load_2addr_b32 v[1:2], v34 offset0:74 offset1:75
	s_waitcnt lgkmcnt(0)
	v_pk_fma_f16 v7, v66, v1, v8
	v_pk_fma_f16 v8, v58, v1, v10
	;; [unrolled: 1-line block ×4, first 2 shown]
	v_pk_add_f16 v79, v50, v0 op_sel_hi:[0,1]
	v_pk_fma_f16 v7, v39, v2, v7
	v_pk_fma_f16 v8, v42, v2, v8
	v_pk_fma_f16 v10, v46, v2, v10
	v_pk_fma_f16 v11, v49, v2, v1
	ds_load_2addr_b32 v[1:2], v34 offset0:12 offset1:13
	v_pk_add_f16 v50, v50, v92 op_sel_hi:[0,1]
	s_waitcnt lgkmcnt(0)
	v_pk_fma_f16 v0, v51, v1, v6
	v_pk_fma_f16 v4, v54, v1, v4
	v_pk_fma_f16 v5, v55, v1, v5
	v_pk_fma_f16 v1, v79, v1, v3
	s_delay_alu instid0(VALU_DEP_4) | instskip(NEXT) | instid1(VALU_DEP_4)
	v_pk_fma_f16 v3, v36, v2, v0
	v_pk_fma_f16 v4, v38, v2, v4
	s_delay_alu instid0(VALU_DEP_4) | instskip(NEXT) | instid1(VALU_DEP_4)
	v_pk_fma_f16 v5, v41, v2, v5
	v_pk_fma_f16 v2, v44, v2, v1
	ds_load_2addr_b32 v[0:1], v34 offset0:76 offset1:77
	s_waitcnt lgkmcnt(0)
	v_pk_fma_f16 v6, v51, v0, v7
	v_pk_fma_f16 v7, v54, v0, v8
	v_pk_fma_f16 v8, v55, v0, v10
	v_pk_fma_f16 v0, v79, v0, v11
	s_delay_alu instid0(VALU_DEP_4) | instskip(NEXT) | instid1(VALU_DEP_4)
	v_pk_fma_f16 v6, v36, v1, v6
	v_pk_fma_f16 v7, v38, v1, v7
	s_delay_alu instid0(VALU_DEP_4) | instskip(NEXT) | instid1(VALU_DEP_4)
	v_pk_fma_f16 v8, v41, v1, v8
	v_pk_fma_f16 v10, v44, v1, v0
	ds_load_2addr_b32 v[0:1], v34 offset0:14 offset1:15
	;; [unrolled: 12-line block ×3, first 2 shown]
	s_waitcnt lgkmcnt(0)
	v_pk_fma_f16 v6, v35, v0, v6
	v_pk_fma_f16 v7, v37, v0, v7
	;; [unrolled: 1-line block ×4, first 2 shown]
	s_delay_alu instid0(VALU_DEP_4) | instskip(NEXT) | instid1(VALU_DEP_4)
	v_pk_fma_f16 v10, v45, v1, v6
	v_pk_fma_f16 v11, v47, v1, v7
	ds_load_2addr_b32 v[6:7], v34 offset0:136 offset1:137
	v_pk_fma_f16 v8, v48, v1, v8
	v_pk_fma_f16 v84, v50, v1, v0
	v_pack_b32_f16 v0, v2, v3
	v_perm_b32 v1, v3, v2, 0x7060302
	v_pack_b32_f16 v2, v4, v5
	v_perm_b32 v3, v5, v4, 0x7060302
	ds_load_2addr_b32 v[4:5], v34 offset0:138 offset1:139
	v_pack_b32_f16 v85, v10, v11
	v_pk_add_f16 v0, v0, v1
	v_perm_b32 v10, v11, v10, 0x7060302
	v_pk_add_f16 v1, v2, v3
	ds_load_2addr_b32 v[2:3], v34 offset0:140 offset1:141
	v_pk_fma_f16 v26, v0, v17, v26
	v_pk_add_f16 v10, v85, v10
	v_pk_fma_f16 v25, v1, v18, v25
	ds_load_2addr_b32 v[0:1], v34 offset0:142 offset1:143
	s_waitcnt lgkmcnt(3)
	v_pk_fma_f16 v11, v53, v6, v83
	v_pk_fma_f16 v82, v56, v6, v82
	v_pk_fma_f16 v24, v10, v17, v24
	v_perm_b32 v83, v84, v8, 0x7060302
	s_delay_alu instid0(VALU_DEP_4) | instskip(NEXT) | instid1(VALU_DEP_4)
	v_pk_fma_f16 v11, v52, v7, v11
	v_pk_fma_f16 v82, v57, v7, v82
	s_waitcnt lgkmcnt(2)
	s_delay_alu instid0(VALU_DEP_2) | instskip(NEXT) | instid1(VALU_DEP_2)
	v_pk_fma_f16 v11, v66, v4, v11
	v_pk_fma_f16 v82, v58, v4, v82
	s_delay_alu instid0(VALU_DEP_2) | instskip(NEXT) | instid1(VALU_DEP_2)
	v_pk_fma_f16 v11, v39, v5, v11
	v_pk_fma_f16 v82, v42, v5, v82
	s_waitcnt lgkmcnt(1)
	s_delay_alu instid0(VALU_DEP_2) | instskip(NEXT) | instid1(VALU_DEP_2)
	v_pk_fma_f16 v11, v51, v2, v11
	v_pk_fma_f16 v82, v54, v2, v82
	s_delay_alu instid0(VALU_DEP_2) | instskip(NEXT) | instid1(VALU_DEP_2)
	;; [unrolled: 7-line block ×3, first 2 shown]
	v_pk_fma_f16 v11, v45, v1, v11
	v_pk_fma_f16 v85, v47, v1, v82
	v_pack_b32_f16 v82, v8, v84
	s_delay_alu instid0(VALU_DEP_2)
	v_pack_b32_f16 v84, v11, v85
	v_perm_b32 v85, v85, v11, 0x7060302
	ds_load_2addr_b32 v[10:11], v34 offset0:196 offset1:197
	s_waitcnt lgkmcnt(0)
	v_pk_fma_f16 v8, v89, v10, v88
	v_pk_fma_f16 v88, v59, v6, v91
	;; [unrolled: 1-line block ×5, first 2 shown]
	ds_load_2addr_b32 v[75:76], v34 offset0:200 offset1:201
	v_pk_fma_f16 v88, v60, v7, v88
	v_pk_fma_f16 v72, v72, v11, v87
	;; [unrolled: 1-line block ×6, first 2 shown]
	s_delay_alu instid0(VALU_DEP_1) | instskip(SKIP_4) | instid1(VALU_DEP_1)
	v_pk_fma_f16 v89, v46, v5, v88
	v_pk_fma_f16 v88, v9, v11, v8
	ds_load_2addr_b32 v[10:11], v34 offset0:202 offset1:203
	ds_load_2addr_b32 v[8:9], v34 offset0:198 offset1:199
	v_pk_fma_f16 v89, v55, v2, v89
	v_pk_fma_f16 v89, v41, v3, v89
	s_delay_alu instid0(VALU_DEP_1) | instskip(NEXT) | instid1(VALU_DEP_1)
	v_pk_fma_f16 v89, v40, v0, v89
	v_pk_fma_f16 v81, v48, v1, v89
	s_waitcnt lgkmcnt(0)
	v_pk_fma_f16 v64, v64, v8, v88
	v_pk_fma_f16 v62, v62, v8, v72
	;; [unrolled: 1-line block ×9, first 2 shown]
	ds_load_2addr_b32 v[6:7], v34 offset0:204 offset1:205
	v_pk_fma_f16 v9, v53, v75, v64
	v_pk_fma_f16 v53, v56, v75, v62
	;; [unrolled: 1-line block ×11, first 2 shown]
	ds_load_2addr_b32 v[8:9], v34 offset0:206 offset1:207
	v_pk_fma_f16 v34, v58, v10, v52
	v_pk_fma_f16 v52, v61, v10, v53
	;; [unrolled: 1-line block ×8, first 2 shown]
	s_waitcnt lgkmcnt(1)
	v_pk_fma_f16 v4, v51, v6, v5
	v_pk_fma_f16 v2, v44, v3, v2
	;; [unrolled: 1-line block ×10, first 2 shown]
	v_pk_add_f16 v7, v84, v85
	s_waitcnt lgkmcnt(0)
	v_pk_fma_f16 v2, v35, v8, v3
	v_pk_fma_f16 v3, v37, v8, v4
	;; [unrolled: 1-line block ×9, first 2 shown]
	v_pack_b32_f16 v5, v81, v0
	v_perm_b32 v0, v0, v81, 0x7060302
	v_pack_b32_f16 v6, v1, v2
	v_perm_b32 v1, v2, v1, 0x7060302
	;; [unrolled: 2-line block ×3, first 2 shown]
	v_pk_add_f16 v4, v82, v83
	v_pk_add_f16 v0, v5, v0
	;; [unrolled: 1-line block ×3, first 2 shown]
	v_pk_fma_f16 v21, v7, v17, v21
	v_pk_add_f16 v2, v2, v3
	v_pk_fma_f16 v23, v4, v18, v23
	v_pk_fma_f16 v20, v0, v18, v20
	;; [unrolled: 1-line block ×3, first 2 shown]
	s_delay_alu instid0(VALU_DEP_4)
	v_pk_fma_f16 v13, v2, v18, v13
	s_cbranch_scc1 .LBB28_48
.LBB28_31:                              ; =>This Inner Loop Header: Depth=1
	s_cmp_lg_u32 s15, s21
	s_cbranch_scc1 .LBB28_30
; %bb.32:                               ;   in Loop: Header=BB28_31 Depth=1
	s_add_i32 s14, s14, 1
                                        ; implicit-def: $vgpr2
	s_delay_alu instid0(SALU_CYCLE_1) | instskip(NEXT) | instid1(SALU_CYCLE_1)
	s_mul_i32 s25, s14, s16
	s_ashr_i32 s3, s25, 31
	s_delay_alu instid0(SALU_CYCLE_1) | instskip(NEXT) | instid1(SALU_CYCLE_1)
	s_lshr_b32 s3, s3, 27
	s_add_i32 s3, s25, s3
	s_delay_alu instid0(SALU_CYCLE_1) | instskip(NEXT) | instid1(SALU_CYCLE_1)
	s_ashr_i32 s3, s3, 5
	v_mad_u64_u32 v[0:1], null, s3, 3, v[14:15]
	s_delay_alu instid0(VALU_DEP_1) | instskip(NEXT) | instid1(VALU_DEP_1)
	v_ashrrev_i32_e32 v1, 31, v0
	v_lshlrev_b64 v[0:1], 2, v[0:1]
	s_delay_alu instid0(VALU_DEP_1) | instskip(NEXT) | instid1(VALU_DEP_1)
	v_add_co_u32 v0, s3, s6, v0
	v_add_co_ci_u32_e64 v1, s3, s7, v1, s3
	global_load_b32 v3, v[0:1], off
	s_and_saveexec_b32 s3, vcc_lo
	s_delay_alu instid0(SALU_CYCLE_1)
	s_xor_b32 s3, exec_lo, s3
	s_cbranch_execz .LBB28_46
; %bb.33:                               ;   in Loop: Header=BB28_31 Depth=1
                                        ; implicit-def: $vgpr2
	s_and_saveexec_b32 s26, s0
	s_delay_alu instid0(SALU_CYCLE_1)
	s_xor_b32 s26, exec_lo, s26
	s_cbranch_execz .LBB28_43
; %bb.34:                               ;   in Loop: Header=BB28_31 Depth=1
                                        ; implicit-def: $vgpr2
	s_and_saveexec_b32 s27, s1
	;; [unrolled: 6-line block ×3, first 2 shown]
	s_delay_alu instid0(SALU_CYCLE_1)
	s_xor_b32 s28, exec_lo, s28
	s_cbranch_execz .LBB28_37
; %bb.36:                               ;   in Loop: Header=BB28_31 Depth=1
	s_waitcnt vmcnt(0)
	v_lshrrev_b32_e32 v2, v28, v3
                                        ; implicit-def: $vgpr0_vgpr1
                                        ; implicit-def: $vgpr3
.LBB28_37:                              ;   in Loop: Header=BB28_31 Depth=1
	s_and_not1_saveexec_b32 s28, s28
	s_cbranch_execz .LBB28_39
; %bb.38:                               ;   in Loop: Header=BB28_31 Depth=1
	global_load_b32 v0, v[0:1], off offset:4
	s_waitcnt vmcnt(0)
	v_alignbit_b32 v0, v0, v3, 28
	s_delay_alu instid0(VALU_DEP_1)
	v_and_b32_e32 v2, 0xfff, v0
.LBB28_39:                              ;   in Loop: Header=BB28_31 Depth=1
	s_or_b32 exec_lo, exec_lo, s28
                                        ; implicit-def: $vgpr3
.LBB28_40:                              ;   in Loop: Header=BB28_31 Depth=1
	s_and_not1_saveexec_b32 s27, s27
	s_cbranch_execz .LBB28_42
; %bb.41:                               ;   in Loop: Header=BB28_31 Depth=1
	s_waitcnt vmcnt(0)
	v_lshrrev_b32_e32 v2, v29, v3
.LBB28_42:                              ;   in Loop: Header=BB28_31 Depth=1
	s_or_b32 exec_lo, exec_lo, s27
                                        ; implicit-def: $vgpr0_vgpr1
                                        ; implicit-def: $vgpr3
.LBB28_43:                              ;   in Loop: Header=BB28_31 Depth=1
	s_and_not1_saveexec_b32 s26, s26
	s_cbranch_execz .LBB28_45
; %bb.44:                               ;   in Loop: Header=BB28_31 Depth=1
	global_load_b32 v0, v[0:1], off offset:4
	s_waitcnt vmcnt(0)
	v_perm_b32 v0, v3, v0, 0x2010007
	s_delay_alu instid0(VALU_DEP_1)
	v_and_b32_e32 v2, 0xfff, v0
.LBB28_45:                              ;   in Loop: Header=BB28_31 Depth=1
	s_or_b32 exec_lo, exec_lo, s26
                                        ; implicit-def: $vgpr3
.LBB28_46:                              ;   in Loop: Header=BB28_31 Depth=1
	s_and_not1_saveexec_b32 s3, s3
	s_cbranch_execz .LBB28_29
; %bb.47:                               ;   in Loop: Header=BB28_31 Depth=1
	s_waitcnt vmcnt(0)
	v_lshrrev_b32_e32 v2, v22, v3
	s_branch .LBB28_29
.LBB28_48:
	s_delay_alu instid0(VALU_DEP_1) | instskip(SKIP_1) | instid1(VALU_DEP_1)
	v_mad_u64_u32 v[0:1], null, s12, s16, v[12:13]
	s_mov_b32 s0, 0
	v_ashrrev_i32_e32 v1, 31, v0
	s_delay_alu instid0(VALU_DEP_1) | instskip(NEXT) | instid1(VALU_DEP_1)
	v_lshlrev_b64 v[1:2], 1, v[0:1]
	v_add_co_u32 v1, vcc_lo, s10, v1
	s_delay_alu instid0(VALU_DEP_2)
	v_add_co_ci_u32_e32 v2, vcc_lo, s11, v2, vcc_lo
	global_load_b32 v4, v[1:2], off
.LBB28_49:                              ; =>This Inner Loop Header: Depth=1
	s_waitcnt vmcnt(0)
	v_pk_add_f16 v3, v26, v4
	global_atomic_cmpswap_b32 v3, v[1:2], v[3:4], off glc
	s_waitcnt vmcnt(0)
	v_cmp_eq_u32_e32 vcc_lo, v4, v3
	v_mov_b32_e32 v4, v3
	s_or_b32 s0, vcc_lo, s0
	s_delay_alu instid0(SALU_CYCLE_1)
	s_and_not1_b32 exec_lo, exec_lo, s0
	s_cbranch_execnz .LBB28_49
; %bb.50:
	s_or_b32 exec_lo, exec_lo, s0
	global_load_b32 v4, v[1:2], off offset:4
	s_mov_b32 s0, 0
.LBB28_51:                              ; =>This Inner Loop Header: Depth=1
	s_waitcnt vmcnt(0)
	v_pk_add_f16 v3, v25, v4
	global_atomic_cmpswap_b32 v3, v[1:2], v[3:4], off offset:4 glc
	s_waitcnt vmcnt(0)
	v_cmp_eq_u32_e32 vcc_lo, v4, v3
	v_mov_b32_e32 v4, v3
	s_or_b32 s0, vcc_lo, s0
	s_delay_alu instid0(SALU_CYCLE_1)
	s_and_not1_b32 exec_lo, exec_lo, s0
	s_cbranch_execnz .LBB28_51
; %bb.52:
	s_or_b32 exec_lo, exec_lo, s0
	v_add_nc_u32_e32 v0, s16, v0
	s_mov_b32 s0, 0
	s_delay_alu instid0(VALU_DEP_1) | instskip(NEXT) | instid1(VALU_DEP_1)
	v_ashrrev_i32_e32 v1, 31, v0
	v_lshlrev_b64 v[1:2], 1, v[0:1]
	s_delay_alu instid0(VALU_DEP_1) | instskip(NEXT) | instid1(VALU_DEP_2)
	v_add_co_u32 v1, vcc_lo, s10, v1
	v_add_co_ci_u32_e32 v2, vcc_lo, s11, v2, vcc_lo
	global_load_b32 v4, v[1:2], off
.LBB28_53:                              ; =>This Inner Loop Header: Depth=1
	s_waitcnt vmcnt(0)
	v_pk_add_f16 v3, v24, v4
	global_atomic_cmpswap_b32 v3, v[1:2], v[3:4], off glc
	s_waitcnt vmcnt(0)
	v_cmp_eq_u32_e32 vcc_lo, v4, v3
	v_mov_b32_e32 v4, v3
	s_or_b32 s0, vcc_lo, s0
	s_delay_alu instid0(SALU_CYCLE_1)
	s_and_not1_b32 exec_lo, exec_lo, s0
	s_cbranch_execnz .LBB28_53
; %bb.54:
	s_or_b32 exec_lo, exec_lo, s0
	global_load_b32 v4, v[1:2], off offset:4
	s_mov_b32 s0, 0
.LBB28_55:                              ; =>This Inner Loop Header: Depth=1
	s_waitcnt vmcnt(0)
	v_pk_add_f16 v3, v23, v4
	global_atomic_cmpswap_b32 v3, v[1:2], v[3:4], off offset:4 glc
	s_waitcnt vmcnt(0)
	v_cmp_eq_u32_e32 vcc_lo, v4, v3
	v_mov_b32_e32 v4, v3
	s_or_b32 s0, vcc_lo, s0
	s_delay_alu instid0(SALU_CYCLE_1)
	s_and_not1_b32 exec_lo, exec_lo, s0
	s_cbranch_execnz .LBB28_55
; %bb.56:
	s_or_b32 exec_lo, exec_lo, s0
	v_add_nc_u32_e32 v0, s16, v0
	s_mov_b32 s0, 0
	s_delay_alu instid0(VALU_DEP_1) | instskip(NEXT) | instid1(VALU_DEP_1)
	v_ashrrev_i32_e32 v1, 31, v0
	v_lshlrev_b64 v[1:2], 1, v[0:1]
	s_delay_alu instid0(VALU_DEP_1) | instskip(NEXT) | instid1(VALU_DEP_2)
	v_add_co_u32 v1, vcc_lo, s10, v1
	;; [unrolled: 37-line block ×3, first 2 shown]
	v_add_co_ci_u32_e32 v1, vcc_lo, s11, v1, vcc_lo
	global_load_b32 v3, v[0:1], off
.LBB28_61:                              ; =>This Inner Loop Header: Depth=1
	s_waitcnt vmcnt(0)
	v_pk_add_f16 v2, v19, v3
	global_atomic_cmpswap_b32 v2, v[0:1], v[2:3], off glc
	s_waitcnt vmcnt(0)
	v_cmp_eq_u32_e32 vcc_lo, v3, v2
	v_mov_b32_e32 v3, v2
	s_or_b32 s0, vcc_lo, s0
	s_delay_alu instid0(SALU_CYCLE_1)
	s_and_not1_b32 exec_lo, exec_lo, s0
	s_cbranch_execnz .LBB28_61
; %bb.62:
	s_or_b32 exec_lo, exec_lo, s0
	global_load_b32 v3, v[0:1], off offset:4
	s_mov_b32 s0, 0
.LBB28_63:                              ; =>This Inner Loop Header: Depth=1
	s_waitcnt vmcnt(0)
	v_pk_add_f16 v2, v13, v3
	global_atomic_cmpswap_b32 v2, v[0:1], v[2:3], off offset:4 glc
	s_waitcnt vmcnt(0)
	v_cmp_eq_u32_e32 vcc_lo, v3, v2
	v_mov_b32_e32 v3, v2
	s_or_b32 s0, vcc_lo, s0
	s_delay_alu instid0(SALU_CYCLE_1)
	s_and_not1_b32 exec_lo, exec_lo, s0
	s_cbranch_execnz .LBB28_63
.LBB28_64:
	s_endpgm
	.section	.rodata,"a",@progbits
	.p2align	6, 0x0
	.amdhsa_kernel _ZN4vllm4gptq33gemm_half_q_half_gptq_3bit_kernelILb1ELi4EEEvPK6__halfPKjS6_S4_PS2_iiiibPKi
		.amdhsa_group_segment_fixed_size 1024
		.amdhsa_private_segment_fixed_size 0
		.amdhsa_kernarg_size 72
		.amdhsa_user_sgpr_count 13
		.amdhsa_user_sgpr_dispatch_ptr 0
		.amdhsa_user_sgpr_queue_ptr 0
		.amdhsa_user_sgpr_kernarg_segment_ptr 1
		.amdhsa_user_sgpr_dispatch_id 0
		.amdhsa_user_sgpr_private_segment_size 0
		.amdhsa_wavefront_size32 1
		.amdhsa_uses_dynamic_stack 0
		.amdhsa_enable_private_segment 0
		.amdhsa_system_sgpr_workgroup_id_x 1
		.amdhsa_system_sgpr_workgroup_id_y 1
		.amdhsa_system_sgpr_workgroup_id_z 1
		.amdhsa_system_sgpr_workgroup_info 0
		.amdhsa_system_vgpr_workitem_id 0
		.amdhsa_next_free_vgpr 105
		.amdhsa_next_free_sgpr 29
		.amdhsa_reserve_vcc 1
		.amdhsa_float_round_mode_32 0
		.amdhsa_float_round_mode_16_64 0
		.amdhsa_float_denorm_mode_32 3
		.amdhsa_float_denorm_mode_16_64 3
		.amdhsa_dx10_clamp 1
		.amdhsa_ieee_mode 1
		.amdhsa_fp16_overflow 0
		.amdhsa_workgroup_processor_mode 1
		.amdhsa_memory_ordered 1
		.amdhsa_forward_progress 0
		.amdhsa_shared_vgpr_count 0
		.amdhsa_exception_fp_ieee_invalid_op 0
		.amdhsa_exception_fp_denorm_src 0
		.amdhsa_exception_fp_ieee_div_zero 0
		.amdhsa_exception_fp_ieee_overflow 0
		.amdhsa_exception_fp_ieee_underflow 0
		.amdhsa_exception_fp_ieee_inexact 0
		.amdhsa_exception_int_div_zero 0
	.end_amdhsa_kernel
	.section	.text._ZN4vllm4gptq33gemm_half_q_half_gptq_3bit_kernelILb1ELi4EEEvPK6__halfPKjS6_S4_PS2_iiiibPKi,"axG",@progbits,_ZN4vllm4gptq33gemm_half_q_half_gptq_3bit_kernelILb1ELi4EEEvPK6__halfPKjS6_S4_PS2_iiiibPKi,comdat
.Lfunc_end28:
	.size	_ZN4vllm4gptq33gemm_half_q_half_gptq_3bit_kernelILb1ELi4EEEvPK6__halfPKjS6_S4_PS2_iiiibPKi, .Lfunc_end28-_ZN4vllm4gptq33gemm_half_q_half_gptq_3bit_kernelILb1ELi4EEEvPK6__halfPKjS6_S4_PS2_iiiibPKi
                                        ; -- End function
	.section	.AMDGPU.csdata,"",@progbits
; Kernel info:
; codeLenInByte = 7752
; NumSgprs: 31
; NumVgprs: 105
; ScratchSize: 0
; MemoryBound: 0
; FloatMode: 240
; IeeeMode: 1
; LDSByteSize: 1024 bytes/workgroup (compile time only)
; SGPRBlocks: 3
; VGPRBlocks: 13
; NumSGPRsForWavesPerEU: 31
; NumVGPRsForWavesPerEU: 105
; Occupancy: 12
; WaveLimiterHint : 0
; COMPUTE_PGM_RSRC2:SCRATCH_EN: 0
; COMPUTE_PGM_RSRC2:USER_SGPR: 13
; COMPUTE_PGM_RSRC2:TRAP_HANDLER: 0
; COMPUTE_PGM_RSRC2:TGID_X_EN: 1
; COMPUTE_PGM_RSRC2:TGID_Y_EN: 1
; COMPUTE_PGM_RSRC2:TGID_Z_EN: 1
; COMPUTE_PGM_RSRC2:TIDIG_COMP_CNT: 0
	.section	.text._ZN4vllm4gptq33gemm_half_q_half_gptq_4bit_kernelILb1ELi4EEEvPK6__halfPKjS6_S4_PS2_iiiibPKi,"axG",@progbits,_ZN4vllm4gptq33gemm_half_q_half_gptq_4bit_kernelILb1ELi4EEEvPK6__halfPKjS6_S4_PS2_iiiibPKi,comdat
	.protected	_ZN4vllm4gptq33gemm_half_q_half_gptq_4bit_kernelILb1ELi4EEEvPK6__halfPKjS6_S4_PS2_iiiibPKi ; -- Begin function _ZN4vllm4gptq33gemm_half_q_half_gptq_4bit_kernelILb1ELi4EEEvPK6__halfPKjS6_S4_PS2_iiiibPKi
	.globl	_ZN4vllm4gptq33gemm_half_q_half_gptq_4bit_kernelILb1ELi4EEEvPK6__halfPKjS6_S4_PS2_iiiibPKi
	.p2align	8
	.type	_ZN4vllm4gptq33gemm_half_q_half_gptq_4bit_kernelILb1ELi4EEEvPK6__halfPKjS6_S4_PS2_iiiibPKi,@function
_ZN4vllm4gptq33gemm_half_q_half_gptq_4bit_kernelILb1ELi4EEEvPK6__halfPKjS6_S4_PS2_iiiibPKi: ; @_ZN4vllm4gptq33gemm_half_q_half_gptq_4bit_kernelILb1ELi4EEEvPK6__halfPKjS6_S4_PS2_iiiibPKi
; %bb.0:
	s_load_b128 s[16:19], s[0:1], 0x2c
	s_lshl_b32 s15, s15, 7
	s_load_b256 s[4:11], s[0:1], 0x8
	s_add_i32 s2, s15, 0x80
	s_lshl_b32 s12, s14, 2
	v_cvt_f64_u32_e32 v[1:2], s2
	s_mov_b32 s14, exec_lo
	s_waitcnt lgkmcnt(0)
	v_cvt_f64_i32_e32 v[3:4], s17
	s_delay_alu instid0(VALU_DEP_1) | instskip(NEXT) | instid1(VALU_DEP_1)
	v_min_f64 v[1:2], v[1:2], v[3:4]
	v_cvt_i32_f64_e32 v2, v[1:2]
	v_add_nc_u32_e32 v1, s15, v0
	s_delay_alu instid0(VALU_DEP_2) | instskip(NEXT) | instid1(VALU_DEP_2)
	v_readfirstlane_b32 s20, v2
	v_cmpx_lt_u32_e64 v1, v2
	s_cbranch_execz .LBB29_10
; %bb.1:
	s_clause 0x1
	s_load_b64 s[2:3], s[0:1], 0x40
	s_load_b64 s[0:1], s[0:1], 0x0
	v_mov_b32_e32 v2, 0
	s_delay_alu instid0(VALU_DEP_1) | instskip(SKIP_2) | instid1(VALU_DEP_2)
	v_lshlrev_b64 v[3:4], 2, v[1:2]
	v_dual_mov_b32 v6, v2 :: v_dual_mov_b32 v5, v1
	s_waitcnt lgkmcnt(0)
	v_add_co_u32 v3, vcc_lo, s2, v3
	s_delay_alu instid0(VALU_DEP_3)
	v_add_co_ci_u32_e32 v4, vcc_lo, s3, v4, vcc_lo
	s_cmp_lg_u64 s[2:3], 0
	s_cselect_b32 s21, -1, 0
	s_cmp_eq_u64 s[2:3], 0
	s_cbranch_scc1 .LBB29_3
; %bb.2:
	global_load_b32 v5, v[3:4], off
	s_waitcnt vmcnt(0)
	v_ashrrev_i32_e32 v6, 31, v5
.LBB29_3:
	s_mul_i32 s2, s12, s17
	s_delay_alu instid0(VALU_DEP_1)
	v_lshlrev_b64 v[5:6], 1, v[5:6]
	s_ashr_i32 s3, s2, 31
	v_lshlrev_b32_e32 v7, 1, v0
	s_lshl_b64 s[22:23], s[2:3], 1
	v_cndmask_b32_e64 v8, 0, 1, s21
	s_add_u32 s3, s0, s22
	s_addc_u32 s22, s1, s23
	v_add_co_u32 v5, vcc_lo, s3, v5
	v_add_co_ci_u32_e32 v6, vcc_lo, s22, v6, vcc_lo
	s_and_not1_b32 vcc_lo, exec_lo, s21
	global_load_u16 v9, v[5:6], off
	v_dual_mov_b32 v6, v2 :: v_dual_mov_b32 v5, v1
	s_waitcnt vmcnt(0)
	ds_store_b16 v7, v9
	s_cbranch_vccnz .LBB29_5
; %bb.4:
	global_load_b32 v5, v[3:4], off
	s_waitcnt vmcnt(0)
	v_ashrrev_i32_e32 v6, 31, v5
.LBB29_5:
	s_add_i32 s2, s2, s17
	s_delay_alu instid0(VALU_DEP_1) | instskip(SKIP_1) | instid1(SALU_CYCLE_1)
	v_lshlrev_b64 v[5:6], 1, v[5:6]
	s_ashr_i32 s3, s2, 31
	s_lshl_b64 s[22:23], s[2:3], 1
	s_delay_alu instid0(SALU_CYCLE_1) | instskip(SKIP_1) | instid1(VALU_DEP_1)
	s_add_u32 s3, s0, s22
	s_addc_u32 s21, s1, s23
	v_add_co_u32 v5, vcc_lo, s3, v5
	v_add_co_ci_u32_e32 v6, vcc_lo, s21, v6, vcc_lo
	v_cmp_ne_u32_e32 vcc_lo, 1, v8
	global_load_u16 v9, v[5:6], off
	v_dual_mov_b32 v6, v2 :: v_dual_mov_b32 v5, v1
	s_waitcnt vmcnt(0)
	ds_store_b16 v7, v9 offset:256
	s_cbranch_vccnz .LBB29_7
; %bb.6:
	global_load_b32 v5, v[3:4], off
	s_waitcnt vmcnt(0)
	v_ashrrev_i32_e32 v6, 31, v5
.LBB29_7:
	s_add_i32 s2, s2, s17
	s_delay_alu instid0(VALU_DEP_1) | instskip(SKIP_1) | instid1(SALU_CYCLE_1)
	v_lshlrev_b64 v[5:6], 1, v[5:6]
	s_ashr_i32 s3, s2, 31
	s_lshl_b64 s[22:23], s[2:3], 1
	s_delay_alu instid0(SALU_CYCLE_1) | instskip(SKIP_1) | instid1(VALU_DEP_1)
	s_add_u32 s3, s0, s22
	s_addc_u32 s21, s1, s23
	v_add_co_u32 v5, vcc_lo, s3, v5
	v_add_co_ci_u32_e32 v6, vcc_lo, s21, v6, vcc_lo
	v_cmp_ne_u32_e32 vcc_lo, 1, v8
	global_load_u16 v5, v[5:6], off
	s_waitcnt vmcnt(0)
	ds_store_b16 v7, v5 offset:512
	s_cbranch_vccnz .LBB29_9
; %bb.8:
	global_load_b32 v1, v[3:4], off
	s_waitcnt vmcnt(0)
	v_ashrrev_i32_e32 v2, 31, v1
.LBB29_9:
	s_add_i32 s2, s2, s17
	s_delay_alu instid0(VALU_DEP_1) | instskip(SKIP_1) | instid1(SALU_CYCLE_1)
	v_lshlrev_b64 v[1:2], 1, v[1:2]
	s_ashr_i32 s3, s2, 31
	s_lshl_b64 s[2:3], s[2:3], 1
	s_delay_alu instid0(SALU_CYCLE_1) | instskip(SKIP_1) | instid1(VALU_DEP_1)
	s_add_u32 s0, s0, s2
	s_addc_u32 s1, s1, s3
	v_add_co_u32 v1, vcc_lo, s0, v1
	v_add_co_ci_u32_e32 v2, vcc_lo, s1, v2, vcc_lo
	global_load_u16 v1, v[1:2], off
	s_waitcnt vmcnt(0)
	ds_store_b16 v7, v1 offset:768
.LBB29_10:
	s_or_b32 exec_lo, exec_lo, s14
	v_lshlrev_b32_e32 v1, 2, v0
	s_mov_b32 s0, exec_lo
	s_delay_alu instid0(VALU_DEP_1) | instskip(NEXT) | instid1(VALU_DEP_1)
	v_lshl_add_u32 v1, s13, 9, v1
	v_cmpx_gt_i32_e64 s16, v1
	s_cbranch_execz .LBB29_33
; %bb.11:
	s_abs_i32 s0, s18
	v_dual_mov_b32 v5, 0 :: v_dual_mov_b32 v6, 0
	v_cvt_f32_u32_e32 v2, s0
	v_dual_mov_b32 v7, 0 :: v_dual_mov_b32 v8, 0
	v_dual_mov_b32 v9, 0 :: v_dual_mov_b32 v10, 0
	s_delay_alu instid0(VALU_DEP_3)
	v_rcp_iflag_f32_e32 v2, v2
	v_dual_mov_b32 v11, 0 :: v_dual_mov_b32 v12, 0
	v_mov_b32_e32 v13, 0
	v_dual_mov_b32 v21, 0 :: v_dual_mov_b32 v22, 0
	v_dual_mov_b32 v24, 0 :: v_dual_mov_b32 v25, 0
	;; [unrolled: 1-line block ×3, first 2 shown]
	s_waitcnt_depctr 0xfff
	v_mul_f32_e32 v2, 0x4f7ffffe, v2
	v_mov_b32_e32 v28, 0
	s_cmp_ge_i32 s15, s20
	s_mov_b32 s13, 0
	s_waitcnt lgkmcnt(0)
	v_cvt_u32_f32_e32 v2, v2
	s_barrier
	buffer_gl0_inv
	v_readfirstlane_b32 s1, v2
	s_cbranch_scc1 .LBB29_17
; %bb.12:
	s_sub_i32 s2, 0, s0
	s_abs_i32 s3, s17
	s_delay_alu instid0(VALU_DEP_1)
	s_mul_i32 s2, s2, s1
	s_ashr_i32 s14, s18, 31
	s_mul_hi_u32 s2, s1, s2
	v_dual_mov_b32 v10, 0 :: v_dual_lshlrev_b32 v25, 4, v0
	s_add_i32 s1, s1, s2
	s_ashr_i32 s2, s17, 31
	s_mul_hi_u32 s1, s3, s1
	s_xor_b32 s2, s2, s14
	s_mul_i32 s17, s1, s0
	s_add_i32 s14, s1, 1
	s_sub_i32 s3, s3, s17
	v_and_b32_e32 v21, 16, v25
	s_sub_i32 s17, s3, s0
	s_cmp_ge_u32 s3, s0
	v_dual_mov_b32 v9, 0 :: v_dual_mov_b32 v14, 0
	s_cselect_b32 s1, s14, s1
	s_cselect_b32 s3, s17, s3
	s_add_i32 s14, s1, 1
	s_cmp_ge_u32 s3, s0
	v_dual_mov_b32 v11, 0 :: v_dual_mov_b32 v16, 0
	s_cselect_b32 s0, s14, s1
	v_dual_mov_b32 v13, 0 :: v_dual_mov_b32 v18, 0
	s_xor_b32 s0, s0, s2
	v_dual_mov_b32 v15, 0 :: v_dual_mov_b32 v20, 0
	s_sub_i32 s14, s0, s2
	s_bitcmp1_b32 s19, 0
	v_cvt_f32_u32_e32 v2, s14
	s_cselect_b32 s1, -1, 0
	s_sub_i32 s2, 0, s14
	s_xor_b32 s3, s1, -1
	v_mov_b32_e32 v0, 0
	v_rcp_iflag_f32_e32 v2, v2
	v_cndmask_b32_e64 v22, 0, 1, s3
	v_mov_b32_e32 v12, 0
	s_waitcnt_depctr 0xfff
	v_mul_f32_e32 v2, 0x4f7ffffe, v2
	s_delay_alu instid0(VALU_DEP_1) | instskip(NEXT) | instid1(VALU_DEP_1)
	v_cvt_u32_f32_e32 v2, v2
	v_readfirstlane_b32 s0, v2
	v_ashrrev_i32_e32 v2, 31, v1
	s_delay_alu instid0(VALU_DEP_2) | instskip(NEXT) | instid1(VALU_DEP_1)
	s_mul_i32 s2, s2, s0
	v_lshrrev_b32_e32 v3, 29, v2
	s_mul_hi_u32 s2, s0, s2
	s_delay_alu instid0(SALU_CYCLE_1) | instskip(NEXT) | instid1(VALU_DEP_1)
	s_add_i32 s0, s0, s2
	v_add_nc_u32_e32 v3, v1, v3
	s_mul_hi_u32 s0, s15, s0
	s_delay_alu instid0(SALU_CYCLE_1) | instskip(NEXT) | instid1(SALU_CYCLE_1)
	s_mul_i32 s2, s0, s14
	s_sub_i32 s1, s15, s2
	s_add_i32 s2, s0, 1
	s_sub_i32 s17, s1, s14
	s_cmp_ge_u32 s1, s14
	v_ashrrev_i32_e32 v6, 3, v3
	s_cselect_b32 s0, s2, s0
	s_cselect_b32 s1, s17, s1
	s_add_i32 s2, s0, 1
	s_cmp_ge_u32 s1, s14
	s_cselect_b32 s18, s2, s0
	s_delay_alu instid0(SALU_CYCLE_1) | instskip(NEXT) | instid1(SALU_CYCLE_1)
	s_mul_i32 s0, s18, s16
	s_ashr_i32 s1, s0, 31
	v_add_nc_u32_e32 v3, s0, v1
	s_lshr_b32 s1, s1, 29
	s_delay_alu instid0(SALU_CYCLE_1) | instskip(NEXT) | instid1(SALU_CYCLE_1)
	s_add_i32 s0, s0, s1
	s_ashr_i32 s0, s0, 3
	s_delay_alu instid0(VALU_DEP_1) | instskip(SKIP_2) | instid1(SALU_CYCLE_1)
	v_ashrrev_i32_e32 v4, 31, v3
	v_add_nc_u32_e32 v7, s0, v6
	s_lshr_b32 s0, s15, 3
	s_mul_i32 s0, s0, s16
	s_delay_alu instid0(VALU_DEP_2) | instskip(NEXT) | instid1(VALU_DEP_2)
	v_lshlrev_b64 v[3:4], 1, v[3:4]
	v_ashrrev_i32_e32 v8, 31, v7
	s_ashr_i32 s1, s0, 31
	s_delay_alu instid0(SALU_CYCLE_1) | instskip(NEXT) | instid1(VALU_DEP_1)
	s_lshl_b64 s[0:1], s[0:1], 2
	v_lshlrev_b64 v[7:8], 2, v[7:8]
	s_delay_alu instid0(VALU_DEP_3) | instskip(SKIP_2) | instid1(VALU_DEP_3)
	v_add_co_u32 v3, vcc_lo, s8, v3
	v_add_co_ci_u32_e32 v4, vcc_lo, s9, v4, vcc_lo
	s_add_u32 s0, s4, s0
	v_add_co_u32 v7, vcc_lo, s6, v7
	s_delay_alu instid0(VALU_DEP_4)
	v_add_co_ci_u32_e32 v8, vcc_lo, s7, v8, vcc_lo
	global_load_b64 v[4:5], v[3:4], off
	global_load_b32 v23, v[7:8], off
	v_mov_b32_e32 v8, 0
	v_lshlrev_b64 v[2:3], 2, v[1:2]
	s_addc_u32 s1, s5, s1
	v_mov_b32_e32 v7, 0
	s_ashr_i32 s17, s16, 31
	s_add_i32 s4, s14, s15
	s_lshl_b64 s[2:3], s[16:17], 2
	v_add_co_u32 v2, vcc_lo, s0, v2
	v_add_co_ci_u32_e32 v3, vcc_lo, s1, v3, vcc_lo
	s_lshl_b64 s[0:1], s[16:17], 4
	s_mov_b32 s5, 0xf000f
	s_mov_b32 s17, 0xf000f0
	s_waitcnt vmcnt(1)
	v_cvt_f32_f16_e32 v24, v4
	v_lshrrev_b32_e32 v4, 16, v4
	s_waitcnt vmcnt(0)
	v_lshrrev_b32_e32 v27, v25, v23
	v_cvt_f32_f16_e32 v25, v5
	v_lshrrev_b32_e32 v5, 16, v5
	v_bfe_u32 v23, v23, v21, 4
	v_cvt_f32_f16_e32 v26, v4
	v_bfe_u32 v4, v27, 12, 4
	v_bfe_u32 v28, v27, 8, 4
	;; [unrolled: 1-line block ×3, first 2 shown]
	v_mov_b32_e32 v17, 0
	v_mov_b32_e32 v19, 0
	v_add_nc_u32_e32 v23, v23, v22
	v_cvt_f32_f16_e32 v27, v5
	v_add_nc_u32_e32 v4, v4, v22
	v_add_nc_u32_e32 v5, v28, v22
	;; [unrolled: 1-line block ×3, first 2 shown]
	v_cvt_f32_ubyte0_e32 v29, v23
	v_or_b32_e32 v23, 0xffffe400, v23
	v_cvt_f32_ubyte0_e32 v30, v4
	v_or_b32_e32 v4, 0xffffe400, v4
	v_cvt_f32_ubyte0_e32 v31, v5
	v_cvt_f32_ubyte0_e32 v32, v28
	v_or_b32_e32 v5, 0xffffe400, v5
	v_or_b32_e32 v33, 0xffffe400, v28
	v_cvt_f16_f32_e32 v34, v29
	v_perm_b32 v28, v23, v23, 0x5040100
	v_cvt_f16_f32_e32 v23, v30
	v_perm_b32 v30, v4, v4, 0x5040100
	v_cvt_f16_f32_e32 v4, v31
	v_cvt_f16_f32_e32 v31, v32
	v_perm_b32 v29, v5, v5, 0x5040100
	v_sub_f16_e32 v5, 0xd400, v34
	v_sub_f16_e32 v23, 0xd400, v23
	;; [unrolled: 1-line block ×4, first 2 shown]
	v_perm_b32 v31, v33, v33, 0x5040100
	v_pack_b32_f16 v32, v5, v5
	v_pack_b32_f16 v33, v23, v23
	;; [unrolled: 1-line block ×4, first 2 shown]
	v_mov_b32_e32 v23, 0
	s_branch .LBB29_14
.LBB29_13:                              ;   in Loop: Header=BB29_14 Depth=1
	global_load_b128 v[36:39], v[2:3], off
	s_add_i32 s15, s15, 32
	s_waitcnt vmcnt(0)
	v_and_or_b32 v4, v36, s5, 0x64006400
	v_and_or_b32 v5, v36, s17, 0x64006400
	v_lshrrev_b32_e32 v36, 8, v36
	s_delay_alu instid0(VALU_DEP_3) | instskip(NEXT) | instid1(VALU_DEP_3)
	v_pk_add_f16 v41, v28, v4
	v_pk_fma_f16 v42, 0x2c00, v5, v32 op_sel_hi:[0,1,1]
	s_delay_alu instid0(VALU_DEP_3) | instskip(SKIP_3) | instid1(VALU_DEP_4)
	v_and_or_b32 v40, v36, s5, 0x64006400
	v_and_or_b32 v36, v36, s17, 0x64006400
	;; [unrolled: 1-line block ×4, first 2 shown]
	v_pk_add_f16 v40, v28, v40
	s_delay_alu instid0(VALU_DEP_4)
	v_pk_fma_f16 v43, 0x2c00, v36, v32 op_sel_hi:[0,1,1]
	v_lshrrev_b32_e32 v36, 8, v37
	v_pk_add_f16 v44, v31, v4
	v_pk_fma_f16 v45, 0x2c00, v5, v35 op_sel_hi:[0,1,1]
	v_and_or_b32 v4, v38, s5, 0x64006400
	v_and_or_b32 v5, v38, s17, 0x64006400
	;; [unrolled: 1-line block ×4, first 2 shown]
	s_delay_alu instid0(VALU_DEP_4) | instskip(NEXT) | instid1(VALU_DEP_4)
	v_pk_add_f16 v48, v29, v4
	v_pk_fma_f16 v49, 0x2c00, v5, v34 op_sel_hi:[0,1,1]
	s_delay_alu instid0(VALU_DEP_4) | instskip(NEXT) | instid1(VALU_DEP_4)
	v_pk_add_f16 v46, v31, v37
	v_pk_fma_f16 v47, 0x2c00, v36, v35 op_sel_hi:[0,1,1]
	v_lshrrev_b32_e32 v36, 8, v38
	v_and_or_b32 v4, v39, s5, 0x64006400
	v_and_or_b32 v5, v39, s17, 0x64006400
	s_delay_alu instid0(VALU_DEP_3) | instskip(SKIP_1) | instid1(VALU_DEP_3)
	v_and_or_b32 v37, v36, s5, 0x64006400
	v_and_or_b32 v36, v36, s17, 0x64006400
	v_pk_fma_f16 v52, 0x2c00, v5, v33 op_sel_hi:[0,1,1]
	s_delay_alu instid0(VALU_DEP_3) | instskip(NEXT) | instid1(VALU_DEP_3)
	v_pk_add_f16 v50, v29, v37
	v_pk_fma_f16 v51, 0x2c00, v36, v34 op_sel_hi:[0,1,1]
	v_lshrrev_b32_e32 v36, 8, v39
	v_pk_add_f16 v39, v30, v4
	s_delay_alu instid0(VALU_DEP_2) | instskip(SKIP_1) | instid1(VALU_DEP_2)
	v_and_or_b32 v37, v36, s5, 0x64006400
	v_and_or_b32 v36, v36, s17, 0x64006400
	v_pk_add_f16 v53, v30, v37
	s_delay_alu instid0(VALU_DEP_2)
	v_pk_fma_f16 v54, 0x2c00, v36, v33 op_sel_hi:[0,1,1]
	v_mov_b32_e32 v36, s13
	s_add_i32 s13, s13, 64
	s_cmp_ge_i32 s15, s20
	ds_load_2addr_b32 v[4:5], v36 offset1:1
	s_waitcnt lgkmcnt(0)
	v_pk_fma_f16 v37, v41, v4, 0
	s_delay_alu instid0(VALU_DEP_1) | instskip(SKIP_3) | instid1(VALU_DEP_1)
	v_pk_fma_f16 v55, v42, v5, v37
	ds_load_2addr_b32 v[37:38], v36 offset0:2 offset1:3
	s_waitcnt lgkmcnt(0)
	v_pk_fma_f16 v55, v40, v37, v55
	v_pk_fma_f16 v55, v43, v38, v55
	s_delay_alu instid0(VALU_DEP_1) | instskip(SKIP_1) | instid1(VALU_DEP_1)
	v_cvt_f32_f16_e32 v56, v55
	v_lshrrev_b32_e32 v55, 16, v55
	v_cvt_f32_f16_e32 v55, v55
	s_delay_alu instid0(VALU_DEP_1) | instskip(NEXT) | instid1(VALU_DEP_1)
	v_add_f32_e32 v55, v56, v55
	v_fmac_f32_e32 v0, v55, v24
	v_pk_fma_f16 v55, v44, v4, 0
	s_delay_alu instid0(VALU_DEP_1) | instskip(NEXT) | instid1(VALU_DEP_1)
	v_pk_fma_f16 v55, v45, v5, v55
	v_pk_fma_f16 v55, v46, v37, v55
	s_delay_alu instid0(VALU_DEP_1) | instskip(NEXT) | instid1(VALU_DEP_1)
	v_pk_fma_f16 v55, v47, v38, v55
	v_cvt_f32_f16_e32 v56, v55
	v_lshrrev_b32_e32 v55, 16, v55
	s_delay_alu instid0(VALU_DEP_1) | instskip(NEXT) | instid1(VALU_DEP_1)
	v_cvt_f32_f16_e32 v55, v55
	v_add_f32_e32 v55, v56, v55
	s_delay_alu instid0(VALU_DEP_1) | instskip(SKIP_2) | instid1(VALU_DEP_2)
	v_fmac_f32_e32 v7, v55, v26
	v_pk_fma_f16 v55, v48, v4, 0
	v_pk_fma_f16 v4, v39, v4, 0
	;; [unrolled: 1-line block ×3, first 2 shown]
	s_delay_alu instid0(VALU_DEP_2) | instskip(NEXT) | instid1(VALU_DEP_2)
	v_pk_fma_f16 v4, v52, v5, v4
	v_pk_fma_f16 v55, v50, v37, v55
	s_delay_alu instid0(VALU_DEP_2) | instskip(NEXT) | instid1(VALU_DEP_2)
	v_pk_fma_f16 v4, v53, v37, v4
	v_pk_fma_f16 v55, v51, v38, v55
	s_delay_alu instid0(VALU_DEP_2) | instskip(NEXT) | instid1(VALU_DEP_2)
	v_pk_fma_f16 v4, v54, v38, v4
	v_cvt_f32_f16_e32 v56, v55
	v_lshrrev_b32_e32 v55, 16, v55
	s_delay_alu instid0(VALU_DEP_3) | instskip(SKIP_1) | instid1(VALU_DEP_3)
	v_cvt_f32_f16_e32 v5, v4
	v_lshrrev_b32_e32 v4, 16, v4
	v_cvt_f32_f16_e32 v55, v55
	s_delay_alu instid0(VALU_DEP_2) | instskip(NEXT) | instid1(VALU_DEP_1)
	v_cvt_f32_f16_e32 v4, v4
	v_dual_add_f32 v55, v56, v55 :: v_dual_add_f32 v4, v5, v4
	s_delay_alu instid0(VALU_DEP_1) | instskip(SKIP_3) | instid1(VALU_DEP_1)
	v_dual_fmac_f32 v8, v55, v25 :: v_dual_fmac_f32 v9, v4, v27
	ds_load_2addr_b32 v[4:5], v36 offset0:64 offset1:65
	s_waitcnt lgkmcnt(0)
	v_pk_fma_f16 v37, v41, v4, 0
	v_pk_fma_f16 v55, v42, v5, v37
	ds_load_2addr_b32 v[37:38], v36 offset0:66 offset1:67
	s_waitcnt lgkmcnt(0)
	v_pk_fma_f16 v55, v40, v37, v55
	s_delay_alu instid0(VALU_DEP_1) | instskip(NEXT) | instid1(VALU_DEP_1)
	v_pk_fma_f16 v55, v43, v38, v55
	v_cvt_f32_f16_e32 v56, v55
	v_lshrrev_b32_e32 v55, 16, v55
	s_delay_alu instid0(VALU_DEP_1) | instskip(NEXT) | instid1(VALU_DEP_1)
	v_cvt_f32_f16_e32 v55, v55
	v_add_f32_e32 v55, v56, v55
	s_delay_alu instid0(VALU_DEP_1) | instskip(SKIP_1) | instid1(VALU_DEP_1)
	v_fmac_f32_e32 v10, v55, v24
	v_pk_fma_f16 v55, v44, v4, 0
	v_pk_fma_f16 v55, v45, v5, v55
	s_delay_alu instid0(VALU_DEP_1) | instskip(NEXT) | instid1(VALU_DEP_1)
	v_pk_fma_f16 v55, v46, v37, v55
	v_pk_fma_f16 v55, v47, v38, v55
	s_delay_alu instid0(VALU_DEP_1) | instskip(SKIP_1) | instid1(VALU_DEP_1)
	v_cvt_f32_f16_e32 v56, v55
	v_lshrrev_b32_e32 v55, 16, v55
	v_cvt_f32_f16_e32 v55, v55
	s_delay_alu instid0(VALU_DEP_1) | instskip(NEXT) | instid1(VALU_DEP_1)
	v_add_f32_e32 v55, v56, v55
	v_fmac_f32_e32 v11, v55, v26
	v_pk_fma_f16 v55, v48, v4, 0
	v_pk_fma_f16 v4, v39, v4, 0
	s_delay_alu instid0(VALU_DEP_2) | instskip(NEXT) | instid1(VALU_DEP_2)
	v_pk_fma_f16 v55, v49, v5, v55
	v_pk_fma_f16 v4, v52, v5, v4
	s_delay_alu instid0(VALU_DEP_2) | instskip(NEXT) | instid1(VALU_DEP_2)
	v_pk_fma_f16 v55, v50, v37, v55
	v_pk_fma_f16 v4, v53, v37, v4
	s_delay_alu instid0(VALU_DEP_2) | instskip(NEXT) | instid1(VALU_DEP_2)
	v_pk_fma_f16 v55, v51, v38, v55
	v_pk_fma_f16 v4, v54, v38, v4
	s_delay_alu instid0(VALU_DEP_2) | instskip(SKIP_1) | instid1(VALU_DEP_3)
	v_cvt_f32_f16_e32 v56, v55
	v_lshrrev_b32_e32 v55, 16, v55
	v_cvt_f32_f16_e32 v5, v4
	v_lshrrev_b32_e32 v4, 16, v4
	s_delay_alu instid0(VALU_DEP_3) | instskip(NEXT) | instid1(VALU_DEP_2)
	v_cvt_f32_f16_e32 v55, v55
	v_cvt_f32_f16_e32 v4, v4
	s_delay_alu instid0(VALU_DEP_1) | instskip(NEXT) | instid1(VALU_DEP_1)
	v_dual_add_f32 v55, v56, v55 :: v_dual_add_f32 v4, v5, v4
	v_dual_fmac_f32 v12, v55, v25 :: v_dual_fmac_f32 v13, v4, v27
	ds_load_2addr_b32 v[4:5], v36 offset0:128 offset1:129
	s_waitcnt lgkmcnt(0)
	v_pk_fma_f16 v37, v41, v4, 0
	s_delay_alu instid0(VALU_DEP_1) | instskip(SKIP_3) | instid1(VALU_DEP_1)
	v_pk_fma_f16 v55, v42, v5, v37
	ds_load_2addr_b32 v[37:38], v36 offset0:130 offset1:131
	s_waitcnt lgkmcnt(0)
	v_pk_fma_f16 v55, v40, v37, v55
	v_pk_fma_f16 v55, v43, v38, v55
	s_delay_alu instid0(VALU_DEP_1) | instskip(SKIP_1) | instid1(VALU_DEP_1)
	v_cvt_f32_f16_e32 v56, v55
	v_lshrrev_b32_e32 v55, 16, v55
	v_cvt_f32_f16_e32 v55, v55
	s_delay_alu instid0(VALU_DEP_1) | instskip(NEXT) | instid1(VALU_DEP_1)
	v_add_f32_e32 v55, v56, v55
	v_fmac_f32_e32 v14, v55, v24
	v_pk_fma_f16 v55, v44, v4, 0
	s_delay_alu instid0(VALU_DEP_1) | instskip(NEXT) | instid1(VALU_DEP_1)
	v_pk_fma_f16 v55, v45, v5, v55
	v_pk_fma_f16 v55, v46, v37, v55
	s_delay_alu instid0(VALU_DEP_1) | instskip(NEXT) | instid1(VALU_DEP_1)
	v_pk_fma_f16 v55, v47, v38, v55
	v_cvt_f32_f16_e32 v56, v55
	v_lshrrev_b32_e32 v55, 16, v55
	s_delay_alu instid0(VALU_DEP_1) | instskip(NEXT) | instid1(VALU_DEP_1)
	v_cvt_f32_f16_e32 v55, v55
	v_add_f32_e32 v55, v56, v55
	s_delay_alu instid0(VALU_DEP_1) | instskip(SKIP_2) | instid1(VALU_DEP_2)
	v_fmac_f32_e32 v15, v55, v26
	v_pk_fma_f16 v55, v48, v4, 0
	v_pk_fma_f16 v4, v39, v4, 0
	;; [unrolled: 1-line block ×3, first 2 shown]
	s_delay_alu instid0(VALU_DEP_2) | instskip(NEXT) | instid1(VALU_DEP_2)
	v_pk_fma_f16 v4, v52, v5, v4
	v_pk_fma_f16 v55, v50, v37, v55
	s_delay_alu instid0(VALU_DEP_2) | instskip(NEXT) | instid1(VALU_DEP_2)
	v_pk_fma_f16 v4, v53, v37, v4
	v_pk_fma_f16 v55, v51, v38, v55
	s_delay_alu instid0(VALU_DEP_2) | instskip(NEXT) | instid1(VALU_DEP_2)
	v_pk_fma_f16 v4, v54, v38, v4
	v_cvt_f32_f16_e32 v56, v55
	s_delay_alu instid0(VALU_DEP_2) | instskip(SKIP_2) | instid1(VALU_DEP_2)
	v_cvt_f32_f16_e32 v5, v4
	v_lshrrev_b32_e32 v4, 16, v4
	v_lshrrev_b32_e32 v55, 16, v55
	v_cvt_f32_f16_e32 v4, v4
	s_delay_alu instid0(VALU_DEP_2) | instskip(NEXT) | instid1(VALU_DEP_2)
	v_cvt_f32_f16_e32 v55, v55
	v_add_f32_e32 v4, v5, v4
	s_delay_alu instid0(VALU_DEP_1) | instskip(SKIP_3) | instid1(VALU_DEP_1)
	v_fmac_f32_e32 v17, v4, v27
	ds_load_2addr_b32 v[4:5], v36 offset0:192 offset1:193
	s_waitcnt lgkmcnt(0)
	v_pk_fma_f16 v37, v41, v4, 0
	v_pk_fma_f16 v41, v42, v5, v37
	ds_load_2addr_b32 v[37:38], v36 offset0:194 offset1:195
	s_waitcnt lgkmcnt(0)
	v_pk_fma_f16 v40, v40, v37, v41
	s_delay_alu instid0(VALU_DEP_1) | instskip(NEXT) | instid1(VALU_DEP_1)
	v_pk_fma_f16 v40, v43, v38, v40
	v_cvt_f32_f16_e32 v41, v40
	v_lshrrev_b32_e32 v40, 16, v40
	s_delay_alu instid0(VALU_DEP_1) | instskip(NEXT) | instid1(VALU_DEP_1)
	v_cvt_f32_f16_e32 v40, v40
	v_add_f32_e32 v40, v41, v40
	s_delay_alu instid0(VALU_DEP_1) | instskip(SKIP_1) | instid1(VALU_DEP_1)
	v_fmac_f32_e32 v18, v40, v24
	v_pk_fma_f16 v40, v44, v4, 0
	v_pk_fma_f16 v40, v45, v5, v40
	s_delay_alu instid0(VALU_DEP_1) | instskip(NEXT) | instid1(VALU_DEP_1)
	v_pk_fma_f16 v40, v46, v37, v40
	v_pk_fma_f16 v40, v47, v38, v40
	s_delay_alu instid0(VALU_DEP_1) | instskip(SKIP_1) | instid1(VALU_DEP_1)
	v_cvt_f32_f16_e32 v41, v40
	v_lshrrev_b32_e32 v40, 16, v40
	v_cvt_f32_f16_e32 v40, v40
	s_delay_alu instid0(VALU_DEP_1) | instskip(NEXT) | instid1(VALU_DEP_1)
	v_add_f32_e32 v40, v41, v40
	v_fmac_f32_e32 v19, v40, v26
	v_pk_fma_f16 v40, v48, v4, 0
	v_pk_fma_f16 v4, v39, v4, 0
	s_delay_alu instid0(VALU_DEP_2) | instskip(NEXT) | instid1(VALU_DEP_2)
	v_pk_fma_f16 v40, v49, v5, v40
	v_pk_fma_f16 v4, v52, v5, v4
	s_delay_alu instid0(VALU_DEP_2) | instskip(NEXT) | instid1(VALU_DEP_2)
	v_pk_fma_f16 v40, v50, v37, v40
	v_pk_fma_f16 v4, v53, v37, v4
	s_delay_alu instid0(VALU_DEP_2) | instskip(NEXT) | instid1(VALU_DEP_2)
	v_pk_fma_f16 v40, v51, v38, v40
	v_pk_fma_f16 v4, v54, v38, v4
	s_delay_alu instid0(VALU_DEP_2) | instskip(NEXT) | instid1(VALU_DEP_2)
	v_cvt_f32_f16_e32 v41, v40
	v_cvt_f32_f16_e32 v5, v4
	v_lshrrev_b32_e32 v4, 16, v4
	v_lshrrev_b32_e32 v40, 16, v40
	s_delay_alu instid0(VALU_DEP_2) | instskip(SKIP_1) | instid1(VALU_DEP_3)
	v_cvt_f32_f16_e32 v4, v4
	v_add_f32_e32 v55, v56, v55
	v_cvt_f32_f16_e32 v40, v40
	s_delay_alu instid0(VALU_DEP_3) | instskip(NEXT) | instid1(VALU_DEP_3)
	v_add_f32_e32 v4, v5, v4
	v_fmac_f32_e32 v16, v55, v25
	s_delay_alu instid0(VALU_DEP_2) | instskip(SKIP_2) | instid1(VALU_DEP_3)
	v_dual_add_f32 v40, v41, v40 :: v_dual_fmac_f32 v23, v4, v27
	v_add_co_u32 v4, vcc_lo, v2, s2
	v_add_co_ci_u32_e32 v5, vcc_lo, s3, v3, vcc_lo
	v_fmac_f32_e32 v20, v40, v25
	global_load_b128 v[37:40], v[4:5], off
	v_add_co_u32 v4, vcc_lo, v4, s2
	v_add_co_ci_u32_e32 v5, vcc_lo, s3, v5, vcc_lo
	s_waitcnt vmcnt(0)
	v_and_or_b32 v41, v37, s5, 0x64006400
	v_and_or_b32 v42, v37, s17, 0x64006400
	v_lshrrev_b32_e32 v37, 8, v37
	v_and_or_b32 v45, v38, s17, 0x64006400
	s_delay_alu instid0(VALU_DEP_4) | instskip(NEXT) | instid1(VALU_DEP_4)
	v_pk_add_f16 v41, v28, v41
	v_pk_fma_f16 v42, 0x2c00, v42, v32 op_sel_hi:[0,1,1]
	s_delay_alu instid0(VALU_DEP_4) | instskip(SKIP_2) | instid1(VALU_DEP_3)
	v_and_or_b32 v43, v37, s5, 0x64006400
	v_and_or_b32 v37, v37, s17, 0x64006400
	v_pk_fma_f16 v45, 0x2c00, v45, v35 op_sel_hi:[0,1,1]
	v_pk_add_f16 v43, v28, v43
	s_delay_alu instid0(VALU_DEP_3) | instskip(SKIP_2) | instid1(VALU_DEP_2)
	v_pk_fma_f16 v44, 0x2c00, v37, v32 op_sel_hi:[0,1,1]
	v_and_or_b32 v37, v38, s5, 0x64006400
	v_lshrrev_b32_e32 v38, 8, v38
	v_pk_add_f16 v47, v31, v37
	s_delay_alu instid0(VALU_DEP_2) | instskip(SKIP_2) | instid1(VALU_DEP_3)
	v_and_or_b32 v46, v38, s5, 0x64006400
	v_and_or_b32 v38, v38, s17, 0x64006400
	;; [unrolled: 1-line block ×3, first 2 shown]
	v_pk_add_f16 v46, v31, v46
	s_delay_alu instid0(VALU_DEP_3) | instskip(SKIP_1) | instid1(VALU_DEP_4)
	v_pk_fma_f16 v48, 0x2c00, v38, v35 op_sel_hi:[0,1,1]
	v_and_or_b32 v38, v39, s17, 0x64006400
	v_pk_add_f16 v50, v29, v37
	v_and_or_b32 v37, v40, s5, 0x64006400
	v_lshrrev_b32_e32 v39, 8, v39
	s_delay_alu instid0(VALU_DEP_4) | instskip(SKIP_1) | instid1(VALU_DEP_4)
	v_pk_fma_f16 v51, 0x2c00, v38, v34 op_sel_hi:[0,1,1]
	v_and_or_b32 v38, v40, s17, 0x64006400
	v_pk_add_f16 v53, v30, v37
	s_delay_alu instid0(VALU_DEP_4) | instskip(SKIP_1) | instid1(VALU_DEP_4)
	v_and_or_b32 v49, v39, s5, 0x64006400
	v_and_or_b32 v39, v39, s17, 0x64006400
	v_pk_fma_f16 v54, 0x2c00, v38, v33 op_sel_hi:[0,1,1]
	ds_load_2addr_b32 v[37:38], v36 offset0:4 offset1:5
	v_pk_add_f16 v49, v29, v49
	v_pk_fma_f16 v52, 0x2c00, v39, v34 op_sel_hi:[0,1,1]
	v_lshrrev_b32_e32 v39, 8, v40
	s_delay_alu instid0(VALU_DEP_1) | instskip(SKIP_1) | instid1(VALU_DEP_2)
	v_and_or_b32 v40, v39, s5, 0x64006400
	v_and_or_b32 v39, v39, s17, 0x64006400
	v_pk_add_f16 v55, v30, v40
	s_delay_alu instid0(VALU_DEP_2) | instskip(SKIP_2) | instid1(VALU_DEP_1)
	v_pk_fma_f16 v56, 0x2c00, v39, v33 op_sel_hi:[0,1,1]
	s_waitcnt lgkmcnt(0)
	v_pk_fma_f16 v39, v41, v37, 0
	v_pk_fma_f16 v57, v42, v38, v39
	ds_load_2addr_b32 v[39:40], v36 offset0:6 offset1:7
	s_waitcnt lgkmcnt(0)
	v_pk_fma_f16 v57, v43, v39, v57
	s_delay_alu instid0(VALU_DEP_1) | instskip(NEXT) | instid1(VALU_DEP_1)
	v_pk_fma_f16 v57, v44, v40, v57
	v_cvt_f32_f16_e32 v58, v57
	v_lshrrev_b32_e32 v57, 16, v57
	s_delay_alu instid0(VALU_DEP_1) | instskip(NEXT) | instid1(VALU_DEP_1)
	v_cvt_f32_f16_e32 v57, v57
	v_add_f32_e32 v57, v58, v57
	s_delay_alu instid0(VALU_DEP_1) | instskip(SKIP_1) | instid1(VALU_DEP_1)
	v_fmac_f32_e32 v0, v57, v24
	v_pk_fma_f16 v57, v47, v37, 0
	v_pk_fma_f16 v57, v45, v38, v57
	s_delay_alu instid0(VALU_DEP_1) | instskip(NEXT) | instid1(VALU_DEP_1)
	v_pk_fma_f16 v57, v46, v39, v57
	v_pk_fma_f16 v57, v48, v40, v57
	s_delay_alu instid0(VALU_DEP_1) | instskip(SKIP_1) | instid1(VALU_DEP_1)
	v_cvt_f32_f16_e32 v58, v57
	v_lshrrev_b32_e32 v57, 16, v57
	v_cvt_f32_f16_e32 v57, v57
	s_delay_alu instid0(VALU_DEP_1) | instskip(NEXT) | instid1(VALU_DEP_1)
	v_add_f32_e32 v57, v58, v57
	v_fmac_f32_e32 v7, v57, v26
	v_pk_fma_f16 v57, v50, v37, 0
	v_pk_fma_f16 v37, v53, v37, 0
	s_delay_alu instid0(VALU_DEP_2) | instskip(NEXT) | instid1(VALU_DEP_2)
	v_pk_fma_f16 v57, v51, v38, v57
	v_pk_fma_f16 v37, v54, v38, v37
	s_delay_alu instid0(VALU_DEP_2) | instskip(NEXT) | instid1(VALU_DEP_2)
	v_pk_fma_f16 v57, v49, v39, v57
	v_pk_fma_f16 v37, v55, v39, v37
	s_delay_alu instid0(VALU_DEP_2) | instskip(NEXT) | instid1(VALU_DEP_2)
	v_pk_fma_f16 v57, v52, v40, v57
	v_pk_fma_f16 v37, v56, v40, v37
	s_delay_alu instid0(VALU_DEP_2) | instskip(NEXT) | instid1(VALU_DEP_2)
	v_cvt_f32_f16_e32 v58, v57
	v_cvt_f32_f16_e32 v38, v37
	v_lshrrev_b32_e32 v37, 16, v37
	v_lshrrev_b32_e32 v57, 16, v57
	s_delay_alu instid0(VALU_DEP_2) | instskip(NEXT) | instid1(VALU_DEP_2)
	v_cvt_f32_f16_e32 v37, v37
	v_cvt_f32_f16_e32 v57, v57
	s_delay_alu instid0(VALU_DEP_2) | instskip(NEXT) | instid1(VALU_DEP_2)
	v_add_f32_e32 v37, v38, v37
	v_add_f32_e32 v57, v58, v57
	s_delay_alu instid0(VALU_DEP_2) | instskip(SKIP_4) | instid1(VALU_DEP_1)
	v_fmac_f32_e32 v9, v37, v27
	ds_load_2addr_b32 v[37:38], v36 offset0:68 offset1:69
	v_fmac_f32_e32 v8, v57, v25
	s_waitcnt lgkmcnt(0)
	v_pk_fma_f16 v39, v41, v37, 0
	v_pk_fma_f16 v57, v42, v38, v39
	ds_load_2addr_b32 v[39:40], v36 offset0:70 offset1:71
	s_waitcnt lgkmcnt(0)
	v_pk_fma_f16 v57, v43, v39, v57
	s_delay_alu instid0(VALU_DEP_1) | instskip(NEXT) | instid1(VALU_DEP_1)
	v_pk_fma_f16 v57, v44, v40, v57
	v_cvt_f32_f16_e32 v58, v57
	v_lshrrev_b32_e32 v57, 16, v57
	s_delay_alu instid0(VALU_DEP_1) | instskip(NEXT) | instid1(VALU_DEP_1)
	v_cvt_f32_f16_e32 v57, v57
	v_add_f32_e32 v57, v58, v57
	s_delay_alu instid0(VALU_DEP_1) | instskip(SKIP_1) | instid1(VALU_DEP_1)
	v_fmac_f32_e32 v10, v57, v24
	v_pk_fma_f16 v57, v47, v37, 0
	v_pk_fma_f16 v57, v45, v38, v57
	s_delay_alu instid0(VALU_DEP_1) | instskip(NEXT) | instid1(VALU_DEP_1)
	v_pk_fma_f16 v57, v46, v39, v57
	v_pk_fma_f16 v57, v48, v40, v57
	s_delay_alu instid0(VALU_DEP_1) | instskip(SKIP_1) | instid1(VALU_DEP_1)
	v_cvt_f32_f16_e32 v58, v57
	v_lshrrev_b32_e32 v57, 16, v57
	v_cvt_f32_f16_e32 v57, v57
	s_delay_alu instid0(VALU_DEP_1) | instskip(NEXT) | instid1(VALU_DEP_1)
	v_add_f32_e32 v57, v58, v57
	v_fmac_f32_e32 v11, v57, v26
	v_pk_fma_f16 v57, v50, v37, 0
	v_pk_fma_f16 v37, v53, v37, 0
	s_delay_alu instid0(VALU_DEP_2) | instskip(NEXT) | instid1(VALU_DEP_2)
	v_pk_fma_f16 v57, v51, v38, v57
	v_pk_fma_f16 v37, v54, v38, v37
	s_delay_alu instid0(VALU_DEP_2) | instskip(NEXT) | instid1(VALU_DEP_2)
	v_pk_fma_f16 v57, v49, v39, v57
	v_pk_fma_f16 v37, v55, v39, v37
	s_delay_alu instid0(VALU_DEP_2) | instskip(NEXT) | instid1(VALU_DEP_2)
	v_pk_fma_f16 v57, v52, v40, v57
	v_pk_fma_f16 v37, v56, v40, v37
	s_delay_alu instid0(VALU_DEP_2) | instskip(NEXT) | instid1(VALU_DEP_2)
	v_cvt_f32_f16_e32 v58, v57
	v_cvt_f32_f16_e32 v38, v37
	v_lshrrev_b32_e32 v37, 16, v37
	v_lshrrev_b32_e32 v57, 16, v57
	s_delay_alu instid0(VALU_DEP_2) | instskip(NEXT) | instid1(VALU_DEP_2)
	v_cvt_f32_f16_e32 v37, v37
	v_cvt_f32_f16_e32 v57, v57
	s_delay_alu instid0(VALU_DEP_2) | instskip(NEXT) | instid1(VALU_DEP_2)
	v_add_f32_e32 v37, v38, v37
	v_add_f32_e32 v57, v58, v57
	s_delay_alu instid0(VALU_DEP_2) | instskip(SKIP_4) | instid1(VALU_DEP_1)
	v_fmac_f32_e32 v13, v37, v27
	ds_load_2addr_b32 v[37:38], v36 offset0:132 offset1:133
	v_fmac_f32_e32 v12, v57, v25
	;; [unrolled: 53-line block ×3, first 2 shown]
	s_waitcnt lgkmcnt(0)
	v_pk_fma_f16 v39, v41, v37, 0
	v_pk_fma_f16 v41, v42, v38, v39
	ds_load_2addr_b32 v[39:40], v36 offset0:198 offset1:199
	s_waitcnt lgkmcnt(0)
	v_pk_fma_f16 v41, v43, v39, v41
	s_delay_alu instid0(VALU_DEP_1) | instskip(NEXT) | instid1(VALU_DEP_1)
	v_pk_fma_f16 v41, v44, v40, v41
	v_cvt_f32_f16_e32 v42, v41
	v_lshrrev_b32_e32 v41, 16, v41
	s_delay_alu instid0(VALU_DEP_1) | instskip(NEXT) | instid1(VALU_DEP_1)
	v_cvt_f32_f16_e32 v41, v41
	v_add_f32_e32 v41, v42, v41
	s_delay_alu instid0(VALU_DEP_1) | instskip(SKIP_1) | instid1(VALU_DEP_1)
	v_fmac_f32_e32 v18, v41, v24
	v_pk_fma_f16 v41, v47, v37, 0
	v_pk_fma_f16 v41, v45, v38, v41
	s_delay_alu instid0(VALU_DEP_1) | instskip(NEXT) | instid1(VALU_DEP_1)
	v_pk_fma_f16 v41, v46, v39, v41
	v_pk_fma_f16 v41, v48, v40, v41
	s_delay_alu instid0(VALU_DEP_1) | instskip(SKIP_1) | instid1(VALU_DEP_1)
	v_cvt_f32_f16_e32 v42, v41
	v_lshrrev_b32_e32 v41, 16, v41
	v_cvt_f32_f16_e32 v41, v41
	s_delay_alu instid0(VALU_DEP_1) | instskip(NEXT) | instid1(VALU_DEP_1)
	v_add_f32_e32 v41, v42, v41
	v_fmac_f32_e32 v19, v41, v26
	v_pk_fma_f16 v41, v50, v37, 0
	v_pk_fma_f16 v37, v53, v37, 0
	s_delay_alu instid0(VALU_DEP_2) | instskip(NEXT) | instid1(VALU_DEP_2)
	v_pk_fma_f16 v41, v51, v38, v41
	v_pk_fma_f16 v37, v54, v38, v37
	s_delay_alu instid0(VALU_DEP_2) | instskip(NEXT) | instid1(VALU_DEP_2)
	;; [unrolled: 3-line block ×4, first 2 shown]
	v_cvt_f32_f16_e32 v42, v41
	v_cvt_f32_f16_e32 v38, v37
	v_lshrrev_b32_e32 v37, 16, v37
	v_lshrrev_b32_e32 v41, 16, v41
	s_delay_alu instid0(VALU_DEP_2) | instskip(NEXT) | instid1(VALU_DEP_2)
	v_cvt_f32_f16_e32 v37, v37
	v_cvt_f32_f16_e32 v41, v41
	s_delay_alu instid0(VALU_DEP_2) | instskip(NEXT) | instid1(VALU_DEP_2)
	v_add_f32_e32 v37, v38, v37
	v_add_f32_e32 v41, v42, v41
	s_delay_alu instid0(VALU_DEP_2)
	v_fmac_f32_e32 v23, v37, v27
	global_load_b128 v[37:40], v[4:5], off
	v_fmac_f32_e32 v20, v41, v25
	v_add_co_u32 v4, vcc_lo, v4, s2
	v_add_co_ci_u32_e32 v5, vcc_lo, s3, v5, vcc_lo
	v_add_co_u32 v2, vcc_lo, v2, s0
	v_add_co_ci_u32_e32 v3, vcc_lo, s1, v3, vcc_lo
	s_waitcnt vmcnt(0)
	v_and_or_b32 v41, v37, s5, 0x64006400
	v_and_or_b32 v42, v37, s17, 0x64006400
	v_lshrrev_b32_e32 v37, 8, v37
	v_and_or_b32 v45, v38, s17, 0x64006400
	s_delay_alu instid0(VALU_DEP_4) | instskip(NEXT) | instid1(VALU_DEP_4)
	v_pk_add_f16 v41, v28, v41
	v_pk_fma_f16 v42, 0x2c00, v42, v32 op_sel_hi:[0,1,1]
	s_delay_alu instid0(VALU_DEP_4) | instskip(SKIP_2) | instid1(VALU_DEP_3)
	v_and_or_b32 v43, v37, s5, 0x64006400
	v_and_or_b32 v37, v37, s17, 0x64006400
	v_pk_fma_f16 v45, 0x2c00, v45, v35 op_sel_hi:[0,1,1]
	v_pk_add_f16 v43, v28, v43
	s_delay_alu instid0(VALU_DEP_3) | instskip(SKIP_2) | instid1(VALU_DEP_2)
	v_pk_fma_f16 v44, 0x2c00, v37, v32 op_sel_hi:[0,1,1]
	v_and_or_b32 v37, v38, s5, 0x64006400
	v_lshrrev_b32_e32 v38, 8, v38
	v_pk_add_f16 v47, v31, v37
	s_delay_alu instid0(VALU_DEP_2) | instskip(SKIP_2) | instid1(VALU_DEP_3)
	v_and_or_b32 v46, v38, s5, 0x64006400
	v_and_or_b32 v38, v38, s17, 0x64006400
	;; [unrolled: 1-line block ×3, first 2 shown]
	v_pk_add_f16 v46, v31, v46
	s_delay_alu instid0(VALU_DEP_3) | instskip(SKIP_1) | instid1(VALU_DEP_4)
	v_pk_fma_f16 v48, 0x2c00, v38, v35 op_sel_hi:[0,1,1]
	v_and_or_b32 v38, v39, s17, 0x64006400
	v_pk_add_f16 v50, v29, v37
	v_and_or_b32 v37, v40, s5, 0x64006400
	v_lshrrev_b32_e32 v39, 8, v39
	s_delay_alu instid0(VALU_DEP_4) | instskip(SKIP_1) | instid1(VALU_DEP_4)
	v_pk_fma_f16 v51, 0x2c00, v38, v34 op_sel_hi:[0,1,1]
	v_and_or_b32 v38, v40, s17, 0x64006400
	v_pk_add_f16 v53, v30, v37
	s_delay_alu instid0(VALU_DEP_4) | instskip(SKIP_1) | instid1(VALU_DEP_4)
	v_and_or_b32 v49, v39, s5, 0x64006400
	v_and_or_b32 v39, v39, s17, 0x64006400
	v_pk_fma_f16 v54, 0x2c00, v38, v33 op_sel_hi:[0,1,1]
	ds_load_2addr_b32 v[37:38], v36 offset0:8 offset1:9
	v_pk_add_f16 v49, v29, v49
	v_pk_fma_f16 v52, 0x2c00, v39, v34 op_sel_hi:[0,1,1]
	v_lshrrev_b32_e32 v39, 8, v40
	s_delay_alu instid0(VALU_DEP_1) | instskip(SKIP_1) | instid1(VALU_DEP_2)
	v_and_or_b32 v40, v39, s5, 0x64006400
	v_and_or_b32 v39, v39, s17, 0x64006400
	v_pk_add_f16 v55, v30, v40
	s_delay_alu instid0(VALU_DEP_2) | instskip(SKIP_2) | instid1(VALU_DEP_1)
	v_pk_fma_f16 v56, 0x2c00, v39, v33 op_sel_hi:[0,1,1]
	s_waitcnt lgkmcnt(0)
	v_pk_fma_f16 v39, v41, v37, 0
	v_pk_fma_f16 v57, v42, v38, v39
	ds_load_2addr_b32 v[39:40], v36 offset0:10 offset1:11
	s_waitcnt lgkmcnt(0)
	v_pk_fma_f16 v57, v43, v39, v57
	s_delay_alu instid0(VALU_DEP_1) | instskip(NEXT) | instid1(VALU_DEP_1)
	v_pk_fma_f16 v57, v44, v40, v57
	v_cvt_f32_f16_e32 v58, v57
	v_lshrrev_b32_e32 v57, 16, v57
	s_delay_alu instid0(VALU_DEP_1) | instskip(NEXT) | instid1(VALU_DEP_1)
	v_cvt_f32_f16_e32 v57, v57
	v_add_f32_e32 v57, v58, v57
	s_delay_alu instid0(VALU_DEP_1) | instskip(SKIP_1) | instid1(VALU_DEP_1)
	v_fmac_f32_e32 v0, v57, v24
	v_pk_fma_f16 v57, v47, v37, 0
	v_pk_fma_f16 v57, v45, v38, v57
	s_delay_alu instid0(VALU_DEP_1) | instskip(NEXT) | instid1(VALU_DEP_1)
	v_pk_fma_f16 v57, v46, v39, v57
	v_pk_fma_f16 v57, v48, v40, v57
	s_delay_alu instid0(VALU_DEP_1) | instskip(SKIP_1) | instid1(VALU_DEP_1)
	v_cvt_f32_f16_e32 v58, v57
	v_lshrrev_b32_e32 v57, 16, v57
	v_cvt_f32_f16_e32 v57, v57
	s_delay_alu instid0(VALU_DEP_1) | instskip(NEXT) | instid1(VALU_DEP_1)
	v_add_f32_e32 v57, v58, v57
	v_fmac_f32_e32 v7, v57, v26
	v_pk_fma_f16 v57, v50, v37, 0
	v_pk_fma_f16 v37, v53, v37, 0
	s_delay_alu instid0(VALU_DEP_2) | instskip(NEXT) | instid1(VALU_DEP_2)
	v_pk_fma_f16 v57, v51, v38, v57
	v_pk_fma_f16 v37, v54, v38, v37
	s_delay_alu instid0(VALU_DEP_2) | instskip(NEXT) | instid1(VALU_DEP_2)
	;; [unrolled: 3-line block ×4, first 2 shown]
	v_cvt_f32_f16_e32 v58, v57
	v_cvt_f32_f16_e32 v38, v37
	v_lshrrev_b32_e32 v37, 16, v37
	v_lshrrev_b32_e32 v57, 16, v57
	s_delay_alu instid0(VALU_DEP_2) | instskip(NEXT) | instid1(VALU_DEP_2)
	v_cvt_f32_f16_e32 v37, v37
	v_cvt_f32_f16_e32 v57, v57
	s_delay_alu instid0(VALU_DEP_2) | instskip(NEXT) | instid1(VALU_DEP_2)
	v_add_f32_e32 v37, v38, v37
	v_add_f32_e32 v57, v58, v57
	s_delay_alu instid0(VALU_DEP_2) | instskip(SKIP_4) | instid1(VALU_DEP_1)
	v_fmac_f32_e32 v9, v37, v27
	ds_load_2addr_b32 v[37:38], v36 offset0:72 offset1:73
	v_fmac_f32_e32 v8, v57, v25
	s_waitcnt lgkmcnt(0)
	v_pk_fma_f16 v39, v41, v37, 0
	v_pk_fma_f16 v57, v42, v38, v39
	ds_load_2addr_b32 v[39:40], v36 offset0:74 offset1:75
	s_waitcnt lgkmcnt(0)
	v_pk_fma_f16 v57, v43, v39, v57
	s_delay_alu instid0(VALU_DEP_1) | instskip(NEXT) | instid1(VALU_DEP_1)
	v_pk_fma_f16 v57, v44, v40, v57
	v_cvt_f32_f16_e32 v58, v57
	v_lshrrev_b32_e32 v57, 16, v57
	s_delay_alu instid0(VALU_DEP_1) | instskip(NEXT) | instid1(VALU_DEP_1)
	v_cvt_f32_f16_e32 v57, v57
	v_add_f32_e32 v57, v58, v57
	s_delay_alu instid0(VALU_DEP_1) | instskip(SKIP_1) | instid1(VALU_DEP_1)
	v_fmac_f32_e32 v10, v57, v24
	v_pk_fma_f16 v57, v47, v37, 0
	v_pk_fma_f16 v57, v45, v38, v57
	s_delay_alu instid0(VALU_DEP_1) | instskip(NEXT) | instid1(VALU_DEP_1)
	v_pk_fma_f16 v57, v46, v39, v57
	v_pk_fma_f16 v57, v48, v40, v57
	s_delay_alu instid0(VALU_DEP_1) | instskip(SKIP_1) | instid1(VALU_DEP_1)
	v_cvt_f32_f16_e32 v58, v57
	v_lshrrev_b32_e32 v57, 16, v57
	v_cvt_f32_f16_e32 v57, v57
	s_delay_alu instid0(VALU_DEP_1) | instskip(NEXT) | instid1(VALU_DEP_1)
	v_add_f32_e32 v57, v58, v57
	v_fmac_f32_e32 v11, v57, v26
	v_pk_fma_f16 v57, v50, v37, 0
	v_pk_fma_f16 v37, v53, v37, 0
	s_delay_alu instid0(VALU_DEP_2) | instskip(NEXT) | instid1(VALU_DEP_2)
	v_pk_fma_f16 v57, v51, v38, v57
	v_pk_fma_f16 v37, v54, v38, v37
	s_delay_alu instid0(VALU_DEP_2) | instskip(NEXT) | instid1(VALU_DEP_2)
	;; [unrolled: 3-line block ×4, first 2 shown]
	v_cvt_f32_f16_e32 v58, v57
	v_cvt_f32_f16_e32 v38, v37
	v_lshrrev_b32_e32 v37, 16, v37
	v_lshrrev_b32_e32 v57, 16, v57
	s_delay_alu instid0(VALU_DEP_2) | instskip(NEXT) | instid1(VALU_DEP_2)
	v_cvt_f32_f16_e32 v37, v37
	v_cvt_f32_f16_e32 v57, v57
	s_delay_alu instid0(VALU_DEP_2) | instskip(NEXT) | instid1(VALU_DEP_2)
	v_add_f32_e32 v37, v38, v37
	v_add_f32_e32 v57, v58, v57
	s_delay_alu instid0(VALU_DEP_2) | instskip(SKIP_4) | instid1(VALU_DEP_1)
	v_fmac_f32_e32 v13, v37, v27
	ds_load_2addr_b32 v[37:38], v36 offset0:136 offset1:137
	v_fmac_f32_e32 v12, v57, v25
	s_waitcnt lgkmcnt(0)
	v_pk_fma_f16 v39, v41, v37, 0
	v_pk_fma_f16 v57, v42, v38, v39
	ds_load_2addr_b32 v[39:40], v36 offset0:138 offset1:139
	s_waitcnt lgkmcnt(0)
	v_pk_fma_f16 v57, v43, v39, v57
	s_delay_alu instid0(VALU_DEP_1) | instskip(NEXT) | instid1(VALU_DEP_1)
	v_pk_fma_f16 v57, v44, v40, v57
	v_cvt_f32_f16_e32 v58, v57
	v_lshrrev_b32_e32 v57, 16, v57
	s_delay_alu instid0(VALU_DEP_1) | instskip(NEXT) | instid1(VALU_DEP_1)
	v_cvt_f32_f16_e32 v57, v57
	v_add_f32_e32 v57, v58, v57
	s_delay_alu instid0(VALU_DEP_1) | instskip(SKIP_1) | instid1(VALU_DEP_1)
	v_fmac_f32_e32 v14, v57, v24
	v_pk_fma_f16 v57, v47, v37, 0
	v_pk_fma_f16 v57, v45, v38, v57
	s_delay_alu instid0(VALU_DEP_1) | instskip(NEXT) | instid1(VALU_DEP_1)
	v_pk_fma_f16 v57, v46, v39, v57
	v_pk_fma_f16 v57, v48, v40, v57
	s_delay_alu instid0(VALU_DEP_1) | instskip(SKIP_1) | instid1(VALU_DEP_1)
	v_cvt_f32_f16_e32 v58, v57
	v_lshrrev_b32_e32 v57, 16, v57
	v_cvt_f32_f16_e32 v57, v57
	s_delay_alu instid0(VALU_DEP_1) | instskip(NEXT) | instid1(VALU_DEP_1)
	v_add_f32_e32 v57, v58, v57
	v_fmac_f32_e32 v15, v57, v26
	v_pk_fma_f16 v57, v50, v37, 0
	v_pk_fma_f16 v37, v53, v37, 0
	s_delay_alu instid0(VALU_DEP_2) | instskip(NEXT) | instid1(VALU_DEP_2)
	v_pk_fma_f16 v57, v51, v38, v57
	v_pk_fma_f16 v37, v54, v38, v37
	s_delay_alu instid0(VALU_DEP_2) | instskip(NEXT) | instid1(VALU_DEP_2)
	;; [unrolled: 3-line block ×4, first 2 shown]
	v_cvt_f32_f16_e32 v58, v57
	v_cvt_f32_f16_e32 v38, v37
	v_lshrrev_b32_e32 v37, 16, v37
	v_lshrrev_b32_e32 v57, 16, v57
	s_delay_alu instid0(VALU_DEP_2) | instskip(NEXT) | instid1(VALU_DEP_2)
	v_cvt_f32_f16_e32 v37, v37
	v_cvt_f32_f16_e32 v57, v57
	s_delay_alu instid0(VALU_DEP_2) | instskip(NEXT) | instid1(VALU_DEP_2)
	v_add_f32_e32 v37, v38, v37
	v_add_f32_e32 v57, v58, v57
	s_delay_alu instid0(VALU_DEP_2) | instskip(SKIP_3) | instid1(VALU_DEP_1)
	v_fmac_f32_e32 v17, v37, v27
	ds_load_2addr_b32 v[37:38], v36 offset0:200 offset1:201
	s_waitcnt lgkmcnt(0)
	v_pk_fma_f16 v39, v41, v37, 0
	v_pk_fma_f16 v41, v42, v38, v39
	ds_load_2addr_b32 v[39:40], v36 offset0:202 offset1:203
	s_waitcnt lgkmcnt(0)
	v_pk_fma_f16 v41, v43, v39, v41
	s_delay_alu instid0(VALU_DEP_1) | instskip(NEXT) | instid1(VALU_DEP_1)
	v_pk_fma_f16 v41, v44, v40, v41
	v_cvt_f32_f16_e32 v42, v41
	v_lshrrev_b32_e32 v41, 16, v41
	s_delay_alu instid0(VALU_DEP_1) | instskip(NEXT) | instid1(VALU_DEP_1)
	v_cvt_f32_f16_e32 v41, v41
	v_add_f32_e32 v41, v42, v41
	s_delay_alu instid0(VALU_DEP_1) | instskip(SKIP_1) | instid1(VALU_DEP_1)
	v_fmac_f32_e32 v18, v41, v24
	v_pk_fma_f16 v41, v47, v37, 0
	v_pk_fma_f16 v41, v45, v38, v41
	s_delay_alu instid0(VALU_DEP_1) | instskip(NEXT) | instid1(VALU_DEP_1)
	v_pk_fma_f16 v41, v46, v39, v41
	v_pk_fma_f16 v41, v48, v40, v41
	s_delay_alu instid0(VALU_DEP_1) | instskip(SKIP_1) | instid1(VALU_DEP_1)
	v_cvt_f32_f16_e32 v42, v41
	v_lshrrev_b32_e32 v41, 16, v41
	v_cvt_f32_f16_e32 v41, v41
	s_delay_alu instid0(VALU_DEP_1) | instskip(NEXT) | instid1(VALU_DEP_1)
	v_add_f32_e32 v41, v42, v41
	v_fmac_f32_e32 v19, v41, v26
	v_pk_fma_f16 v41, v50, v37, 0
	v_pk_fma_f16 v37, v53, v37, 0
	s_delay_alu instid0(VALU_DEP_2) | instskip(NEXT) | instid1(VALU_DEP_2)
	v_pk_fma_f16 v41, v51, v38, v41
	v_pk_fma_f16 v37, v54, v38, v37
	s_delay_alu instid0(VALU_DEP_2) | instskip(NEXT) | instid1(VALU_DEP_2)
	v_pk_fma_f16 v41, v49, v39, v41
	v_pk_fma_f16 v37, v55, v39, v37
	s_delay_alu instid0(VALU_DEP_2) | instskip(SKIP_4) | instid1(VALU_DEP_3)
	v_pk_fma_f16 v41, v52, v40, v41
	global_load_b128 v[50:53], v[4:5], off
	v_pk_fma_f16 v37, v56, v40, v37
	v_cvt_f32_f16_e32 v42, v41
	v_lshrrev_b32_e32 v41, 16, v41
	v_cvt_f32_f16_e32 v38, v37
	v_lshrrev_b32_e32 v37, 16, v37
	s_delay_alu instid0(VALU_DEP_3) | instskip(NEXT) | instid1(VALU_DEP_2)
	v_cvt_f32_f16_e32 v41, v41
	v_cvt_f32_f16_e32 v37, v37
	s_delay_alu instid0(VALU_DEP_2) | instskip(NEXT) | instid1(VALU_DEP_2)
	v_add_f32_e32 v41, v42, v41
	v_add_f32_e32 v37, v38, v37
	s_delay_alu instid0(VALU_DEP_2) | instskip(NEXT) | instid1(VALU_DEP_2)
	v_fmac_f32_e32 v20, v41, v25
	v_fmac_f32_e32 v23, v37, v27
	s_waitcnt vmcnt(0)
	v_lshrrev_b32_e32 v37, 8, v50
	v_and_or_b32 v4, v50, s5, 0x64006400
	v_and_or_b32 v5, v50, s17, 0x64006400
	s_delay_alu instid0(VALU_DEP_3) | instskip(SKIP_1) | instid1(VALU_DEP_4)
	v_and_or_b32 v38, v37, s5, 0x64006400
	v_and_or_b32 v37, v37, s17, 0x64006400
	v_pk_add_f16 v49, v28, v4
	s_delay_alu instid0(VALU_DEP_4)
	v_pk_fma_f16 v50, 0x2c00, v5, v32 op_sel_hi:[0,1,1]
	v_and_or_b32 v4, v51, s5, 0x64006400
	v_pk_add_f16 v47, v28, v38
	v_pk_fma_f16 v48, 0x2c00, v37, v32 op_sel_hi:[0,1,1]
	v_lshrrev_b32_e32 v37, 8, v51
	v_and_or_b32 v5, v51, s17, 0x64006400
	v_pk_add_f16 v43, v31, v4
	v_and_or_b32 v4, v52, s5, 0x64006400
	s_delay_alu instid0(VALU_DEP_4)
	v_and_or_b32 v38, v37, s5, 0x64006400
	v_and_or_b32 v37, v37, s17, 0x64006400
	v_pk_fma_f16 v44, 0x2c00, v5, v35 op_sel_hi:[0,1,1]
	v_and_or_b32 v5, v52, s17, 0x64006400
	v_pk_add_f16 v39, v29, v4
	v_pk_add_f16 v45, v31, v38
	v_pk_fma_f16 v46, 0x2c00, v37, v35 op_sel_hi:[0,1,1]
	v_lshrrev_b32_e32 v37, 8, v52
	v_pk_fma_f16 v40, 0x2c00, v5, v34 op_sel_hi:[0,1,1]
	v_and_or_b32 v4, v53, s5, 0x64006400
	v_and_or_b32 v5, v53, s17, 0x64006400
	s_delay_alu instid0(VALU_DEP_4) | instskip(SKIP_1) | instid1(VALU_DEP_2)
	v_and_or_b32 v38, v37, s5, 0x64006400
	v_and_or_b32 v37, v37, s17, 0x64006400
	v_pk_add_f16 v41, v29, v38
	s_delay_alu instid0(VALU_DEP_2) | instskip(SKIP_2) | instid1(VALU_DEP_2)
	v_pk_fma_f16 v42, 0x2c00, v37, v34 op_sel_hi:[0,1,1]
	v_lshrrev_b32_e32 v37, 8, v53
	v_pk_add_f16 v38, v30, v4
	v_and_or_b32 v51, v37, s5, 0x64006400
	v_and_or_b32 v52, v37, s17, 0x64006400
	v_pk_fma_f16 v37, 0x2c00, v5, v33 op_sel_hi:[0,1,1]
	s_delay_alu instid0(VALU_DEP_3) | instskip(NEXT) | instid1(VALU_DEP_3)
	v_pk_add_f16 v5, v30, v51
	v_pk_fma_f16 v4, 0x2c00, v52, v33 op_sel_hi:[0,1,1]
	ds_load_2addr_b32 v[51:52], v36 offset0:12 offset1:13
	s_waitcnt lgkmcnt(0)
	v_pk_fma_f16 v53, v49, v51, 0
	s_delay_alu instid0(VALU_DEP_1) | instskip(SKIP_3) | instid1(VALU_DEP_1)
	v_pk_fma_f16 v55, v50, v52, v53
	ds_load_2addr_b32 v[53:54], v36 offset0:14 offset1:15
	s_waitcnt lgkmcnt(0)
	v_pk_fma_f16 v55, v47, v53, v55
	v_pk_fma_f16 v55, v48, v54, v55
	s_delay_alu instid0(VALU_DEP_1) | instskip(SKIP_1) | instid1(VALU_DEP_1)
	v_cvt_f32_f16_e32 v56, v55
	v_lshrrev_b32_e32 v55, 16, v55
	v_cvt_f32_f16_e32 v55, v55
	s_delay_alu instid0(VALU_DEP_1) | instskip(NEXT) | instid1(VALU_DEP_1)
	v_add_f32_e32 v55, v56, v55
	v_fmac_f32_e32 v0, v55, v24
	v_pk_fma_f16 v55, v43, v51, 0
	s_delay_alu instid0(VALU_DEP_1) | instskip(NEXT) | instid1(VALU_DEP_1)
	v_pk_fma_f16 v55, v44, v52, v55
	v_pk_fma_f16 v55, v45, v53, v55
	s_delay_alu instid0(VALU_DEP_1) | instskip(NEXT) | instid1(VALU_DEP_1)
	v_pk_fma_f16 v55, v46, v54, v55
	v_cvt_f32_f16_e32 v56, v55
	v_lshrrev_b32_e32 v55, 16, v55
	s_delay_alu instid0(VALU_DEP_1) | instskip(NEXT) | instid1(VALU_DEP_1)
	v_cvt_f32_f16_e32 v55, v55
	v_add_f32_e32 v55, v56, v55
	s_delay_alu instid0(VALU_DEP_1) | instskip(SKIP_2) | instid1(VALU_DEP_2)
	v_fmac_f32_e32 v7, v55, v26
	v_pk_fma_f16 v55, v39, v51, 0
	v_pk_fma_f16 v51, v38, v51, 0
	;; [unrolled: 1-line block ×3, first 2 shown]
	s_delay_alu instid0(VALU_DEP_2) | instskip(NEXT) | instid1(VALU_DEP_2)
	v_pk_fma_f16 v51, v37, v52, v51
	v_pk_fma_f16 v55, v41, v53, v55
	s_delay_alu instid0(VALU_DEP_2) | instskip(NEXT) | instid1(VALU_DEP_2)
	v_pk_fma_f16 v51, v5, v53, v51
	v_pk_fma_f16 v55, v42, v54, v55
	s_delay_alu instid0(VALU_DEP_2) | instskip(NEXT) | instid1(VALU_DEP_2)
	v_pk_fma_f16 v51, v4, v54, v51
	v_cvt_f32_f16_e32 v56, v55
	s_delay_alu instid0(VALU_DEP_2) | instskip(SKIP_2) | instid1(VALU_DEP_2)
	v_cvt_f32_f16_e32 v52, v51
	v_lshrrev_b32_e32 v51, 16, v51
	v_lshrrev_b32_e32 v55, 16, v55
	v_cvt_f32_f16_e32 v51, v51
	s_delay_alu instid0(VALU_DEP_2) | instskip(NEXT) | instid1(VALU_DEP_2)
	v_cvt_f32_f16_e32 v55, v55
	v_dual_add_f32 v51, v52, v51 :: v_dual_fmac_f32 v16, v57, v25
	s_delay_alu instid0(VALU_DEP_2) | instskip(NEXT) | instid1(VALU_DEP_2)
	v_add_f32_e32 v55, v56, v55
	v_fmac_f32_e32 v9, v51, v27
	ds_load_2addr_b32 v[51:52], v36 offset0:76 offset1:77
	v_fmac_f32_e32 v8, v55, v25
	s_waitcnt lgkmcnt(0)
	v_pk_fma_f16 v53, v49, v51, 0
	s_delay_alu instid0(VALU_DEP_1) | instskip(SKIP_3) | instid1(VALU_DEP_1)
	v_pk_fma_f16 v55, v50, v52, v53
	ds_load_2addr_b32 v[53:54], v36 offset0:78 offset1:79
	s_waitcnt lgkmcnt(0)
	v_pk_fma_f16 v55, v47, v53, v55
	v_pk_fma_f16 v55, v48, v54, v55
	s_delay_alu instid0(VALU_DEP_1) | instskip(SKIP_1) | instid1(VALU_DEP_1)
	v_cvt_f32_f16_e32 v56, v55
	v_lshrrev_b32_e32 v55, 16, v55
	v_cvt_f32_f16_e32 v55, v55
	s_delay_alu instid0(VALU_DEP_1) | instskip(NEXT) | instid1(VALU_DEP_1)
	v_add_f32_e32 v55, v56, v55
	v_fmac_f32_e32 v10, v55, v24
	v_pk_fma_f16 v55, v43, v51, 0
	s_delay_alu instid0(VALU_DEP_1) | instskip(NEXT) | instid1(VALU_DEP_1)
	v_pk_fma_f16 v55, v44, v52, v55
	v_pk_fma_f16 v55, v45, v53, v55
	s_delay_alu instid0(VALU_DEP_1) | instskip(NEXT) | instid1(VALU_DEP_1)
	v_pk_fma_f16 v55, v46, v54, v55
	v_cvt_f32_f16_e32 v56, v55
	v_lshrrev_b32_e32 v55, 16, v55
	s_delay_alu instid0(VALU_DEP_1) | instskip(NEXT) | instid1(VALU_DEP_1)
	v_cvt_f32_f16_e32 v55, v55
	v_add_f32_e32 v55, v56, v55
	s_delay_alu instid0(VALU_DEP_1) | instskip(SKIP_2) | instid1(VALU_DEP_2)
	v_fmac_f32_e32 v11, v55, v26
	v_pk_fma_f16 v55, v39, v51, 0
	v_pk_fma_f16 v51, v38, v51, 0
	;; [unrolled: 1-line block ×3, first 2 shown]
	s_delay_alu instid0(VALU_DEP_2) | instskip(NEXT) | instid1(VALU_DEP_2)
	v_pk_fma_f16 v51, v37, v52, v51
	v_pk_fma_f16 v55, v41, v53, v55
	s_delay_alu instid0(VALU_DEP_2) | instskip(NEXT) | instid1(VALU_DEP_2)
	v_pk_fma_f16 v51, v5, v53, v51
	v_pk_fma_f16 v55, v42, v54, v55
	s_delay_alu instid0(VALU_DEP_2) | instskip(NEXT) | instid1(VALU_DEP_2)
	v_pk_fma_f16 v51, v4, v54, v51
	v_cvt_f32_f16_e32 v56, v55
	s_delay_alu instid0(VALU_DEP_2) | instskip(SKIP_2) | instid1(VALU_DEP_2)
	v_cvt_f32_f16_e32 v52, v51
	v_lshrrev_b32_e32 v51, 16, v51
	v_lshrrev_b32_e32 v55, 16, v55
	v_cvt_f32_f16_e32 v51, v51
	s_delay_alu instid0(VALU_DEP_2) | instskip(NEXT) | instid1(VALU_DEP_2)
	v_cvt_f32_f16_e32 v55, v55
	v_add_f32_e32 v51, v52, v51
	s_delay_alu instid0(VALU_DEP_2) | instskip(NEXT) | instid1(VALU_DEP_2)
	v_add_f32_e32 v55, v56, v55
	v_fmac_f32_e32 v13, v51, v27
	ds_load_2addr_b32 v[51:52], v36 offset0:140 offset1:141
	v_fmac_f32_e32 v12, v55, v25
	s_waitcnt lgkmcnt(0)
	v_pk_fma_f16 v53, v49, v51, 0
	s_delay_alu instid0(VALU_DEP_1) | instskip(SKIP_3) | instid1(VALU_DEP_1)
	v_pk_fma_f16 v55, v50, v52, v53
	ds_load_2addr_b32 v[53:54], v36 offset0:142 offset1:143
	s_waitcnt lgkmcnt(0)
	v_pk_fma_f16 v55, v47, v53, v55
	v_pk_fma_f16 v55, v48, v54, v55
	s_delay_alu instid0(VALU_DEP_1) | instskip(SKIP_1) | instid1(VALU_DEP_1)
	v_cvt_f32_f16_e32 v56, v55
	v_lshrrev_b32_e32 v55, 16, v55
	v_cvt_f32_f16_e32 v55, v55
	s_delay_alu instid0(VALU_DEP_1) | instskip(NEXT) | instid1(VALU_DEP_1)
	v_add_f32_e32 v55, v56, v55
	v_fmac_f32_e32 v14, v55, v24
	v_pk_fma_f16 v55, v43, v51, 0
	s_delay_alu instid0(VALU_DEP_1) | instskip(NEXT) | instid1(VALU_DEP_1)
	v_pk_fma_f16 v55, v44, v52, v55
	v_pk_fma_f16 v55, v45, v53, v55
	s_delay_alu instid0(VALU_DEP_1) | instskip(NEXT) | instid1(VALU_DEP_1)
	v_pk_fma_f16 v55, v46, v54, v55
	v_cvt_f32_f16_e32 v56, v55
	v_lshrrev_b32_e32 v55, 16, v55
	s_delay_alu instid0(VALU_DEP_1) | instskip(NEXT) | instid1(VALU_DEP_1)
	v_cvt_f32_f16_e32 v55, v55
	v_add_f32_e32 v55, v56, v55
	s_delay_alu instid0(VALU_DEP_1) | instskip(SKIP_2) | instid1(VALU_DEP_2)
	v_fmac_f32_e32 v15, v55, v26
	v_pk_fma_f16 v55, v39, v51, 0
	v_pk_fma_f16 v51, v38, v51, 0
	v_pk_fma_f16 v55, v40, v52, v55
	s_delay_alu instid0(VALU_DEP_2) | instskip(NEXT) | instid1(VALU_DEP_2)
	v_pk_fma_f16 v51, v37, v52, v51
	v_pk_fma_f16 v55, v41, v53, v55
	s_delay_alu instid0(VALU_DEP_2) | instskip(NEXT) | instid1(VALU_DEP_2)
	v_pk_fma_f16 v51, v5, v53, v51
	v_pk_fma_f16 v55, v42, v54, v55
	s_delay_alu instid0(VALU_DEP_2) | instskip(NEXT) | instid1(VALU_DEP_2)
	v_pk_fma_f16 v51, v4, v54, v51
	v_cvt_f32_f16_e32 v56, v55
	s_delay_alu instid0(VALU_DEP_2) | instskip(SKIP_2) | instid1(VALU_DEP_2)
	v_cvt_f32_f16_e32 v52, v51
	v_lshrrev_b32_e32 v51, 16, v51
	v_lshrrev_b32_e32 v55, 16, v55
	v_cvt_f32_f16_e32 v51, v51
	s_delay_alu instid0(VALU_DEP_2) | instskip(NEXT) | instid1(VALU_DEP_2)
	v_cvt_f32_f16_e32 v55, v55
	v_add_f32_e32 v51, v52, v51
	s_delay_alu instid0(VALU_DEP_2) | instskip(NEXT) | instid1(VALU_DEP_2)
	v_add_f32_e32 v55, v56, v55
	v_fmac_f32_e32 v17, v51, v27
	ds_load_2addr_b32 v[51:52], v36 offset0:204 offset1:205
	v_fmac_f32_e32 v16, v55, v25
	s_waitcnt lgkmcnt(0)
	v_pk_fma_f16 v49, v49, v51, 0
	s_delay_alu instid0(VALU_DEP_1) | instskip(SKIP_3) | instid1(VALU_DEP_1)
	v_pk_fma_f16 v53, v50, v52, v49
	ds_load_2addr_b32 v[49:50], v36 offset0:206 offset1:207
	s_waitcnt lgkmcnt(0)
	v_pk_fma_f16 v36, v47, v49, v53
	v_pk_fma_f16 v36, v48, v50, v36
	s_delay_alu instid0(VALU_DEP_1) | instskip(SKIP_1) | instid1(VALU_DEP_1)
	v_cvt_f32_f16_e32 v47, v36
	v_lshrrev_b32_e32 v36, 16, v36
	v_cvt_f32_f16_e32 v36, v36
	s_delay_alu instid0(VALU_DEP_1) | instskip(NEXT) | instid1(VALU_DEP_1)
	v_add_f32_e32 v36, v47, v36
	v_fmac_f32_e32 v18, v36, v24
	v_pk_fma_f16 v36, v43, v51, 0
	s_delay_alu instid0(VALU_DEP_1) | instskip(NEXT) | instid1(VALU_DEP_1)
	v_pk_fma_f16 v36, v44, v52, v36
	v_pk_fma_f16 v36, v45, v49, v36
	s_delay_alu instid0(VALU_DEP_1) | instskip(NEXT) | instid1(VALU_DEP_1)
	v_pk_fma_f16 v36, v46, v50, v36
	v_cvt_f32_f16_e32 v43, v36
	v_lshrrev_b32_e32 v36, 16, v36
	s_delay_alu instid0(VALU_DEP_1) | instskip(NEXT) | instid1(VALU_DEP_1)
	v_cvt_f32_f16_e32 v36, v36
	v_add_f32_e32 v36, v43, v36
	s_delay_alu instid0(VALU_DEP_1) | instskip(SKIP_1) | instid1(VALU_DEP_1)
	v_fmac_f32_e32 v19, v36, v26
	v_pk_fma_f16 v36, v39, v51, 0
	v_pk_fma_f16 v36, v40, v52, v36
	s_delay_alu instid0(VALU_DEP_1) | instskip(NEXT) | instid1(VALU_DEP_1)
	v_pk_fma_f16 v36, v41, v49, v36
	v_pk_fma_f16 v36, v42, v50, v36
	s_delay_alu instid0(VALU_DEP_1) | instskip(SKIP_1) | instid1(VALU_DEP_1)
	v_cvt_f32_f16_e32 v39, v36
	v_lshrrev_b32_e32 v36, 16, v36
	v_cvt_f32_f16_e32 v36, v36
	s_delay_alu instid0(VALU_DEP_1) | instskip(NEXT) | instid1(VALU_DEP_1)
	v_add_f32_e32 v36, v39, v36
	v_fmac_f32_e32 v20, v36, v25
	v_pk_fma_f16 v36, v38, v51, 0
	s_delay_alu instid0(VALU_DEP_1) | instskip(NEXT) | instid1(VALU_DEP_1)
	v_pk_fma_f16 v36, v37, v52, v36
	v_pk_fma_f16 v5, v5, v49, v36
	s_delay_alu instid0(VALU_DEP_1) | instskip(NEXT) | instid1(VALU_DEP_1)
	v_pk_fma_f16 v4, v4, v50, v5
	v_cvt_f32_f16_e32 v5, v4
	v_lshrrev_b32_e32 v4, 16, v4
	s_delay_alu instid0(VALU_DEP_1) | instskip(NEXT) | instid1(VALU_DEP_1)
	v_cvt_f32_f16_e32 v4, v4
	v_add_f32_e32 v4, v5, v4
	s_delay_alu instid0(VALU_DEP_1)
	v_fmac_f32_e32 v23, v4, v27
	s_cbranch_scc1 .LBB29_16
.LBB29_14:                              ; =>This Inner Loop Header: Depth=1
	s_cmp_lg_u32 s15, s4
	s_cbranch_scc1 .LBB29_13
; %bb.15:                               ;   in Loop: Header=BB29_14 Depth=1
	s_add_i32 s18, s18, 1
	s_add_i32 s4, s4, s14
	s_mul_i32 s19, s18, s16
	s_delay_alu instid0(SALU_CYCLE_1) | instskip(SKIP_2) | instid1(SALU_CYCLE_1)
	s_ashr_i32 s21, s19, 31
	v_add_nc_u32_e32 v4, s19, v1
	s_lshr_b32 s21, s21, 29
	s_add_i32 s19, s19, s21
	s_delay_alu instid0(VALU_DEP_1) | instskip(SKIP_1) | instid1(SALU_CYCLE_1)
	v_ashrrev_i32_e32 v5, 31, v4
	s_ashr_i32 s19, s19, 3
	v_add_nc_u32_e32 v24, s19, v6
	s_delay_alu instid0(VALU_DEP_2) | instskip(NEXT) | instid1(VALU_DEP_2)
	v_lshlrev_b64 v[4:5], 1, v[4:5]
	v_ashrrev_i32_e32 v25, 31, v24
	s_delay_alu instid0(VALU_DEP_2) | instskip(NEXT) | instid1(VALU_DEP_2)
	v_add_co_u32 v4, vcc_lo, s8, v4
	v_lshlrev_b64 v[24:25], 2, v[24:25]
	s_delay_alu instid0(VALU_DEP_4) | instskip(NEXT) | instid1(VALU_DEP_2)
	v_add_co_ci_u32_e32 v5, vcc_lo, s9, v5, vcc_lo
	v_add_co_u32 v24, vcc_lo, s6, v24
	s_delay_alu instid0(VALU_DEP_3)
	v_add_co_ci_u32_e32 v25, vcc_lo, s7, v25, vcc_lo
	global_load_b64 v[4:5], v[4:5], off
	global_load_b32 v25, v[24:25], off
	s_waitcnt vmcnt(1)
	v_cvt_f32_f16_e32 v24, v4
	v_lshrrev_b32_e32 v4, 16, v4
	s_waitcnt vmcnt(0)
	v_bfe_u32 v27, v25, v21, 4
	v_lshrrev_b32_e32 v28, 16, v5
	v_lshrrev_b32_e32 v29, v21, v25
	v_cvt_f32_f16_e32 v25, v5
	v_cvt_f32_f16_e32 v26, v4
	v_add_nc_u32_e32 v4, v27, v22
	v_cvt_f32_f16_e32 v27, v28
	v_bfe_u32 v5, v29, 4, 4
	v_bfe_u32 v28, v29, 8, 4
	;; [unrolled: 1-line block ×3, first 2 shown]
	v_cvt_f32_ubyte0_e32 v30, v4
	v_or_b32_e32 v4, 0xffffe400, v4
	v_add_nc_u32_e32 v5, v5, v22
	v_add_nc_u32_e32 v31, v28, v22
	;; [unrolled: 1-line block ×3, first 2 shown]
	v_cvt_f16_f32_e32 v30, v30
	v_perm_b32 v28, v4, v4, 0x5040100
	v_or_b32_e32 v4, 0xffffe400, v5
	v_cvt_f32_ubyte0_e32 v5, v5
	v_or_b32_e32 v32, 0xffffe400, v31
	v_cvt_f32_ubyte0_e32 v31, v31
	v_cvt_f32_ubyte0_e32 v33, v29
	v_sub_f16_e32 v35, 0xd400, v30
	v_cvt_f16_f32_e32 v5, v5
	v_or_b32_e32 v34, 0xffffe400, v29
	v_cvt_f16_f32_e32 v30, v31
	v_cvt_f16_f32_e32 v33, v33
	v_perm_b32 v31, v4, v4, 0x5040100
	v_sub_f16_e32 v4, 0xd400, v5
	v_perm_b32 v29, v32, v32, 0x5040100
	v_sub_f16_e32 v5, 0xd400, v30
	v_sub_f16_e32 v33, 0xd400, v33
	v_perm_b32 v30, v34, v34, 0x5040100
	v_pack_b32_f16 v32, v35, v35
	v_pack_b32_f16 v35, v4, v4
	;; [unrolled: 1-line block ×4, first 2 shown]
	s_branch .LBB29_13
.LBB29_16:
	v_cvt_f16_f32_e32 v28, v0
	v_cvt_f16_f32_e32 v27, v7
	;; [unrolled: 1-line block ×16, first 2 shown]
.LBB29_17:
	v_mad_u64_u32 v[2:3], null, s12, s16, v[1:2]
	v_perm_b32 v14, v27, v28, 0x5040100
	s_mov_b32 s0, 0
	s_delay_alu instid0(VALU_DEP_2) | instskip(NEXT) | instid1(VALU_DEP_1)
	v_ashrrev_i32_e32 v3, 31, v2
	v_lshlrev_b64 v[0:1], 1, v[2:3]
	s_delay_alu instid0(VALU_DEP_1) | instskip(NEXT) | instid1(VALU_DEP_2)
	v_add_co_u32 v0, vcc_lo, s10, v0
	v_add_co_ci_u32_e32 v1, vcc_lo, s11, v1, vcc_lo
	global_load_b32 v4, v[0:1], off
.LBB29_18:                              ; =>This Inner Loop Header: Depth=1
	s_waitcnt vmcnt(0)
	v_pk_add_f16 v3, v14, v4
	global_atomic_cmpswap_b32 v3, v[0:1], v[3:4], off glc
	s_waitcnt vmcnt(0)
	v_cmp_eq_u32_e32 vcc_lo, v4, v3
	v_mov_b32_e32 v4, v3
	s_or_b32 s0, vcc_lo, s0
	s_delay_alu instid0(SALU_CYCLE_1)
	s_and_not1_b32 exec_lo, exec_lo, s0
	s_cbranch_execnz .LBB29_18
; %bb.19:
	s_or_b32 exec_lo, exec_lo, s0
	global_load_b32 v4, v[0:1], off offset:4
	v_perm_b32 v14, v25, v26, 0x5040100
	s_mov_b32 s0, 0
.LBB29_20:                              ; =>This Inner Loop Header: Depth=1
	s_waitcnt vmcnt(0)
	s_delay_alu instid0(VALU_DEP_1)
	v_pk_add_f16 v3, v14, v4
	global_atomic_cmpswap_b32 v3, v[0:1], v[3:4], off offset:4 glc
	s_waitcnt vmcnt(0)
	v_cmp_eq_u32_e32 vcc_lo, v4, v3
	v_mov_b32_e32 v4, v3
	s_or_b32 s0, vcc_lo, s0
	s_delay_alu instid0(SALU_CYCLE_1)
	s_and_not1_b32 exec_lo, exec_lo, s0
	s_cbranch_execnz .LBB29_20
; %bb.21:
	s_or_b32 exec_lo, exec_lo, s0
	v_add_nc_u32_e32 v0, s16, v2
	v_perm_b32 v14, v22, v24, 0x5040100
	s_mov_b32 s0, 0
	s_delay_alu instid0(VALU_DEP_2) | instskip(NEXT) | instid1(VALU_DEP_1)
	v_ashrrev_i32_e32 v1, 31, v0
	v_lshlrev_b64 v[1:2], 1, v[0:1]
	s_delay_alu instid0(VALU_DEP_1) | instskip(NEXT) | instid1(VALU_DEP_2)
	v_add_co_u32 v1, vcc_lo, s10, v1
	v_add_co_ci_u32_e32 v2, vcc_lo, s11, v2, vcc_lo
	global_load_b32 v4, v[1:2], off
.LBB29_22:                              ; =>This Inner Loop Header: Depth=1
	s_waitcnt vmcnt(0)
	v_pk_add_f16 v3, v14, v4
	global_atomic_cmpswap_b32 v3, v[1:2], v[3:4], off glc
	s_waitcnt vmcnt(0)
	v_cmp_eq_u32_e32 vcc_lo, v4, v3
	v_mov_b32_e32 v4, v3
	s_or_b32 s0, vcc_lo, s0
	s_delay_alu instid0(SALU_CYCLE_1)
	s_and_not1_b32 exec_lo, exec_lo, s0
	s_cbranch_execnz .LBB29_22
; %bb.23:
	s_or_b32 exec_lo, exec_lo, s0
	global_load_b32 v4, v[1:2], off offset:4
	v_perm_b32 v13, v13, v21, 0x5040100
	s_mov_b32 s0, 0
.LBB29_24:                              ; =>This Inner Loop Header: Depth=1
	s_waitcnt vmcnt(0)
	s_delay_alu instid0(VALU_DEP_1)
	v_pk_add_f16 v3, v13, v4
	global_atomic_cmpswap_b32 v3, v[1:2], v[3:4], off offset:4 glc
	s_waitcnt vmcnt(0)
	v_cmp_eq_u32_e32 vcc_lo, v4, v3
	v_mov_b32_e32 v4, v3
	s_or_b32 s0, vcc_lo, s0
	s_delay_alu instid0(SALU_CYCLE_1)
	s_and_not1_b32 exec_lo, exec_lo, s0
	s_cbranch_execnz .LBB29_24
; %bb.25:
	s_or_b32 exec_lo, exec_lo, s0
	v_add_nc_u32_e32 v0, s16, v0
	;; [unrolled: 40-line block ×3, first 2 shown]
	v_perm_b32 v4, v7, v8, 0x5040100
	s_mov_b32 s0, 0
	s_delay_alu instid0(VALU_DEP_2) | instskip(NEXT) | instid1(VALU_DEP_1)
	v_ashrrev_i32_e32 v1, 31, v0
	v_lshlrev_b64 v[0:1], 1, v[0:1]
	s_delay_alu instid0(VALU_DEP_1) | instskip(NEXT) | instid1(VALU_DEP_2)
	v_add_co_u32 v0, vcc_lo, s10, v0
	v_add_co_ci_u32_e32 v1, vcc_lo, s11, v1, vcc_lo
	global_load_b32 v3, v[0:1], off
.LBB29_30:                              ; =>This Inner Loop Header: Depth=1
	s_waitcnt vmcnt(0)
	v_pk_add_f16 v2, v4, v3
	global_atomic_cmpswap_b32 v2, v[0:1], v[2:3], off glc
	s_waitcnt vmcnt(0)
	v_cmp_eq_u32_e32 vcc_lo, v3, v2
	v_mov_b32_e32 v3, v2
	s_or_b32 s0, vcc_lo, s0
	s_delay_alu instid0(SALU_CYCLE_1)
	s_and_not1_b32 exec_lo, exec_lo, s0
	s_cbranch_execnz .LBB29_30
; %bb.31:
	s_or_b32 exec_lo, exec_lo, s0
	global_load_b32 v3, v[0:1], off offset:4
	v_perm_b32 v4, v5, v6, 0x5040100
	s_mov_b32 s0, 0
.LBB29_32:                              ; =>This Inner Loop Header: Depth=1
	s_waitcnt vmcnt(0)
	s_delay_alu instid0(VALU_DEP_1)
	v_pk_add_f16 v2, v4, v3
	global_atomic_cmpswap_b32 v2, v[0:1], v[2:3], off offset:4 glc
	s_waitcnt vmcnt(0)
	v_cmp_eq_u32_e32 vcc_lo, v3, v2
	v_mov_b32_e32 v3, v2
	s_or_b32 s0, vcc_lo, s0
	s_delay_alu instid0(SALU_CYCLE_1)
	s_and_not1_b32 exec_lo, exec_lo, s0
	s_cbranch_execnz .LBB29_32
.LBB29_33:
	s_endpgm
	.section	.rodata,"a",@progbits
	.p2align	6, 0x0
	.amdhsa_kernel _ZN4vllm4gptq33gemm_half_q_half_gptq_4bit_kernelILb1ELi4EEEvPK6__halfPKjS6_S4_PS2_iiiibPKi
		.amdhsa_group_segment_fixed_size 1024
		.amdhsa_private_segment_fixed_size 0
		.amdhsa_kernarg_size 72
		.amdhsa_user_sgpr_count 13
		.amdhsa_user_sgpr_dispatch_ptr 0
		.amdhsa_user_sgpr_queue_ptr 0
		.amdhsa_user_sgpr_kernarg_segment_ptr 1
		.amdhsa_user_sgpr_dispatch_id 0
		.amdhsa_user_sgpr_private_segment_size 0
		.amdhsa_wavefront_size32 1
		.amdhsa_uses_dynamic_stack 0
		.amdhsa_enable_private_segment 0
		.amdhsa_system_sgpr_workgroup_id_x 1
		.amdhsa_system_sgpr_workgroup_id_y 1
		.amdhsa_system_sgpr_workgroup_id_z 1
		.amdhsa_system_sgpr_workgroup_info 0
		.amdhsa_system_vgpr_workitem_id 0
		.amdhsa_next_free_vgpr 59
		.amdhsa_next_free_sgpr 24
		.amdhsa_reserve_vcc 1
		.amdhsa_float_round_mode_32 0
		.amdhsa_float_round_mode_16_64 0
		.amdhsa_float_denorm_mode_32 3
		.amdhsa_float_denorm_mode_16_64 3
		.amdhsa_dx10_clamp 1
		.amdhsa_ieee_mode 1
		.amdhsa_fp16_overflow 0
		.amdhsa_workgroup_processor_mode 1
		.amdhsa_memory_ordered 1
		.amdhsa_forward_progress 0
		.amdhsa_shared_vgpr_count 0
		.amdhsa_exception_fp_ieee_invalid_op 0
		.amdhsa_exception_fp_denorm_src 0
		.amdhsa_exception_fp_ieee_div_zero 0
		.amdhsa_exception_fp_ieee_overflow 0
		.amdhsa_exception_fp_ieee_underflow 0
		.amdhsa_exception_fp_ieee_inexact 0
		.amdhsa_exception_int_div_zero 0
	.end_amdhsa_kernel
	.section	.text._ZN4vllm4gptq33gemm_half_q_half_gptq_4bit_kernelILb1ELi4EEEvPK6__halfPKjS6_S4_PS2_iiiibPKi,"axG",@progbits,_ZN4vllm4gptq33gemm_half_q_half_gptq_4bit_kernelILb1ELi4EEEvPK6__halfPKjS6_S4_PS2_iiiibPKi,comdat
.Lfunc_end29:
	.size	_ZN4vllm4gptq33gemm_half_q_half_gptq_4bit_kernelILb1ELi4EEEvPK6__halfPKjS6_S4_PS2_iiiibPKi, .Lfunc_end29-_ZN4vllm4gptq33gemm_half_q_half_gptq_4bit_kernelILb1ELi4EEEvPK6__halfPKjS6_S4_PS2_iiiibPKi
                                        ; -- End function
	.section	.AMDGPU.csdata,"",@progbits
; Kernel info:
; codeLenInByte = 8968
; NumSgprs: 26
; NumVgprs: 59
; ScratchSize: 0
; MemoryBound: 0
; FloatMode: 240
; IeeeMode: 1
; LDSByteSize: 1024 bytes/workgroup (compile time only)
; SGPRBlocks: 3
; VGPRBlocks: 7
; NumSGPRsForWavesPerEU: 26
; NumVGPRsForWavesPerEU: 59
; Occupancy: 16
; WaveLimiterHint : 0
; COMPUTE_PGM_RSRC2:SCRATCH_EN: 0
; COMPUTE_PGM_RSRC2:USER_SGPR: 13
; COMPUTE_PGM_RSRC2:TRAP_HANDLER: 0
; COMPUTE_PGM_RSRC2:TGID_X_EN: 1
; COMPUTE_PGM_RSRC2:TGID_Y_EN: 1
; COMPUTE_PGM_RSRC2:TGID_Z_EN: 1
; COMPUTE_PGM_RSRC2:TIDIG_COMP_CNT: 0
	.section	.text._ZN4vllm4gptq33gemm_half_q_half_gptq_8bit_kernelILb1ELi4EEEvPK6__halfPKjS6_S4_PS2_iiiibPKi,"axG",@progbits,_ZN4vllm4gptq33gemm_half_q_half_gptq_8bit_kernelILb1ELi4EEEvPK6__halfPKjS6_S4_PS2_iiiibPKi,comdat
	.protected	_ZN4vllm4gptq33gemm_half_q_half_gptq_8bit_kernelILb1ELi4EEEvPK6__halfPKjS6_S4_PS2_iiiibPKi ; -- Begin function _ZN4vllm4gptq33gemm_half_q_half_gptq_8bit_kernelILb1ELi4EEEvPK6__halfPKjS6_S4_PS2_iiiibPKi
	.globl	_ZN4vllm4gptq33gemm_half_q_half_gptq_8bit_kernelILb1ELi4EEEvPK6__halfPKjS6_S4_PS2_iiiibPKi
	.p2align	8
	.type	_ZN4vllm4gptq33gemm_half_q_half_gptq_8bit_kernelILb1ELi4EEEvPK6__halfPKjS6_S4_PS2_iiiibPKi,@function
_ZN4vllm4gptq33gemm_half_q_half_gptq_8bit_kernelILb1ELi4EEEvPK6__halfPKjS6_S4_PS2_iiiibPKi: ; @_ZN4vllm4gptq33gemm_half_q_half_gptq_8bit_kernelILb1ELi4EEEvPK6__halfPKjS6_S4_PS2_iiiibPKi
; %bb.0:
	s_load_b128 s[16:19], s[0:1], 0x2c
	s_lshl_b32 s15, s15, 7
	s_load_b256 s[4:11], s[0:1], 0x8
	s_add_i32 s2, s15, 0x80
	s_lshl_b32 s12, s14, 2
	v_cvt_f64_u32_e32 v[1:2], s2
	s_mov_b32 s14, exec_lo
	s_waitcnt lgkmcnt(0)
	v_cvt_f64_i32_e32 v[3:4], s17
	s_delay_alu instid0(VALU_DEP_1) | instskip(NEXT) | instid1(VALU_DEP_1)
	v_min_f64 v[1:2], v[1:2], v[3:4]
	v_cvt_i32_f64_e32 v2, v[1:2]
	v_add_nc_u32_e32 v1, s15, v0
	s_delay_alu instid0(VALU_DEP_2) | instskip(NEXT) | instid1(VALU_DEP_2)
	v_readfirstlane_b32 s20, v2
	v_cmpx_lt_u32_e64 v1, v2
	s_cbranch_execz .LBB30_10
; %bb.1:
	s_clause 0x1
	s_load_b64 s[2:3], s[0:1], 0x40
	s_load_b64 s[0:1], s[0:1], 0x0
	v_mov_b32_e32 v2, 0
	s_delay_alu instid0(VALU_DEP_1) | instskip(SKIP_2) | instid1(VALU_DEP_2)
	v_lshlrev_b64 v[3:4], 2, v[1:2]
	v_dual_mov_b32 v6, v2 :: v_dual_mov_b32 v5, v1
	s_waitcnt lgkmcnt(0)
	v_add_co_u32 v3, vcc_lo, s2, v3
	s_delay_alu instid0(VALU_DEP_3)
	v_add_co_ci_u32_e32 v4, vcc_lo, s3, v4, vcc_lo
	s_cmp_lg_u64 s[2:3], 0
	s_cselect_b32 s21, -1, 0
	s_cmp_eq_u64 s[2:3], 0
	s_cbranch_scc1 .LBB30_3
; %bb.2:
	global_load_b32 v5, v[3:4], off
	s_waitcnt vmcnt(0)
	v_ashrrev_i32_e32 v6, 31, v5
.LBB30_3:
	s_mul_i32 s2, s12, s17
	s_delay_alu instid0(VALU_DEP_1)
	v_lshlrev_b64 v[5:6], 1, v[5:6]
	s_ashr_i32 s3, s2, 31
	v_lshlrev_b32_e32 v7, 1, v0
	s_lshl_b64 s[22:23], s[2:3], 1
	v_cndmask_b32_e64 v8, 0, 1, s21
	s_add_u32 s3, s0, s22
	s_addc_u32 s22, s1, s23
	v_add_co_u32 v5, vcc_lo, s3, v5
	v_add_co_ci_u32_e32 v6, vcc_lo, s22, v6, vcc_lo
	s_and_not1_b32 vcc_lo, exec_lo, s21
	global_load_u16 v9, v[5:6], off
	v_dual_mov_b32 v6, v2 :: v_dual_mov_b32 v5, v1
	s_waitcnt vmcnt(0)
	ds_store_b16 v7, v9
	s_cbranch_vccnz .LBB30_5
; %bb.4:
	global_load_b32 v5, v[3:4], off
	s_waitcnt vmcnt(0)
	v_ashrrev_i32_e32 v6, 31, v5
.LBB30_5:
	s_add_i32 s2, s2, s17
	s_delay_alu instid0(VALU_DEP_1) | instskip(SKIP_1) | instid1(SALU_CYCLE_1)
	v_lshlrev_b64 v[5:6], 1, v[5:6]
	s_ashr_i32 s3, s2, 31
	s_lshl_b64 s[22:23], s[2:3], 1
	s_delay_alu instid0(SALU_CYCLE_1) | instskip(SKIP_1) | instid1(VALU_DEP_1)
	s_add_u32 s3, s0, s22
	s_addc_u32 s21, s1, s23
	v_add_co_u32 v5, vcc_lo, s3, v5
	v_add_co_ci_u32_e32 v6, vcc_lo, s21, v6, vcc_lo
	v_cmp_ne_u32_e32 vcc_lo, 1, v8
	global_load_u16 v9, v[5:6], off
	v_dual_mov_b32 v6, v2 :: v_dual_mov_b32 v5, v1
	s_waitcnt vmcnt(0)
	ds_store_b16 v7, v9 offset:256
	s_cbranch_vccnz .LBB30_7
; %bb.6:
	global_load_b32 v5, v[3:4], off
	s_waitcnt vmcnt(0)
	v_ashrrev_i32_e32 v6, 31, v5
.LBB30_7:
	s_add_i32 s2, s2, s17
	s_delay_alu instid0(VALU_DEP_1) | instskip(SKIP_1) | instid1(SALU_CYCLE_1)
	v_lshlrev_b64 v[5:6], 1, v[5:6]
	s_ashr_i32 s3, s2, 31
	s_lshl_b64 s[22:23], s[2:3], 1
	s_delay_alu instid0(SALU_CYCLE_1) | instskip(SKIP_1) | instid1(VALU_DEP_1)
	s_add_u32 s3, s0, s22
	s_addc_u32 s21, s1, s23
	v_add_co_u32 v5, vcc_lo, s3, v5
	v_add_co_ci_u32_e32 v6, vcc_lo, s21, v6, vcc_lo
	v_cmp_ne_u32_e32 vcc_lo, 1, v8
	global_load_u16 v5, v[5:6], off
	s_waitcnt vmcnt(0)
	ds_store_b16 v7, v5 offset:512
	s_cbranch_vccnz .LBB30_9
; %bb.8:
	global_load_b32 v1, v[3:4], off
	s_waitcnt vmcnt(0)
	v_ashrrev_i32_e32 v2, 31, v1
.LBB30_9:
	s_add_i32 s2, s2, s17
	s_delay_alu instid0(VALU_DEP_1) | instskip(SKIP_1) | instid1(SALU_CYCLE_1)
	v_lshlrev_b64 v[1:2], 1, v[1:2]
	s_ashr_i32 s3, s2, 31
	s_lshl_b64 s[2:3], s[2:3], 1
	s_delay_alu instid0(SALU_CYCLE_1) | instskip(SKIP_1) | instid1(VALU_DEP_1)
	s_add_u32 s0, s0, s2
	s_addc_u32 s1, s1, s3
	v_add_co_u32 v1, vcc_lo, s0, v1
	v_add_co_ci_u32_e32 v2, vcc_lo, s1, v2, vcc_lo
	global_load_u16 v1, v[1:2], off
	s_waitcnt vmcnt(0)
	ds_store_b16 v7, v1 offset:768
.LBB30_10:
	s_or_b32 exec_lo, exec_lo, s14
	v_lshlrev_b32_e32 v0, 2, v0
	s_mov_b32 s0, exec_lo
	s_delay_alu instid0(VALU_DEP_1) | instskip(NEXT) | instid1(VALU_DEP_1)
	v_lshl_add_u32 v16, s13, 9, v0
	v_cmpx_gt_i32_e64 s16, v16
	s_cbranch_execz .LBB30_32
; %bb.11:
	s_abs_i32 s0, s18
	v_dual_mov_b32 v47, 0 :: v_dual_mov_b32 v44, 0
	v_cvt_f32_u32_e32 v0, s0
	v_dual_mov_b32 v46, 0 :: v_dual_mov_b32 v45, 0
	v_dual_mov_b32 v40, 0 :: v_dual_mov_b32 v41, 0
	s_delay_alu instid0(VALU_DEP_3)
	v_rcp_iflag_f32_e32 v0, v0
	v_dual_mov_b32 v42, 0 :: v_dual_mov_b32 v43, 0
	v_dual_mov_b32 v36, 0 :: v_dual_mov_b32 v39, 0
	;; [unrolled: 1-line block ×4, first 2 shown]
	s_waitcnt_depctr 0xfff
	v_dual_mov_b32 v37, 0 :: v_dual_mul_f32 v0, 0x4f7ffffe, v0
	v_mov_b32_e32 v22, 0
	s_cmp_ge_i32 s15, s20
	s_mov_b32 s13, 0
	s_waitcnt lgkmcnt(0)
	v_cvt_u32_f32_e32 v0, v0
	s_barrier
	buffer_gl0_inv
	v_readfirstlane_b32 s1, v0
	s_cbranch_scc1 .LBB30_16
; %bb.12:
	s_sub_i32 s2, 0, s0
	s_abs_i32 s3, s17
	s_delay_alu instid0(VALU_DEP_1)
	s_mul_i32 s2, s2, s1
	s_ashr_i32 s14, s18, 31
	s_mul_hi_u32 s2, s1, s2
	v_ashrrev_i32_e32 v24, 2, v16
	s_add_i32 s1, s1, s2
	s_ashr_i32 s2, s17, 31
	s_mul_hi_u32 s1, s3, s1
	s_xor_b32 s2, s2, s14
	s_mul_i32 s17, s1, s0
	s_add_i32 s14, s1, 1
	s_sub_i32 s3, s3, s17
	v_ashrrev_i32_e32 v17, 31, v16
	s_sub_i32 s17, s3, s0
	s_cmp_ge_u32 s3, s0
	v_dual_mov_b32 v22, 0 :: v_dual_mov_b32 v37, 0
	s_cselect_b32 s1, s14, s1
	s_cselect_b32 s3, s17, s3
	s_add_i32 s14, s1, 1
	s_cmp_ge_u32 s3, s0
	v_dual_mov_b32 v14, 0 :: v_dual_mov_b32 v43, 0
	s_cselect_b32 s0, s14, s1
	v_dual_mov_b32 v38, 0 :: v_dual_mov_b32 v41, 0
	s_xor_b32 s0, s0, s2
	v_dual_mov_b32 v36, 0 :: v_dual_mov_b32 v45, 0
	s_sub_i32 s14, s0, s2
	s_bitcmp1_b32 s19, 0
	v_cvt_f32_u32_e32 v0, s14
	s_cselect_b32 s1, -1, 0
	s_sub_i32 s2, 0, s14
	s_xor_b32 s3, s1, -1
	v_dual_mov_b32 v42, 0 :: v_dual_mov_b32 v47, 0
	v_rcp_iflag_f32_e32 v0, v0
	v_mov_b32_e32 v40, 0
	v_mov_b32_e32 v46, 0
	v_dual_mov_b32 v44, 0 :: v_dual_mov_b32 v23, 0
	v_mov_b32_e32 v15, 0
	s_waitcnt_depctr 0xfff
	v_dual_mov_b32 v39, 0 :: v_dual_mul_f32 v0, 0x4f7ffffe, v0
	s_delay_alu instid0(VALU_DEP_1) | instskip(NEXT) | instid1(VALU_DEP_1)
	v_cvt_u32_f32_e32 v0, v0
	v_readfirstlane_b32 s0, v0
	s_delay_alu instid0(VALU_DEP_1) | instskip(NEXT) | instid1(SALU_CYCLE_1)
	s_mul_i32 s2, s2, s0
	s_mul_hi_u32 s2, s0, s2
	s_delay_alu instid0(SALU_CYCLE_1) | instskip(NEXT) | instid1(SALU_CYCLE_1)
	s_add_i32 s0, s0, s2
	s_mul_hi_u32 s0, s15, s0
	s_delay_alu instid0(SALU_CYCLE_1) | instskip(NEXT) | instid1(SALU_CYCLE_1)
	s_mul_i32 s2, s0, s14
	s_sub_i32 s1, s15, s2
	s_add_i32 s2, s0, 1
	s_sub_i32 s17, s1, s14
	s_cmp_ge_u32 s1, s14
	s_cselect_b32 s0, s2, s0
	s_cselect_b32 s1, s17, s1
	s_add_i32 s2, s0, 1
	s_cmp_ge_u32 s1, s14
	s_cselect_b32 s18, s2, s0
	s_delay_alu instid0(SALU_CYCLE_1) | instskip(NEXT) | instid1(SALU_CYCLE_1)
	s_mul_i32 s0, s18, s16
	s_ashr_i32 s1, s0, 31
	v_add_nc_u32_e32 v0, s0, v16
	s_lshr_b32 s1, s1, 30
	s_delay_alu instid0(SALU_CYCLE_1) | instskip(NEXT) | instid1(SALU_CYCLE_1)
	s_add_i32 s0, s0, s1
	s_ashr_i32 s0, s0, 2
	s_delay_alu instid0(VALU_DEP_1) | instskip(SKIP_2) | instid1(SALU_CYCLE_1)
	v_ashrrev_i32_e32 v1, 31, v0
	v_add_nc_u32_e32 v2, s0, v24
	s_lshr_b32 s0, s15, 2
	s_mul_i32 s0, s0, s16
	s_delay_alu instid0(VALU_DEP_2) | instskip(NEXT) | instid1(VALU_DEP_2)
	v_lshlrev_b64 v[0:1], 1, v[0:1]
	v_ashrrev_i32_e32 v3, 31, v2
	s_ashr_i32 s1, s0, 31
	s_delay_alu instid0(SALU_CYCLE_1) | instskip(NEXT) | instid1(VALU_DEP_1)
	s_lshl_b64 s[0:1], s[0:1], 2
	v_lshlrev_b64 v[2:3], 2, v[2:3]
	s_delay_alu instid0(VALU_DEP_3) | instskip(SKIP_2) | instid1(VALU_DEP_3)
	v_add_co_u32 v0, vcc_lo, s8, v0
	v_add_co_ci_u32_e32 v1, vcc_lo, s9, v1, vcc_lo
	s_add_u32 s0, s4, s0
	v_add_co_u32 v2, vcc_lo, s6, v2
	s_delay_alu instid0(VALU_DEP_4)
	v_add_co_ci_u32_e32 v3, vcc_lo, s7, v3, vcc_lo
	global_load_b64 v[18:19], v[0:1], off
	global_load_b32 v2, v[2:3], off
	v_lshlrev_b64 v[0:1], 2, v[16:17]
	s_addc_u32 s1, s5, s1
	v_cndmask_b32_e64 v17, 0, 1, s3
	s_ashr_i32 s17, s16, 31
	s_add_i32 s4, s14, s15
	s_lshl_b64 s[2:3], s[16:17], 2
	v_add_co_u32 v20, vcc_lo, s0, v0
	v_add_co_ci_u32_e32 v21, vcc_lo, s1, v1, vcc_lo
	s_lshl_b64 s[0:1], s[16:17], 5
	s_waitcnt vmcnt(1)
	v_lshrrev_b32_e32 v28, 16, v19
	v_lshrrev_b32_e32 v25, 16, v18
	s_waitcnt vmcnt(0)
	v_and_b32_e32 v26, 0xff, v2
	v_bfe_u32 v27, v2, 8, 8
	v_bfe_u32 v29, v2, 16, 8
	v_lshrrev_b32_e32 v30, 24, v2
	s_branch .LBB30_14
.LBB30_13:                              ;   in Loop: Header=BB30_14 Depth=1
	global_load_b128 v[0:3], v[20:21], off
	v_add_co_u32 v12, vcc_lo, v20, s2
	v_add_co_ci_u32_e32 v13, vcc_lo, s3, v21, vcc_lo
	v_add_nc_u32_e32 v35, v26, v17
	v_dual_mov_b32 v31, s13 :: v_dual_add_nc_u32 v34, v27, v17
	global_load_b128 v[4:7], v[12:13], off
	v_add_nc_u32_e32 v33, v29, v17
	v_add_nc_u32_e32 v32, v30, v17
	v_add_co_u32 v12, vcc_lo, v12, s2
	v_add_co_ci_u32_e32 v13, vcc_lo, s3, v13, vcc_lo
	s_add_i32 s15, s15, 32
	s_add_i32 s13, s13, 64
	s_cmp_ge_i32 s15, s20
	s_waitcnt vmcnt(1)
	v_and_b32_e32 v8, 0xff, v0
	s_delay_alu instid0(VALU_DEP_1) | instskip(NEXT) | instid1(VALU_DEP_1)
	v_sub_nc_u32_e32 v8, v8, v35
	v_cvt_f32_i32_e32 v8, v8
	s_delay_alu instid0(VALU_DEP_1) | instskip(SKIP_1) | instid1(VALU_DEP_1)
	v_cvt_f16_f32_e32 v52, v8
	v_bfe_u32 v8, v0, 8, 8
	v_sub_nc_u32_e32 v8, v8, v35
	s_delay_alu instid0(VALU_DEP_1) | instskip(NEXT) | instid1(VALU_DEP_1)
	v_cvt_f32_i32_e32 v8, v8
	v_cvt_f16_f32_e32 v53, v8
	v_bfe_u32 v8, v0, 16, 8
	v_lshrrev_b32_e32 v0, 24, v0
	s_delay_alu instid0(VALU_DEP_2) | instskip(NEXT) | instid1(VALU_DEP_2)
	v_sub_nc_u32_e32 v8, v8, v35
	v_sub_nc_u32_e32 v0, v0, v35
	s_delay_alu instid0(VALU_DEP_2) | instskip(NEXT) | instid1(VALU_DEP_2)
	v_cvt_f32_i32_e32 v8, v8
	v_cvt_f32_i32_e32 v0, v0
	s_delay_alu instid0(VALU_DEP_2) | instskip(NEXT) | instid1(VALU_DEP_2)
	v_cvt_f16_f32_e32 v54, v8
	v_cvt_f16_f32_e32 v55, v0
	s_waitcnt vmcnt(0)
	v_and_b32_e32 v0, 0xff, v4
	s_delay_alu instid0(VALU_DEP_1) | instskip(NEXT) | instid1(VALU_DEP_1)
	v_sub_nc_u32_e32 v0, v0, v35
	v_cvt_f32_i32_e32 v0, v0
	s_delay_alu instid0(VALU_DEP_1) | instskip(SKIP_1) | instid1(VALU_DEP_1)
	v_cvt_f16_f32_e32 v56, v0
	v_bfe_u32 v0, v4, 8, 8
	v_sub_nc_u32_e32 v0, v0, v35
	s_delay_alu instid0(VALU_DEP_1) | instskip(NEXT) | instid1(VALU_DEP_1)
	v_cvt_f32_i32_e32 v0, v0
	v_cvt_f16_f32_e32 v57, v0
	v_bfe_u32 v0, v4, 16, 8
	s_delay_alu instid0(VALU_DEP_1) | instskip(NEXT) | instid1(VALU_DEP_1)
	v_sub_nc_u32_e32 v0, v0, v35
	v_cvt_f32_i32_e32 v0, v0
	s_delay_alu instid0(VALU_DEP_1) | instskip(SKIP_1) | instid1(VALU_DEP_1)
	v_cvt_f16_f32_e32 v58, v0
	v_lshrrev_b32_e32 v0, 24, v4
	v_sub_nc_u32_e32 v0, v0, v35
	s_delay_alu instid0(VALU_DEP_1) | instskip(NEXT) | instid1(VALU_DEP_1)
	v_cvt_f32_i32_e32 v0, v0
	v_cvt_f16_f32_e32 v59, v0
	v_and_b32_e32 v0, 0xff, v1
	s_delay_alu instid0(VALU_DEP_1) | instskip(NEXT) | instid1(VALU_DEP_1)
	v_sub_nc_u32_e32 v0, v0, v34
	v_cvt_f32_i32_e32 v0, v0
	s_delay_alu instid0(VALU_DEP_1) | instskip(SKIP_1) | instid1(VALU_DEP_1)
	v_cvt_f16_f32_e32 v60, v0
	v_bfe_u32 v0, v1, 8, 8
	v_sub_nc_u32_e32 v0, v0, v34
	s_delay_alu instid0(VALU_DEP_1) | instskip(NEXT) | instid1(VALU_DEP_1)
	v_cvt_f32_i32_e32 v0, v0
	v_cvt_f16_f32_e32 v61, v0
	v_bfe_u32 v0, v1, 16, 8
	s_delay_alu instid0(VALU_DEP_1) | instskip(NEXT) | instid1(VALU_DEP_1)
	v_sub_nc_u32_e32 v0, v0, v34
	v_cvt_f32_i32_e32 v0, v0
	s_delay_alu instid0(VALU_DEP_1) | instskip(SKIP_1) | instid1(VALU_DEP_1)
	v_cvt_f16_f32_e32 v62, v0
	v_lshrrev_b32_e32 v0, 24, v1
	v_sub_nc_u32_e32 v0, v0, v34
	s_delay_alu instid0(VALU_DEP_1) | instskip(NEXT) | instid1(VALU_DEP_1)
	v_cvt_f32_i32_e32 v0, v0
	v_cvt_f16_f32_e32 v63, v0
	;; [unrolled: 22-line block ×7, first 2 shown]
	ds_load_b128 v[48:51], v31
	ds_load_b128 v[8:11], v31 offset:16
	ds_load_b128 v[4:7], v31 offset:32
	;; [unrolled: 1-line block ×3, first 2 shown]
	s_waitcnt lgkmcnt(3)
	v_fma_mix_f32 v84, v52, v48, 0 op_sel_hi:[1,1,0]
	s_delay_alu instid0(VALU_DEP_1) | instskip(NEXT) | instid1(VALU_DEP_1)
	v_fma_mix_f32 v84, v53, v48, v84 op_sel:[0,1,0] op_sel_hi:[1,1,0]
	v_fma_mix_f32 v84, v54, v49, v84 op_sel_hi:[1,1,0]
	s_delay_alu instid0(VALU_DEP_1) | instskip(NEXT) | instid1(VALU_DEP_1)
	v_fma_mix_f32 v84, v55, v49, v84 op_sel:[0,1,0] op_sel_hi:[1,1,0]
	;; [unrolled: 3-line block ×4, first 2 shown]
	v_fma_mixlo_f16 v84, v84, v18, 0 op_sel_hi:[0,1,0]
	s_delay_alu instid0(VALU_DEP_1) | instskip(SKIP_1) | instid1(VALU_DEP_1)
	v_add_f16_e32 v88, v22, v84
	v_fma_mix_f32 v22, v60, v48, 0 op_sel_hi:[1,1,0]
	v_fma_mix_f32 v22, v61, v48, v22 op_sel:[0,1,0] op_sel_hi:[1,1,0]
	s_delay_alu instid0(VALU_DEP_1) | instskip(NEXT) | instid1(VALU_DEP_1)
	v_fma_mix_f32 v22, v62, v49, v22 op_sel_hi:[1,1,0]
	v_fma_mix_f32 v22, v63, v49, v22 op_sel:[0,1,0] op_sel_hi:[1,1,0]
	s_delay_alu instid0(VALU_DEP_1) | instskip(NEXT) | instid1(VALU_DEP_1)
	v_fma_mix_f32 v22, v64, v50, v22 op_sel_hi:[1,1,0]
	v_fma_mix_f32 v22, v65, v50, v22 op_sel:[0,1,0] op_sel_hi:[1,1,0]
	s_delay_alu instid0(VALU_DEP_1) | instskip(NEXT) | instid1(VALU_DEP_1)
	v_fma_mix_f32 v22, v66, v51, v22 op_sel_hi:[1,1,0]
	v_fma_mix_f32 v22, v67, v51, v22 op_sel:[0,1,0] op_sel_hi:[1,1,0]
	s_delay_alu instid0(VALU_DEP_1) | instskip(NEXT) | instid1(VALU_DEP_1)
	v_fma_mixlo_f16 v22, v22, v25, 0 op_sel_hi:[0,1,0]
	v_add_f16_e32 v89, v23, v22
	v_fma_mix_f32 v22, v68, v48, 0 op_sel_hi:[1,1,0]
	s_delay_alu instid0(VALU_DEP_1) | instskip(NEXT) | instid1(VALU_DEP_1)
	v_fma_mix_f32 v22, v69, v48, v22 op_sel:[0,1,0] op_sel_hi:[1,1,0]
	v_fma_mix_f32 v22, v70, v49, v22 op_sel_hi:[1,1,0]
	s_delay_alu instid0(VALU_DEP_1) | instskip(NEXT) | instid1(VALU_DEP_1)
	v_fma_mix_f32 v22, v71, v49, v22 op_sel:[0,1,0] op_sel_hi:[1,1,0]
	;; [unrolled: 3-line block ×4, first 2 shown]
	v_fma_mixlo_f16 v22, v22, v19, 0 op_sel_hi:[0,1,0]
	s_delay_alu instid0(VALU_DEP_1) | instskip(SKIP_1) | instid1(VALU_DEP_1)
	v_add_f16_e32 v90, v15, v22
	v_fma_mix_f32 v15, v76, v48, 0 op_sel_hi:[1,1,0]
	v_fma_mix_f32 v15, v77, v48, v15 op_sel:[0,1,0] op_sel_hi:[1,1,0]
	s_delay_alu instid0(VALU_DEP_1) | instskip(NEXT) | instid1(VALU_DEP_1)
	v_fma_mix_f32 v15, v78, v49, v15 op_sel_hi:[1,1,0]
	v_fma_mix_f32 v15, v79, v49, v15 op_sel:[0,1,0] op_sel_hi:[1,1,0]
	s_delay_alu instid0(VALU_DEP_1) | instskip(NEXT) | instid1(VALU_DEP_1)
	v_fma_mix_f32 v15, v80, v50, v15 op_sel_hi:[1,1,0]
	v_fma_mix_f32 v15, v81, v50, v15 op_sel:[0,1,0] op_sel_hi:[1,1,0]
	s_delay_alu instid0(VALU_DEP_1) | instskip(NEXT) | instid1(VALU_DEP_1)
	v_fma_mix_f32 v15, v82, v51, v15 op_sel_hi:[1,1,0]
	v_fma_mix_f32 v15, v83, v51, v15 op_sel:[0,1,0] op_sel_hi:[1,1,0]
	ds_load_b128 v[48:51], v31 offset:256
	v_fma_mixlo_f16 v15, v15, v28, 0 op_sel_hi:[0,1,0]
	s_delay_alu instid0(VALU_DEP_1) | instskip(SKIP_2) | instid1(VALU_DEP_1)
	v_add_f16_e32 v91, v14, v15
	s_waitcnt lgkmcnt(0)
	v_fma_mix_f32 v14, v52, v48, 0 op_sel_hi:[1,1,0]
	v_fma_mix_f32 v14, v53, v48, v14 op_sel:[0,1,0] op_sel_hi:[1,1,0]
	s_delay_alu instid0(VALU_DEP_1) | instskip(NEXT) | instid1(VALU_DEP_1)
	v_fma_mix_f32 v14, v54, v49, v14 op_sel_hi:[1,1,0]
	v_fma_mix_f32 v14, v55, v49, v14 op_sel:[0,1,0] op_sel_hi:[1,1,0]
	s_delay_alu instid0(VALU_DEP_1) | instskip(NEXT) | instid1(VALU_DEP_1)
	v_fma_mix_f32 v14, v56, v50, v14 op_sel_hi:[1,1,0]
	v_fma_mix_f32 v14, v57, v50, v14 op_sel:[0,1,0] op_sel_hi:[1,1,0]
	s_delay_alu instid0(VALU_DEP_1) | instskip(NEXT) | instid1(VALU_DEP_1)
	v_fma_mix_f32 v14, v58, v51, v14 op_sel_hi:[1,1,0]
	v_fma_mix_f32 v14, v59, v51, v14 op_sel:[0,1,0] op_sel_hi:[1,1,0]
	s_delay_alu instid0(VALU_DEP_1) | instskip(NEXT) | instid1(VALU_DEP_1)
	v_fma_mixlo_f16 v14, v14, v18, 0 op_sel_hi:[0,1,0]
	v_add_f16_e32 v84, v39, v14
	v_fma_mix_f32 v14, v60, v48, 0 op_sel_hi:[1,1,0]
	s_delay_alu instid0(VALU_DEP_1) | instskip(NEXT) | instid1(VALU_DEP_1)
	v_fma_mix_f32 v14, v61, v48, v14 op_sel:[0,1,0] op_sel_hi:[1,1,0]
	v_fma_mix_f32 v14, v62, v49, v14 op_sel_hi:[1,1,0]
	s_delay_alu instid0(VALU_DEP_1) | instskip(NEXT) | instid1(VALU_DEP_1)
	v_fma_mix_f32 v14, v63, v49, v14 op_sel:[0,1,0] op_sel_hi:[1,1,0]
	;; [unrolled: 3-line block ×4, first 2 shown]
	v_fma_mixlo_f16 v14, v14, v25, 0 op_sel_hi:[0,1,0]
	s_delay_alu instid0(VALU_DEP_1) | instskip(SKIP_1) | instid1(VALU_DEP_1)
	v_add_f16_e32 v85, v38, v14
	v_fma_mix_f32 v14, v68, v48, 0 op_sel_hi:[1,1,0]
	v_fma_mix_f32 v14, v69, v48, v14 op_sel:[0,1,0] op_sel_hi:[1,1,0]
	s_delay_alu instid0(VALU_DEP_1) | instskip(NEXT) | instid1(VALU_DEP_1)
	v_fma_mix_f32 v14, v70, v49, v14 op_sel_hi:[1,1,0]
	v_fma_mix_f32 v14, v71, v49, v14 op_sel:[0,1,0] op_sel_hi:[1,1,0]
	s_delay_alu instid0(VALU_DEP_1) | instskip(NEXT) | instid1(VALU_DEP_1)
	;; [unrolled: 3-line block ×4, first 2 shown]
	v_fma_mixlo_f16 v14, v14, v19, 0 op_sel_hi:[0,1,0]
	v_add_f16_e32 v86, v37, v14
	v_fma_mix_f32 v14, v76, v48, 0 op_sel_hi:[1,1,0]
	s_delay_alu instid0(VALU_DEP_1) | instskip(NEXT) | instid1(VALU_DEP_1)
	v_fma_mix_f32 v14, v77, v48, v14 op_sel:[0,1,0] op_sel_hi:[1,1,0]
	v_fma_mix_f32 v14, v78, v49, v14 op_sel_hi:[1,1,0]
	s_delay_alu instid0(VALU_DEP_1) | instskip(NEXT) | instid1(VALU_DEP_1)
	v_fma_mix_f32 v14, v79, v49, v14 op_sel:[0,1,0] op_sel_hi:[1,1,0]
	v_fma_mix_f32 v14, v80, v50, v14 op_sel_hi:[1,1,0]
	s_delay_alu instid0(VALU_DEP_1) | instskip(NEXT) | instid1(VALU_DEP_1)
	v_fma_mix_f32 v14, v81, v50, v14 op_sel:[0,1,0] op_sel_hi:[1,1,0]
	v_fma_mix_f32 v14, v82, v51, v14 op_sel_hi:[1,1,0]
	s_delay_alu instid0(VALU_DEP_1) | instskip(NEXT) | instid1(VALU_DEP_1)
	v_fma_mix_f32 v14, v83, v51, v14 op_sel:[0,1,0] op_sel_hi:[1,1,0]
	v_fma_mixlo_f16 v14, v14, v28, 0 op_sel_hi:[0,1,0]
	s_delay_alu instid0(VALU_DEP_1) | instskip(SKIP_3) | instid1(VALU_DEP_1)
	v_add_f16_e32 v87, v36, v14
	ds_load_b128 v[36:39], v31 offset:512
	s_waitcnt lgkmcnt(0)
	v_fma_mix_f32 v14, v52, v36, 0 op_sel_hi:[1,1,0]
	v_fma_mix_f32 v14, v53, v36, v14 op_sel:[0,1,0] op_sel_hi:[1,1,0]
	s_delay_alu instid0(VALU_DEP_1) | instskip(NEXT) | instid1(VALU_DEP_1)
	v_fma_mix_f32 v14, v54, v37, v14 op_sel_hi:[1,1,0]
	v_fma_mix_f32 v14, v55, v37, v14 op_sel:[0,1,0] op_sel_hi:[1,1,0]
	s_delay_alu instid0(VALU_DEP_1) | instskip(NEXT) | instid1(VALU_DEP_1)
	;; [unrolled: 3-line block ×4, first 2 shown]
	v_fma_mixlo_f16 v14, v14, v18, 0 op_sel_hi:[0,1,0]
	v_add_f16_e32 v48, v43, v14
	v_fma_mix_f32 v14, v60, v36, 0 op_sel_hi:[1,1,0]
	s_delay_alu instid0(VALU_DEP_1) | instskip(NEXT) | instid1(VALU_DEP_1)
	v_fma_mix_f32 v14, v61, v36, v14 op_sel:[0,1,0] op_sel_hi:[1,1,0]
	v_fma_mix_f32 v14, v62, v37, v14 op_sel_hi:[1,1,0]
	s_delay_alu instid0(VALU_DEP_1) | instskip(NEXT) | instid1(VALU_DEP_1)
	v_fma_mix_f32 v14, v63, v37, v14 op_sel:[0,1,0] op_sel_hi:[1,1,0]
	;; [unrolled: 3-line block ×4, first 2 shown]
	v_fma_mixlo_f16 v14, v14, v25, 0 op_sel_hi:[0,1,0]
	s_delay_alu instid0(VALU_DEP_1) | instskip(SKIP_1) | instid1(VALU_DEP_1)
	v_add_f16_e32 v49, v42, v14
	v_fma_mix_f32 v14, v68, v36, 0 op_sel_hi:[1,1,0]
	v_fma_mix_f32 v14, v69, v36, v14 op_sel:[0,1,0] op_sel_hi:[1,1,0]
	s_delay_alu instid0(VALU_DEP_1) | instskip(NEXT) | instid1(VALU_DEP_1)
	v_fma_mix_f32 v14, v70, v37, v14 op_sel_hi:[1,1,0]
	v_fma_mix_f32 v14, v71, v37, v14 op_sel:[0,1,0] op_sel_hi:[1,1,0]
	s_delay_alu instid0(VALU_DEP_1) | instskip(NEXT) | instid1(VALU_DEP_1)
	;; [unrolled: 3-line block ×4, first 2 shown]
	v_fma_mixlo_f16 v14, v14, v19, 0 op_sel_hi:[0,1,0]
	v_add_f16_e32 v50, v41, v14
	v_fma_mix_f32 v14, v76, v36, 0 op_sel_hi:[1,1,0]
	s_delay_alu instid0(VALU_DEP_1) | instskip(NEXT) | instid1(VALU_DEP_1)
	v_fma_mix_f32 v14, v77, v36, v14 op_sel:[0,1,0] op_sel_hi:[1,1,0]
	v_fma_mix_f32 v14, v78, v37, v14 op_sel_hi:[1,1,0]
	s_delay_alu instid0(VALU_DEP_1) | instskip(NEXT) | instid1(VALU_DEP_1)
	v_fma_mix_f32 v14, v79, v37, v14 op_sel:[0,1,0] op_sel_hi:[1,1,0]
	;; [unrolled: 3-line block ×3, first 2 shown]
	v_fma_mix_f32 v14, v82, v39, v14 op_sel_hi:[1,1,0]
	s_delay_alu instid0(VALU_DEP_1) | instskip(SKIP_2) | instid1(VALU_DEP_1)
	v_fma_mix_f32 v14, v83, v39, v14 op_sel:[0,1,0] op_sel_hi:[1,1,0]
	ds_load_b128 v[36:39], v31 offset:768
	v_fma_mixlo_f16 v14, v14, v28, 0 op_sel_hi:[0,1,0]
	v_add_f16_e32 v51, v40, v14
	s_waitcnt lgkmcnt(0)
	v_fma_mix_f32 v14, v52, v36, 0 op_sel_hi:[1,1,0]
	v_fma_mix_f32 v15, v60, v36, 0 op_sel_hi:[1,1,0]
	;; [unrolled: 1-line block ×4, first 2 shown]
	s_delay_alu instid0(VALU_DEP_4) | instskip(NEXT) | instid1(VALU_DEP_4)
	v_fma_mix_f32 v14, v53, v36, v14 op_sel:[0,1,0] op_sel_hi:[1,1,0]
	v_fma_mix_f32 v15, v61, v36, v15 op_sel:[0,1,0] op_sel_hi:[1,1,0]
	s_delay_alu instid0(VALU_DEP_4) | instskip(NEXT) | instid1(VALU_DEP_4)
	v_fma_mix_f32 v22, v69, v36, v22 op_sel:[0,1,0] op_sel_hi:[1,1,0]
	v_fma_mix_f32 v23, v77, v36, v23 op_sel:[0,1,0] op_sel_hi:[1,1,0]
	s_delay_alu instid0(VALU_DEP_4) | instskip(NEXT) | instid1(VALU_DEP_4)
	v_fma_mix_f32 v14, v54, v37, v14 op_sel_hi:[1,1,0]
	v_fma_mix_f32 v15, v62, v37, v15 op_sel_hi:[1,1,0]
	s_delay_alu instid0(VALU_DEP_4) | instskip(NEXT) | instid1(VALU_DEP_4)
	v_fma_mix_f32 v22, v70, v37, v22 op_sel_hi:[1,1,0]
	v_fma_mix_f32 v23, v78, v37, v23 op_sel_hi:[1,1,0]
	s_delay_alu instid0(VALU_DEP_4) | instskip(NEXT) | instid1(VALU_DEP_4)
	v_fma_mix_f32 v14, v55, v37, v14 op_sel:[0,1,0] op_sel_hi:[1,1,0]
	v_fma_mix_f32 v15, v63, v37, v15 op_sel:[0,1,0] op_sel_hi:[1,1,0]
	s_delay_alu instid0(VALU_DEP_4) | instskip(NEXT) | instid1(VALU_DEP_4)
	v_fma_mix_f32 v22, v71, v37, v22 op_sel:[0,1,0] op_sel_hi:[1,1,0]
	v_fma_mix_f32 v23, v79, v37, v23 op_sel:[0,1,0] op_sel_hi:[1,1,0]
	s_delay_alu instid0(VALU_DEP_4) | instskip(NEXT) | instid1(VALU_DEP_4)
	v_fma_mix_f32 v14, v56, v38, v14 op_sel_hi:[1,1,0]
	v_fma_mix_f32 v15, v64, v38, v15 op_sel_hi:[1,1,0]
	s_delay_alu instid0(VALU_DEP_4) | instskip(NEXT) | instid1(VALU_DEP_4)
	v_fma_mix_f32 v22, v72, v38, v22 op_sel_hi:[1,1,0]
	v_fma_mix_f32 v23, v80, v38, v23 op_sel_hi:[1,1,0]
	;; [unrolled: 12-line block ×3, first 2 shown]
	s_delay_alu instid0(VALU_DEP_4) | instskip(NEXT) | instid1(VALU_DEP_4)
	v_fma_mix_f32 v14, v59, v39, v14 op_sel:[0,1,0] op_sel_hi:[1,1,0]
	v_fma_mix_f32 v15, v67, v39, v15 op_sel:[0,1,0] op_sel_hi:[1,1,0]
	s_delay_alu instid0(VALU_DEP_4) | instskip(NEXT) | instid1(VALU_DEP_4)
	v_fma_mix_f32 v22, v75, v39, v22 op_sel:[0,1,0] op_sel_hi:[1,1,0]
	v_fma_mix_f32 v23, v83, v39, v23 op_sel:[0,1,0] op_sel_hi:[1,1,0]
	global_load_b128 v[36:39], v[12:13], off
	v_add_co_u32 v12, vcc_lo, v12, s2
	v_add_co_ci_u32_e32 v13, vcc_lo, s3, v13, vcc_lo
	v_fma_mixlo_f16 v22, v22, v19, 0 op_sel_hi:[0,1,0]
	v_fma_mixlo_f16 v14, v14, v18, 0 op_sel_hi:[0,1,0]
	v_fma_mixlo_f16 v15, v15, v25, 0 op_sel_hi:[0,1,0]
	global_load_b128 v[40:43], v[12:13], off
	v_fma_mixlo_f16 v23, v23, v28, 0 op_sel_hi:[0,1,0]
	v_add_f16_e32 v22, v44, v22
	v_add_f16_e32 v14, v45, v14
	;; [unrolled: 1-line block ×3, first 2 shown]
	v_add_co_u32 v12, vcc_lo, v12, s2
	v_add_f16_e32 v23, v47, v23
	v_add_co_ci_u32_e32 v13, vcc_lo, s3, v13, vcc_lo
	s_waitcnt vmcnt(1)
	v_and_b32_e32 v44, 0xff, v36
	s_delay_alu instid0(VALU_DEP_1) | instskip(NEXT) | instid1(VALU_DEP_1)
	v_sub_nc_u32_e32 v44, v44, v35
	v_cvt_f32_i32_e32 v44, v44
	s_delay_alu instid0(VALU_DEP_1) | instskip(SKIP_1) | instid1(VALU_DEP_1)
	v_cvt_f16_f32_e32 v52, v44
	v_bfe_u32 v44, v36, 8, 8
	v_sub_nc_u32_e32 v44, v44, v35
	s_delay_alu instid0(VALU_DEP_1) | instskip(NEXT) | instid1(VALU_DEP_1)
	v_cvt_f32_i32_e32 v44, v44
	v_cvt_f16_f32_e32 v53, v44
	v_bfe_u32 v44, v36, 16, 8
	v_lshrrev_b32_e32 v36, 24, v36
	s_delay_alu instid0(VALU_DEP_2) | instskip(NEXT) | instid1(VALU_DEP_2)
	v_sub_nc_u32_e32 v44, v44, v35
	v_sub_nc_u32_e32 v36, v36, v35
	s_delay_alu instid0(VALU_DEP_2) | instskip(NEXT) | instid1(VALU_DEP_2)
	v_cvt_f32_i32_e32 v44, v44
	v_cvt_f32_i32_e32 v36, v36
	s_delay_alu instid0(VALU_DEP_2) | instskip(NEXT) | instid1(VALU_DEP_2)
	v_cvt_f16_f32_e32 v54, v44
	v_cvt_f16_f32_e32 v55, v36
	s_waitcnt vmcnt(0)
	v_and_b32_e32 v36, 0xff, v40
	s_delay_alu instid0(VALU_DEP_1) | instskip(NEXT) | instid1(VALU_DEP_1)
	v_sub_nc_u32_e32 v36, v36, v35
	v_cvt_f32_i32_e32 v36, v36
	s_delay_alu instid0(VALU_DEP_1) | instskip(SKIP_1) | instid1(VALU_DEP_1)
	v_cvt_f16_f32_e32 v56, v36
	v_bfe_u32 v36, v40, 8, 8
	v_sub_nc_u32_e32 v36, v36, v35
	s_delay_alu instid0(VALU_DEP_1) | instskip(NEXT) | instid1(VALU_DEP_1)
	v_cvt_f32_i32_e32 v36, v36
	v_cvt_f16_f32_e32 v57, v36
	v_bfe_u32 v36, v40, 16, 8
	s_delay_alu instid0(VALU_DEP_1) | instskip(NEXT) | instid1(VALU_DEP_1)
	v_sub_nc_u32_e32 v36, v36, v35
	v_cvt_f32_i32_e32 v36, v36
	s_delay_alu instid0(VALU_DEP_1) | instskip(SKIP_1) | instid1(VALU_DEP_1)
	v_cvt_f16_f32_e32 v58, v36
	v_lshrrev_b32_e32 v36, 24, v40
	v_sub_nc_u32_e32 v36, v36, v35
	s_delay_alu instid0(VALU_DEP_1) | instskip(NEXT) | instid1(VALU_DEP_1)
	v_cvt_f32_i32_e32 v36, v36
	v_cvt_f16_f32_e32 v59, v36
	v_and_b32_e32 v36, 0xff, v37
	s_delay_alu instid0(VALU_DEP_1) | instskip(NEXT) | instid1(VALU_DEP_1)
	v_sub_nc_u32_e32 v36, v36, v34
	v_cvt_f32_i32_e32 v36, v36
	s_delay_alu instid0(VALU_DEP_1) | instskip(SKIP_1) | instid1(VALU_DEP_1)
	v_cvt_f16_f32_e32 v60, v36
	v_bfe_u32 v36, v37, 8, 8
	v_sub_nc_u32_e32 v36, v36, v34
	s_delay_alu instid0(VALU_DEP_1) | instskip(NEXT) | instid1(VALU_DEP_1)
	v_cvt_f32_i32_e32 v36, v36
	v_cvt_f16_f32_e32 v61, v36
	v_bfe_u32 v36, v37, 16, 8
	s_delay_alu instid0(VALU_DEP_1) | instskip(NEXT) | instid1(VALU_DEP_1)
	v_sub_nc_u32_e32 v36, v36, v34
	v_cvt_f32_i32_e32 v36, v36
	s_delay_alu instid0(VALU_DEP_1) | instskip(SKIP_2) | instid1(VALU_DEP_2)
	v_cvt_f16_f32_e32 v62, v36
	v_lshrrev_b32_e32 v36, 24, v37
	v_fma_mix_f32 v37, v60, v8, 0 op_sel_hi:[1,1,0]
	v_sub_nc_u32_e32 v36, v36, v34
	s_delay_alu instid0(VALU_DEP_2) | instskip(NEXT) | instid1(VALU_DEP_2)
	v_fma_mix_f32 v37, v61, v8, v37 op_sel:[0,1,0] op_sel_hi:[1,1,0]
	v_cvt_f32_i32_e32 v36, v36
	s_delay_alu instid0(VALU_DEP_2) | instskip(NEXT) | instid1(VALU_DEP_2)
	v_fma_mix_f32 v37, v62, v9, v37 op_sel_hi:[1,1,0]
	v_cvt_f16_f32_e32 v63, v36
	v_and_b32_e32 v36, 0xff, v41
	s_delay_alu instid0(VALU_DEP_2) | instskip(NEXT) | instid1(VALU_DEP_2)
	v_fma_mix_f32 v37, v63, v9, v37 op_sel:[0,1,0] op_sel_hi:[1,1,0]
	v_sub_nc_u32_e32 v36, v36, v34
	s_delay_alu instid0(VALU_DEP_1) | instskip(NEXT) | instid1(VALU_DEP_1)
	v_cvt_f32_i32_e32 v36, v36
	v_cvt_f16_f32_e32 v64, v36
	v_bfe_u32 v36, v41, 8, 8
	s_delay_alu instid0(VALU_DEP_2) | instskip(NEXT) | instid1(VALU_DEP_2)
	v_fma_mix_f32 v37, v64, v10, v37 op_sel_hi:[1,1,0]
	v_sub_nc_u32_e32 v36, v36, v34
	s_delay_alu instid0(VALU_DEP_1) | instskip(NEXT) | instid1(VALU_DEP_1)
	v_cvt_f32_i32_e32 v36, v36
	v_cvt_f16_f32_e32 v65, v36
	v_bfe_u32 v36, v41, 16, 8
	s_delay_alu instid0(VALU_DEP_2) | instskip(NEXT) | instid1(VALU_DEP_2)
	v_fma_mix_f32 v37, v65, v10, v37 op_sel:[0,1,0] op_sel_hi:[1,1,0]
	v_sub_nc_u32_e32 v36, v36, v34
	s_delay_alu instid0(VALU_DEP_1) | instskip(NEXT) | instid1(VALU_DEP_1)
	v_cvt_f32_i32_e32 v36, v36
	v_cvt_f16_f32_e32 v66, v36
	v_lshrrev_b32_e32 v36, 24, v41
	s_delay_alu instid0(VALU_DEP_2) | instskip(NEXT) | instid1(VALU_DEP_2)
	v_fma_mix_f32 v37, v66, v11, v37 op_sel_hi:[1,1,0]
	v_sub_nc_u32_e32 v36, v36, v34
	s_delay_alu instid0(VALU_DEP_1) | instskip(NEXT) | instid1(VALU_DEP_1)
	v_cvt_f32_i32_e32 v36, v36
	v_cvt_f16_f32_e32 v67, v36
	v_and_b32_e32 v36, 0xff, v38
	s_delay_alu instid0(VALU_DEP_2) | instskip(NEXT) | instid1(VALU_DEP_2)
	v_fma_mix_f32 v37, v67, v11, v37 op_sel:[0,1,0] op_sel_hi:[1,1,0]
	v_sub_nc_u32_e32 v36, v36, v33
	s_delay_alu instid0(VALU_DEP_2) | instskip(NEXT) | instid1(VALU_DEP_2)
	v_fma_mixlo_f16 v37, v37, v25, 0 op_sel_hi:[0,1,0]
	v_cvt_f32_i32_e32 v36, v36
	s_delay_alu instid0(VALU_DEP_2) | instskip(NEXT) | instid1(VALU_DEP_2)
	v_add_f16_e32 v37, v89, v37
	v_cvt_f16_f32_e32 v68, v36
	v_bfe_u32 v36, v38, 8, 8
	s_delay_alu instid0(VALU_DEP_1) | instskip(NEXT) | instid1(VALU_DEP_1)
	v_sub_nc_u32_e32 v36, v36, v33
	v_cvt_f32_i32_e32 v36, v36
	s_delay_alu instid0(VALU_DEP_1) | instskip(SKIP_1) | instid1(VALU_DEP_1)
	v_cvt_f16_f32_e32 v69, v36
	v_bfe_u32 v36, v38, 16, 8
	v_sub_nc_u32_e32 v36, v36, v33
	s_delay_alu instid0(VALU_DEP_1) | instskip(NEXT) | instid1(VALU_DEP_1)
	v_cvt_f32_i32_e32 v36, v36
	v_cvt_f16_f32_e32 v70, v36
	v_lshrrev_b32_e32 v36, 24, v38
	v_fma_mix_f32 v38, v68, v8, 0 op_sel_hi:[1,1,0]
	s_delay_alu instid0(VALU_DEP_2) | instskip(NEXT) | instid1(VALU_DEP_2)
	v_sub_nc_u32_e32 v36, v36, v33
	v_fma_mix_f32 v38, v69, v8, v38 op_sel:[0,1,0] op_sel_hi:[1,1,0]
	s_delay_alu instid0(VALU_DEP_2) | instskip(NEXT) | instid1(VALU_DEP_2)
	v_cvt_f32_i32_e32 v36, v36
	v_fma_mix_f32 v38, v70, v9, v38 op_sel_hi:[1,1,0]
	s_delay_alu instid0(VALU_DEP_2) | instskip(SKIP_1) | instid1(VALU_DEP_2)
	v_cvt_f16_f32_e32 v71, v36
	v_and_b32_e32 v36, 0xff, v42
	v_fma_mix_f32 v38, v71, v9, v38 op_sel:[0,1,0] op_sel_hi:[1,1,0]
	s_delay_alu instid0(VALU_DEP_2) | instskip(NEXT) | instid1(VALU_DEP_1)
	v_sub_nc_u32_e32 v36, v36, v33
	v_cvt_f32_i32_e32 v36, v36
	s_delay_alu instid0(VALU_DEP_1) | instskip(SKIP_1) | instid1(VALU_DEP_2)
	v_cvt_f16_f32_e32 v72, v36
	v_bfe_u32 v36, v42, 8, 8
	v_fma_mix_f32 v38, v72, v10, v38 op_sel_hi:[1,1,0]
	s_delay_alu instid0(VALU_DEP_2) | instskip(NEXT) | instid1(VALU_DEP_1)
	v_sub_nc_u32_e32 v36, v36, v33
	v_cvt_f32_i32_e32 v36, v36
	s_delay_alu instid0(VALU_DEP_1) | instskip(SKIP_1) | instid1(VALU_DEP_2)
	v_cvt_f16_f32_e32 v73, v36
	v_bfe_u32 v36, v42, 16, 8
	v_fma_mix_f32 v38, v73, v10, v38 op_sel:[0,1,0] op_sel_hi:[1,1,0]
	s_delay_alu instid0(VALU_DEP_2) | instskip(NEXT) | instid1(VALU_DEP_1)
	v_sub_nc_u32_e32 v36, v36, v33
	v_cvt_f32_i32_e32 v36, v36
	s_delay_alu instid0(VALU_DEP_1) | instskip(SKIP_1) | instid1(VALU_DEP_2)
	v_cvt_f16_f32_e32 v74, v36
	v_lshrrev_b32_e32 v36, 24, v42
	v_fma_mix_f32 v38, v74, v11, v38 op_sel_hi:[1,1,0]
	s_delay_alu instid0(VALU_DEP_2) | instskip(NEXT) | instid1(VALU_DEP_1)
	v_sub_nc_u32_e32 v36, v36, v33
	v_cvt_f32_i32_e32 v36, v36
	s_delay_alu instid0(VALU_DEP_1) | instskip(SKIP_1) | instid1(VALU_DEP_2)
	v_cvt_f16_f32_e32 v75, v36
	v_and_b32_e32 v36, 0xff, v39
	v_fma_mix_f32 v38, v75, v11, v38 op_sel:[0,1,0] op_sel_hi:[1,1,0]
	s_delay_alu instid0(VALU_DEP_2) | instskip(NEXT) | instid1(VALU_DEP_2)
	v_sub_nc_u32_e32 v36, v36, v32
	v_fma_mixlo_f16 v38, v38, v19, 0 op_sel_hi:[0,1,0]
	s_delay_alu instid0(VALU_DEP_2) | instskip(NEXT) | instid1(VALU_DEP_2)
	v_cvt_f32_i32_e32 v36, v36
	v_add_f16_e32 v38, v90, v38
	s_delay_alu instid0(VALU_DEP_2) | instskip(SKIP_1) | instid1(VALU_DEP_1)
	v_cvt_f16_f32_e32 v76, v36
	v_bfe_u32 v36, v39, 8, 8
	v_sub_nc_u32_e32 v36, v36, v32
	s_delay_alu instid0(VALU_DEP_1) | instskip(NEXT) | instid1(VALU_DEP_1)
	v_cvt_f32_i32_e32 v36, v36
	v_cvt_f16_f32_e32 v77, v36
	v_bfe_u32 v36, v39, 16, 8
	s_delay_alu instid0(VALU_DEP_1) | instskip(NEXT) | instid1(VALU_DEP_1)
	v_sub_nc_u32_e32 v36, v36, v32
	v_cvt_f32_i32_e32 v36, v36
	s_delay_alu instid0(VALU_DEP_1) | instskip(SKIP_2) | instid1(VALU_DEP_2)
	v_cvt_f16_f32_e32 v78, v36
	v_lshrrev_b32_e32 v36, 24, v39
	v_fma_mix_f32 v39, v76, v8, 0 op_sel_hi:[1,1,0]
	v_sub_nc_u32_e32 v36, v36, v32
	s_delay_alu instid0(VALU_DEP_1) | instskip(NEXT) | instid1(VALU_DEP_1)
	v_cvt_f32_i32_e32 v36, v36
	v_cvt_f16_f32_e32 v79, v36
	v_and_b32_e32 v36, 0xff, v43
	s_delay_alu instid0(VALU_DEP_1) | instskip(NEXT) | instid1(VALU_DEP_1)
	v_sub_nc_u32_e32 v36, v36, v32
	v_cvt_f32_i32_e32 v36, v36
	s_delay_alu instid0(VALU_DEP_1) | instskip(SKIP_1) | instid1(VALU_DEP_1)
	v_cvt_f16_f32_e32 v80, v36
	v_bfe_u32 v36, v43, 8, 8
	v_sub_nc_u32_e32 v36, v36, v32
	s_delay_alu instid0(VALU_DEP_1) | instskip(NEXT) | instid1(VALU_DEP_1)
	v_cvt_f32_i32_e32 v36, v36
	v_cvt_f16_f32_e32 v81, v36
	v_bfe_u32 v36, v43, 16, 8
	s_delay_alu instid0(VALU_DEP_1) | instskip(NEXT) | instid1(VALU_DEP_1)
	v_sub_nc_u32_e32 v36, v36, v32
	v_cvt_f32_i32_e32 v36, v36
	s_delay_alu instid0(VALU_DEP_1) | instskip(SKIP_1) | instid1(VALU_DEP_1)
	v_cvt_f16_f32_e32 v82, v36
	v_lshrrev_b32_e32 v36, 24, v43
	v_sub_nc_u32_e32 v36, v36, v32
	s_delay_alu instid0(VALU_DEP_1) | instskip(NEXT) | instid1(VALU_DEP_1)
	v_cvt_f32_i32_e32 v36, v36
	v_cvt_f16_f32_e32 v83, v36
	v_fma_mix_f32 v36, v52, v8, 0 op_sel_hi:[1,1,0]
	s_delay_alu instid0(VALU_DEP_1) | instskip(SKIP_1) | instid1(VALU_DEP_2)
	v_fma_mix_f32 v36, v53, v8, v36 op_sel:[0,1,0] op_sel_hi:[1,1,0]
	v_fma_mix_f32 v8, v77, v8, v39 op_sel:[0,1,0] op_sel_hi:[1,1,0]
	v_fma_mix_f32 v36, v54, v9, v36 op_sel_hi:[1,1,0]
	s_delay_alu instid0(VALU_DEP_2) | instskip(NEXT) | instid1(VALU_DEP_2)
	v_fma_mix_f32 v8, v78, v9, v8 op_sel_hi:[1,1,0]
	v_fma_mix_f32 v36, v55, v9, v36 op_sel:[0,1,0] op_sel_hi:[1,1,0]
	s_delay_alu instid0(VALU_DEP_2) | instskip(NEXT) | instid1(VALU_DEP_2)
	v_fma_mix_f32 v8, v79, v9, v8 op_sel:[0,1,0] op_sel_hi:[1,1,0]
	v_fma_mix_f32 v36, v56, v10, v36 op_sel_hi:[1,1,0]
	s_delay_alu instid0(VALU_DEP_2) | instskip(NEXT) | instid1(VALU_DEP_2)
	v_fma_mix_f32 v8, v80, v10, v8 op_sel_hi:[1,1,0]
	v_fma_mix_f32 v36, v57, v10, v36 op_sel:[0,1,0] op_sel_hi:[1,1,0]
	s_delay_alu instid0(VALU_DEP_2) | instskip(NEXT) | instid1(VALU_DEP_2)
	;; [unrolled: 6-line block ×3, first 2 shown]
	v_fma_mix_f32 v8, v83, v11, v8 op_sel:[0,1,0] op_sel_hi:[1,1,0]
	v_fma_mixlo_f16 v36, v36, v18, 0 op_sel_hi:[0,1,0]
	s_delay_alu instid0(VALU_DEP_2) | instskip(NEXT) | instid1(VALU_DEP_2)
	v_fma_mixlo_f16 v8, v8, v28, 0 op_sel_hi:[0,1,0]
	v_add_f16_e32 v36, v88, v36
	s_delay_alu instid0(VALU_DEP_2)
	v_add_f16_e32 v39, v91, v8
	ds_load_b128 v[8:11], v31 offset:272
	s_waitcnt lgkmcnt(0)
	v_fma_mix_f32 v40, v52, v8, 0 op_sel_hi:[1,1,0]
	v_fma_mix_f32 v41, v60, v8, 0 op_sel_hi:[1,1,0]
	v_fma_mix_f32 v42, v68, v8, 0 op_sel_hi:[1,1,0]
	v_fma_mix_f32 v43, v76, v8, 0 op_sel_hi:[1,1,0]
	s_delay_alu instid0(VALU_DEP_4) | instskip(NEXT) | instid1(VALU_DEP_4)
	v_fma_mix_f32 v40, v53, v8, v40 op_sel:[0,1,0] op_sel_hi:[1,1,0]
	v_fma_mix_f32 v41, v61, v8, v41 op_sel:[0,1,0] op_sel_hi:[1,1,0]
	s_delay_alu instid0(VALU_DEP_4) | instskip(NEXT) | instid1(VALU_DEP_4)
	v_fma_mix_f32 v42, v69, v8, v42 op_sel:[0,1,0] op_sel_hi:[1,1,0]
	v_fma_mix_f32 v8, v77, v8, v43 op_sel:[0,1,0] op_sel_hi:[1,1,0]
	s_delay_alu instid0(VALU_DEP_4) | instskip(NEXT) | instid1(VALU_DEP_4)
	v_fma_mix_f32 v40, v54, v9, v40 op_sel_hi:[1,1,0]
	v_fma_mix_f32 v41, v62, v9, v41 op_sel_hi:[1,1,0]
	s_delay_alu instid0(VALU_DEP_4) | instskip(NEXT) | instid1(VALU_DEP_4)
	v_fma_mix_f32 v42, v70, v9, v42 op_sel_hi:[1,1,0]
	v_fma_mix_f32 v8, v78, v9, v8 op_sel_hi:[1,1,0]
	s_delay_alu instid0(VALU_DEP_4) | instskip(NEXT) | instid1(VALU_DEP_4)
	v_fma_mix_f32 v40, v55, v9, v40 op_sel:[0,1,0] op_sel_hi:[1,1,0]
	v_fma_mix_f32 v41, v63, v9, v41 op_sel:[0,1,0] op_sel_hi:[1,1,0]
	s_delay_alu instid0(VALU_DEP_4) | instskip(NEXT) | instid1(VALU_DEP_4)
	v_fma_mix_f32 v42, v71, v9, v42 op_sel:[0,1,0] op_sel_hi:[1,1,0]
	v_fma_mix_f32 v8, v79, v9, v8 op_sel:[0,1,0] op_sel_hi:[1,1,0]
	s_delay_alu instid0(VALU_DEP_4) | instskip(NEXT) | instid1(VALU_DEP_4)
	v_fma_mix_f32 v40, v56, v10, v40 op_sel_hi:[1,1,0]
	v_fma_mix_f32 v41, v64, v10, v41 op_sel_hi:[1,1,0]
	s_delay_alu instid0(VALU_DEP_4) | instskip(NEXT) | instid1(VALU_DEP_4)
	v_fma_mix_f32 v42, v72, v10, v42 op_sel_hi:[1,1,0]
	v_fma_mix_f32 v8, v80, v10, v8 op_sel_hi:[1,1,0]
	;; [unrolled: 12-line block ×3, first 2 shown]
	s_delay_alu instid0(VALU_DEP_4) | instskip(NEXT) | instid1(VALU_DEP_4)
	v_fma_mix_f32 v40, v59, v11, v40 op_sel:[0,1,0] op_sel_hi:[1,1,0]
	v_fma_mix_f32 v41, v67, v11, v41 op_sel:[0,1,0] op_sel_hi:[1,1,0]
	s_delay_alu instid0(VALU_DEP_4) | instskip(NEXT) | instid1(VALU_DEP_4)
	v_fma_mix_f32 v42, v75, v11, v42 op_sel:[0,1,0] op_sel_hi:[1,1,0]
	v_fma_mix_f32 v8, v83, v11, v8 op_sel:[0,1,0] op_sel_hi:[1,1,0]
	s_delay_alu instid0(VALU_DEP_4) | instskip(NEXT) | instid1(VALU_DEP_4)
	v_fma_mixlo_f16 v40, v40, v18, 0 op_sel_hi:[0,1,0]
	v_fma_mixlo_f16 v41, v41, v25, 0 op_sel_hi:[0,1,0]
	s_delay_alu instid0(VALU_DEP_4) | instskip(NEXT) | instid1(VALU_DEP_4)
	v_fma_mixlo_f16 v42, v42, v19, 0 op_sel_hi:[0,1,0]
	v_fma_mixlo_f16 v8, v8, v28, 0 op_sel_hi:[0,1,0]
	s_delay_alu instid0(VALU_DEP_4) | instskip(NEXT) | instid1(VALU_DEP_4)
	v_add_f16_e32 v40, v84, v40
	v_add_f16_e32 v41, v85, v41
	s_delay_alu instid0(VALU_DEP_4) | instskip(NEXT) | instid1(VALU_DEP_4)
	v_add_f16_e32 v42, v86, v42
	v_add_f16_e32 v43, v87, v8
	ds_load_b128 v[8:11], v31 offset:528
	s_waitcnt lgkmcnt(0)
	v_fma_mix_f32 v44, v52, v8, 0 op_sel_hi:[1,1,0]
	v_fma_mix_f32 v45, v60, v8, 0 op_sel_hi:[1,1,0]
	;; [unrolled: 1-line block ×4, first 2 shown]
	s_delay_alu instid0(VALU_DEP_4) | instskip(NEXT) | instid1(VALU_DEP_4)
	v_fma_mix_f32 v44, v53, v8, v44 op_sel:[0,1,0] op_sel_hi:[1,1,0]
	v_fma_mix_f32 v45, v61, v8, v45 op_sel:[0,1,0] op_sel_hi:[1,1,0]
	s_delay_alu instid0(VALU_DEP_4) | instskip(NEXT) | instid1(VALU_DEP_4)
	v_fma_mix_f32 v46, v69, v8, v46 op_sel:[0,1,0] op_sel_hi:[1,1,0]
	v_fma_mix_f32 v8, v77, v8, v47 op_sel:[0,1,0] op_sel_hi:[1,1,0]
	s_delay_alu instid0(VALU_DEP_4) | instskip(NEXT) | instid1(VALU_DEP_4)
	v_fma_mix_f32 v44, v54, v9, v44 op_sel_hi:[1,1,0]
	v_fma_mix_f32 v45, v62, v9, v45 op_sel_hi:[1,1,0]
	s_delay_alu instid0(VALU_DEP_4) | instskip(NEXT) | instid1(VALU_DEP_4)
	v_fma_mix_f32 v46, v70, v9, v46 op_sel_hi:[1,1,0]
	v_fma_mix_f32 v8, v78, v9, v8 op_sel_hi:[1,1,0]
	s_delay_alu instid0(VALU_DEP_4) | instskip(NEXT) | instid1(VALU_DEP_4)
	v_fma_mix_f32 v44, v55, v9, v44 op_sel:[0,1,0] op_sel_hi:[1,1,0]
	v_fma_mix_f32 v45, v63, v9, v45 op_sel:[0,1,0] op_sel_hi:[1,1,0]
	s_delay_alu instid0(VALU_DEP_4) | instskip(NEXT) | instid1(VALU_DEP_4)
	v_fma_mix_f32 v46, v71, v9, v46 op_sel:[0,1,0] op_sel_hi:[1,1,0]
	v_fma_mix_f32 v8, v79, v9, v8 op_sel:[0,1,0] op_sel_hi:[1,1,0]
	s_delay_alu instid0(VALU_DEP_4) | instskip(NEXT) | instid1(VALU_DEP_4)
	v_fma_mix_f32 v44, v56, v10, v44 op_sel_hi:[1,1,0]
	v_fma_mix_f32 v45, v64, v10, v45 op_sel_hi:[1,1,0]
	s_delay_alu instid0(VALU_DEP_4) | instskip(NEXT) | instid1(VALU_DEP_4)
	v_fma_mix_f32 v46, v72, v10, v46 op_sel_hi:[1,1,0]
	v_fma_mix_f32 v8, v80, v10, v8 op_sel_hi:[1,1,0]
	;; [unrolled: 12-line block ×3, first 2 shown]
	s_delay_alu instid0(VALU_DEP_4) | instskip(NEXT) | instid1(VALU_DEP_4)
	v_fma_mix_f32 v44, v59, v11, v44 op_sel:[0,1,0] op_sel_hi:[1,1,0]
	v_fma_mix_f32 v45, v67, v11, v45 op_sel:[0,1,0] op_sel_hi:[1,1,0]
	s_delay_alu instid0(VALU_DEP_4) | instskip(NEXT) | instid1(VALU_DEP_4)
	v_fma_mix_f32 v46, v75, v11, v46 op_sel:[0,1,0] op_sel_hi:[1,1,0]
	v_fma_mix_f32 v8, v83, v11, v8 op_sel:[0,1,0] op_sel_hi:[1,1,0]
	s_delay_alu instid0(VALU_DEP_4) | instskip(NEXT) | instid1(VALU_DEP_4)
	v_fma_mixlo_f16 v44, v44, v18, 0 op_sel_hi:[0,1,0]
	v_fma_mixlo_f16 v45, v45, v25, 0 op_sel_hi:[0,1,0]
	s_delay_alu instid0(VALU_DEP_4) | instskip(NEXT) | instid1(VALU_DEP_4)
	v_fma_mixlo_f16 v46, v46, v19, 0 op_sel_hi:[0,1,0]
	v_fma_mixlo_f16 v8, v8, v28, 0 op_sel_hi:[0,1,0]
	s_delay_alu instid0(VALU_DEP_4) | instskip(NEXT) | instid1(VALU_DEP_4)
	v_add_f16_e32 v44, v48, v44
	v_add_f16_e32 v45, v49, v45
	s_delay_alu instid0(VALU_DEP_4) | instskip(NEXT) | instid1(VALU_DEP_4)
	v_add_f16_e32 v46, v50, v46
	v_add_f16_e32 v47, v51, v8
	ds_load_b128 v[8:11], v31 offset:784
	s_waitcnt lgkmcnt(0)
	v_fma_mix_f32 v48, v52, v8, 0 op_sel_hi:[1,1,0]
	s_delay_alu instid0(VALU_DEP_1) | instskip(NEXT) | instid1(VALU_DEP_1)
	v_fma_mix_f32 v48, v53, v8, v48 op_sel:[0,1,0] op_sel_hi:[1,1,0]
	v_fma_mix_f32 v48, v54, v9, v48 op_sel_hi:[1,1,0]
	s_delay_alu instid0(VALU_DEP_1) | instskip(NEXT) | instid1(VALU_DEP_1)
	v_fma_mix_f32 v48, v55, v9, v48 op_sel:[0,1,0] op_sel_hi:[1,1,0]
	;; [unrolled: 3-line block ×4, first 2 shown]
	v_fma_mixlo_f16 v48, v48, v18, 0 op_sel_hi:[0,1,0]
	s_delay_alu instid0(VALU_DEP_1) | instskip(SKIP_1) | instid1(VALU_DEP_1)
	v_add_f16_e32 v48, v14, v48
	v_fma_mix_f32 v14, v60, v8, 0 op_sel_hi:[1,1,0]
	v_fma_mix_f32 v14, v61, v8, v14 op_sel:[0,1,0] op_sel_hi:[1,1,0]
	s_delay_alu instid0(VALU_DEP_1) | instskip(NEXT) | instid1(VALU_DEP_1)
	v_fma_mix_f32 v14, v62, v9, v14 op_sel_hi:[1,1,0]
	v_fma_mix_f32 v14, v63, v9, v14 op_sel:[0,1,0] op_sel_hi:[1,1,0]
	s_delay_alu instid0(VALU_DEP_1) | instskip(NEXT) | instid1(VALU_DEP_1)
	;; [unrolled: 3-line block ×4, first 2 shown]
	v_fma_mixlo_f16 v14, v14, v25, 0 op_sel_hi:[0,1,0]
	v_add_f16_e32 v49, v15, v14
	v_fma_mix_f32 v14, v68, v8, 0 op_sel_hi:[1,1,0]
	s_delay_alu instid0(VALU_DEP_1) | instskip(NEXT) | instid1(VALU_DEP_1)
	v_fma_mix_f32 v14, v69, v8, v14 op_sel:[0,1,0] op_sel_hi:[1,1,0]
	v_fma_mix_f32 v14, v70, v9, v14 op_sel_hi:[1,1,0]
	s_delay_alu instid0(VALU_DEP_1) | instskip(NEXT) | instid1(VALU_DEP_1)
	v_fma_mix_f32 v14, v71, v9, v14 op_sel:[0,1,0] op_sel_hi:[1,1,0]
	;; [unrolled: 3-line block ×4, first 2 shown]
	v_fma_mixlo_f16 v14, v14, v19, 0 op_sel_hi:[0,1,0]
	s_delay_alu instid0(VALU_DEP_1) | instskip(SKIP_2) | instid1(VALU_DEP_2)
	v_add_f16_e32 v50, v22, v14
	v_fma_mix_f32 v14, v76, v8, 0 op_sel_hi:[1,1,0]
	v_add_co_u32 v22, vcc_lo, v12, s2
	v_fma_mix_f32 v8, v77, v8, v14 op_sel:[0,1,0] op_sel_hi:[1,1,0]
	s_delay_alu instid0(VALU_DEP_1) | instskip(NEXT) | instid1(VALU_DEP_1)
	v_fma_mix_f32 v8, v78, v9, v8 op_sel_hi:[1,1,0]
	v_fma_mix_f32 v8, v79, v9, v8 op_sel:[0,1,0] op_sel_hi:[1,1,0]
	s_delay_alu instid0(VALU_DEP_1) | instskip(NEXT) | instid1(VALU_DEP_1)
	v_fma_mix_f32 v8, v80, v10, v8 op_sel_hi:[1,1,0]
	;; [unrolled: 3-line block ×3, first 2 shown]
	v_fma_mix_f32 v8, v83, v11, v8 op_sel:[0,1,0] op_sel_hi:[1,1,0]
	s_delay_alu instid0(VALU_DEP_1) | instskip(NEXT) | instid1(VALU_DEP_1)
	v_fma_mixlo_f16 v8, v8, v28, 0 op_sel_hi:[0,1,0]
	v_add_f16_e32 v51, v23, v8
	global_load_b128 v[8:11], v[12:13], off
	v_add_co_ci_u32_e32 v23, vcc_lo, s3, v13, vcc_lo
	global_load_b128 v[12:15], v[22:23], off
	s_waitcnt vmcnt(1)
	v_bfe_u32 v66, v10, 16, 8
	v_and_b32_e32 v52, 0xff, v8
	v_bfe_u32 v53, v8, 8, 8
	v_bfe_u32 v54, v8, 16, 8
	v_lshrrev_b32_e32 v8, 24, v8
	v_sub_nc_u32_e32 v66, v66, v33
	v_sub_nc_u32_e32 v52, v52, v35
	v_sub_nc_u32_e32 v53, v53, v35
	v_sub_nc_u32_e32 v54, v54, v35
	v_sub_nc_u32_e32 v8, v8, v35
	v_cvt_f32_i32_e32 v66, v66
	v_cvt_f32_i32_e32 v52, v52
	;; [unrolled: 1-line block ×4, first 2 shown]
	s_waitcnt vmcnt(0)
	v_and_b32_e32 v55, 0xff, v12
	v_cvt_f16_f32_e32 v68, v66
	v_and_b32_e32 v66, 0xff, v14
	v_cvt_f16_f32_e32 v52, v52
	v_cvt_f16_f32_e32 v53, v53
	;; [unrolled: 1-line block ×3, first 2 shown]
	v_cvt_f32_i32_e32 v8, v8
	v_sub_nc_u32_e32 v66, v66, v33
	v_sub_nc_u32_e32 v55, v55, v35
	v_bfe_u32 v56, v12, 8, 8
	v_bfe_u32 v57, v12, 16, 8
	v_cvt_f16_f32_e32 v8, v8
	v_cvt_f32_i32_e32 v66, v66
	v_cvt_f32_i32_e32 v55, v55
	v_sub_nc_u32_e32 v56, v56, v35
	v_sub_nc_u32_e32 v57, v57, v35
	v_lshrrev_b32_e32 v12, 24, v12
	v_cvt_f16_f32_e32 v69, v66
	v_bfe_u32 v66, v14, 8, 8
	v_cvt_f16_f32_e32 v55, v55
	v_cvt_f32_i32_e32 v56, v56
	v_cvt_f32_i32_e32 v57, v57
	v_sub_nc_u32_e32 v12, v12, v35
	v_sub_nc_u32_e32 v66, v66, v33
	v_and_b32_e32 v58, 0xff, v9
	v_cvt_f16_f32_e32 v56, v56
	v_cvt_f16_f32_e32 v57, v57
	v_cvt_f32_i32_e32 v12, v12
	v_cvt_f32_i32_e32 v66, v66
	v_sub_nc_u32_e32 v58, v58, v34
	v_bfe_u32 v59, v9, 8, 8
	v_bfe_u32 v60, v9, 16, 8
	v_cvt_f16_f32_e32 v12, v12
	v_cvt_f16_f32_e32 v70, v66
	v_bfe_u32 v66, v14, 16, 8
	v_cvt_f32_i32_e32 v58, v58
	v_sub_nc_u32_e32 v59, v59, v34
	v_sub_nc_u32_e32 v60, v60, v34
	v_lshrrev_b32_e32 v9, 24, v9
	v_sub_nc_u32_e32 v66, v66, v33
	v_cvt_f16_f32_e32 v58, v58
	v_cvt_f32_i32_e32 v59, v59
	v_cvt_f32_i32_e32 v60, v60
	v_sub_nc_u32_e32 v9, v9, v34
	v_cvt_f32_i32_e32 v66, v66
	v_and_b32_e32 v61, 0xff, v13
	v_cvt_f16_f32_e32 v59, v59
	v_cvt_f16_f32_e32 v60, v60
	v_cvt_f32_i32_e32 v9, v9
	v_cvt_f16_f32_e32 v71, v66
	v_and_b32_e32 v66, 0xff, v11
	v_sub_nc_u32_e32 v61, v61, v34
	v_bfe_u32 v62, v13, 8, 8
	v_cvt_f16_f32_e32 v9, v9
	v_bfe_u32 v63, v13, 16, 8
	v_sub_nc_u32_e32 v66, v66, v32
	v_cvt_f32_i32_e32 v61, v61
	v_sub_nc_u32_e32 v62, v62, v34
	v_lshrrev_b32_e32 v13, 24, v13
	v_sub_nc_u32_e32 v63, v63, v34
	v_cvt_f32_i32_e32 v66, v66
	v_cvt_f16_f32_e32 v61, v61
	v_cvt_f32_i32_e32 v62, v62
	v_sub_nc_u32_e32 v13, v13, v34
	v_cvt_f32_i32_e32 v63, v63
	v_cvt_f16_f32_e32 v72, v66
	v_bfe_u32 v66, v11, 8, 8
	v_cvt_f16_f32_e32 v62, v62
	v_cvt_f32_i32_e32 v13, v13
	v_cvt_f16_f32_e32 v63, v63
	v_and_b32_e32 v64, 0xff, v10
	v_sub_nc_u32_e32 v66, v66, v32
	v_bfe_u32 v65, v10, 8, 8
	v_cvt_f16_f32_e32 v13, v13
	v_lshrrev_b32_e32 v10, 24, v10
	v_sub_nc_u32_e32 v64, v64, v33
	v_cvt_f32_i32_e32 v66, v66
	v_sub_nc_u32_e32 v65, v65, v33
	v_lshrrev_b32_e32 v14, 24, v14
	v_sub_nc_u32_e32 v10, v10, v33
	v_cvt_f32_i32_e32 v64, v64
	v_cvt_f16_f32_e32 v73, v66
	v_bfe_u32 v66, v11, 16, 8
	v_cvt_f32_i32_e32 v65, v65
	v_cvt_f32_i32_e32 v10, v10
	v_cvt_f16_f32_e32 v64, v64
	v_sub_nc_u32_e32 v14, v14, v33
	v_sub_nc_u32_e32 v66, v66, v32
	v_cvt_f16_f32_e32 v65, v65
	v_cvt_f16_f32_e32 v10, v10
	v_lshrrev_b32_e32 v11, 24, v11
	v_cvt_f32_i32_e32 v14, v14
	v_cvt_f32_i32_e32 v66, v66
	s_delay_alu instid0(VALU_DEP_3) | instskip(NEXT) | instid1(VALU_DEP_3)
	v_sub_nc_u32_e32 v11, v11, v32
	v_cvt_f16_f32_e32 v14, v14
	s_delay_alu instid0(VALU_DEP_3) | instskip(SKIP_1) | instid1(VALU_DEP_4)
	v_cvt_f16_f32_e32 v74, v66
	v_and_b32_e32 v66, 0xff, v15
	v_cvt_f32_i32_e32 v11, v11
	s_delay_alu instid0(VALU_DEP_2) | instskip(NEXT) | instid1(VALU_DEP_2)
	v_sub_nc_u32_e32 v66, v66, v32
	v_cvt_f16_f32_e32 v11, v11
	s_delay_alu instid0(VALU_DEP_2) | instskip(NEXT) | instid1(VALU_DEP_1)
	v_cvt_f32_i32_e32 v66, v66
	v_cvt_f16_f32_e32 v75, v66
	v_bfe_u32 v66, v15, 8, 8
	s_delay_alu instid0(VALU_DEP_1) | instskip(NEXT) | instid1(VALU_DEP_1)
	v_sub_nc_u32_e32 v66, v66, v32
	v_cvt_f32_i32_e32 v66, v66
	s_delay_alu instid0(VALU_DEP_1) | instskip(SKIP_2) | instid1(VALU_DEP_2)
	v_cvt_f16_f32_e32 v76, v66
	v_bfe_u32 v66, v15, 16, 8
	v_lshrrev_b32_e32 v15, 24, v15
	v_sub_nc_u32_e32 v66, v66, v32
	s_delay_alu instid0(VALU_DEP_2) | instskip(NEXT) | instid1(VALU_DEP_2)
	v_sub_nc_u32_e32 v15, v15, v32
	v_cvt_f32_i32_e32 v66, v66
	s_delay_alu instid0(VALU_DEP_2) | instskip(NEXT) | instid1(VALU_DEP_2)
	v_cvt_f32_i32_e32 v15, v15
	v_cvt_f16_f32_e32 v77, v66
	v_fma_mix_f32 v66, v52, v4, 0 op_sel_hi:[1,1,0]
	s_delay_alu instid0(VALU_DEP_3) | instskip(NEXT) | instid1(VALU_DEP_2)
	v_cvt_f16_f32_e32 v15, v15
	v_fma_mix_f32 v66, v53, v4, v66 op_sel:[0,1,0] op_sel_hi:[1,1,0]
	s_delay_alu instid0(VALU_DEP_1) | instskip(NEXT) | instid1(VALU_DEP_1)
	v_fma_mix_f32 v66, v54, v5, v66 op_sel_hi:[1,1,0]
	v_fma_mix_f32 v66, v8, v5, v66 op_sel:[0,1,0] op_sel_hi:[1,1,0]
	s_delay_alu instid0(VALU_DEP_1) | instskip(NEXT) | instid1(VALU_DEP_1)
	v_fma_mix_f32 v66, v55, v6, v66 op_sel_hi:[1,1,0]
	;; [unrolled: 3-line block ×3, first 2 shown]
	v_fma_mix_f32 v66, v12, v7, v66 op_sel:[0,1,0] op_sel_hi:[1,1,0]
	s_delay_alu instid0(VALU_DEP_1) | instskip(NEXT) | instid1(VALU_DEP_1)
	v_fma_mixlo_f16 v66, v66, v18, 0 op_sel_hi:[0,1,0]
	v_add_f16_e32 v78, v36, v66
	v_fma_mix_f32 v36, v58, v4, 0 op_sel_hi:[1,1,0]
	s_delay_alu instid0(VALU_DEP_1) | instskip(NEXT) | instid1(VALU_DEP_1)
	v_fma_mix_f32 v36, v59, v4, v36 op_sel:[0,1,0] op_sel_hi:[1,1,0]
	v_fma_mix_f32 v36, v60, v5, v36 op_sel_hi:[1,1,0]
	s_delay_alu instid0(VALU_DEP_1) | instskip(NEXT) | instid1(VALU_DEP_1)
	v_fma_mix_f32 v36, v9, v5, v36 op_sel:[0,1,0] op_sel_hi:[1,1,0]
	;; [unrolled: 3-line block ×4, first 2 shown]
	v_fma_mixlo_f16 v36, v36, v25, 0 op_sel_hi:[0,1,0]
	s_delay_alu instid0(VALU_DEP_1) | instskip(SKIP_1) | instid1(VALU_DEP_1)
	v_add_f16_e32 v79, v37, v36
	v_fma_mix_f32 v36, v64, v4, 0 op_sel_hi:[1,1,0]
	v_fma_mix_f32 v36, v65, v4, v36 op_sel:[0,1,0] op_sel_hi:[1,1,0]
	s_delay_alu instid0(VALU_DEP_1) | instskip(NEXT) | instid1(VALU_DEP_1)
	v_fma_mix_f32 v36, v68, v5, v36 op_sel_hi:[1,1,0]
	v_fma_mix_f32 v36, v10, v5, v36 op_sel:[0,1,0] op_sel_hi:[1,1,0]
	s_delay_alu instid0(VALU_DEP_1) | instskip(NEXT) | instid1(VALU_DEP_1)
	;; [unrolled: 3-line block ×4, first 2 shown]
	v_fma_mixlo_f16 v36, v36, v19, 0 op_sel_hi:[0,1,0]
	v_add_f16_e32 v38, v38, v36
	v_fma_mix_f32 v36, v72, v4, 0 op_sel_hi:[1,1,0]
	s_delay_alu instid0(VALU_DEP_1) | instskip(NEXT) | instid1(VALU_DEP_1)
	v_fma_mix_f32 v4, v73, v4, v36 op_sel:[0,1,0] op_sel_hi:[1,1,0]
	v_fma_mix_f32 v4, v74, v5, v4 op_sel_hi:[1,1,0]
	s_delay_alu instid0(VALU_DEP_1) | instskip(NEXT) | instid1(VALU_DEP_1)
	v_fma_mix_f32 v4, v11, v5, v4 op_sel:[0,1,0] op_sel_hi:[1,1,0]
	;; [unrolled: 3-line block ×4, first 2 shown]
	v_fma_mixlo_f16 v4, v4, v28, 0 op_sel_hi:[0,1,0]
	s_delay_alu instid0(VALU_DEP_1) | instskip(SKIP_4) | instid1(VALU_DEP_2)
	v_add_f16_e32 v39, v39, v4
	ds_load_b128 v[4:7], v31 offset:288
	s_waitcnt lgkmcnt(0)
	v_fma_mix_f32 v36, v52, v4, 0 op_sel_hi:[1,1,0]
	v_fma_mix_f32 v37, v58, v4, 0 op_sel_hi:[1,1,0]
	v_fma_mix_f32 v36, v53, v4, v36 op_sel:[0,1,0] op_sel_hi:[1,1,0]
	s_delay_alu instid0(VALU_DEP_2) | instskip(NEXT) | instid1(VALU_DEP_2)
	v_fma_mix_f32 v37, v59, v4, v37 op_sel:[0,1,0] op_sel_hi:[1,1,0]
	v_fma_mix_f32 v36, v54, v5, v36 op_sel_hi:[1,1,0]
	s_delay_alu instid0(VALU_DEP_2) | instskip(NEXT) | instid1(VALU_DEP_2)
	v_fma_mix_f32 v37, v60, v5, v37 op_sel_hi:[1,1,0]
	v_fma_mix_f32 v36, v8, v5, v36 op_sel:[0,1,0] op_sel_hi:[1,1,0]
	s_delay_alu instid0(VALU_DEP_2) | instskip(NEXT) | instid1(VALU_DEP_2)
	v_fma_mix_f32 v37, v9, v5, v37 op_sel:[0,1,0] op_sel_hi:[1,1,0]
	v_fma_mix_f32 v36, v55, v6, v36 op_sel_hi:[1,1,0]
	s_delay_alu instid0(VALU_DEP_2) | instskip(NEXT) | instid1(VALU_DEP_2)
	;; [unrolled: 6-line block ×3, first 2 shown]
	v_fma_mix_f32 v37, v63, v7, v37 op_sel_hi:[1,1,0]
	v_fma_mix_f32 v36, v12, v7, v36 op_sel:[0,1,0] op_sel_hi:[1,1,0]
	s_delay_alu instid0(VALU_DEP_2) | instskip(NEXT) | instid1(VALU_DEP_2)
	v_fma_mix_f32 v37, v13, v7, v37 op_sel:[0,1,0] op_sel_hi:[1,1,0]
	v_fma_mixlo_f16 v36, v36, v18, 0 op_sel_hi:[0,1,0]
	s_delay_alu instid0(VALU_DEP_2) | instskip(NEXT) | instid1(VALU_DEP_2)
	v_fma_mixlo_f16 v37, v37, v25, 0 op_sel_hi:[0,1,0]
	v_add_f16_e32 v36, v40, v36
	v_fma_mix_f32 v40, v64, v4, 0 op_sel_hi:[1,1,0]
	s_delay_alu instid0(VALU_DEP_3) | instskip(NEXT) | instid1(VALU_DEP_2)
	v_add_f16_e32 v37, v41, v37
	v_fma_mix_f32 v40, v65, v4, v40 op_sel:[0,1,0] op_sel_hi:[1,1,0]
	s_delay_alu instid0(VALU_DEP_1) | instskip(NEXT) | instid1(VALU_DEP_1)
	v_fma_mix_f32 v40, v68, v5, v40 op_sel_hi:[1,1,0]
	v_fma_mix_f32 v40, v10, v5, v40 op_sel:[0,1,0] op_sel_hi:[1,1,0]
	s_delay_alu instid0(VALU_DEP_1) | instskip(NEXT) | instid1(VALU_DEP_1)
	v_fma_mix_f32 v40, v69, v6, v40 op_sel_hi:[1,1,0]
	;; [unrolled: 3-line block ×3, first 2 shown]
	v_fma_mix_f32 v40, v14, v7, v40 op_sel:[0,1,0] op_sel_hi:[1,1,0]
	s_delay_alu instid0(VALU_DEP_1) | instskip(NEXT) | instid1(VALU_DEP_1)
	v_fma_mixlo_f16 v40, v40, v19, 0 op_sel_hi:[0,1,0]
	v_add_f16_e32 v42, v42, v40
	v_fma_mix_f32 v40, v72, v4, 0 op_sel_hi:[1,1,0]
	s_delay_alu instid0(VALU_DEP_1) | instskip(NEXT) | instid1(VALU_DEP_1)
	v_fma_mix_f32 v4, v73, v4, v40 op_sel:[0,1,0] op_sel_hi:[1,1,0]
	v_fma_mix_f32 v4, v74, v5, v4 op_sel_hi:[1,1,0]
	s_delay_alu instid0(VALU_DEP_1) | instskip(NEXT) | instid1(VALU_DEP_1)
	v_fma_mix_f32 v4, v11, v5, v4 op_sel:[0,1,0] op_sel_hi:[1,1,0]
	;; [unrolled: 3-line block ×4, first 2 shown]
	v_fma_mixlo_f16 v4, v4, v28, 0 op_sel_hi:[0,1,0]
	s_delay_alu instid0(VALU_DEP_1) | instskip(SKIP_4) | instid1(VALU_DEP_2)
	v_add_f16_e32 v43, v43, v4
	ds_load_b128 v[4:7], v31 offset:544
	s_waitcnt lgkmcnt(0)
	v_fma_mix_f32 v40, v52, v4, 0 op_sel_hi:[1,1,0]
	v_fma_mix_f32 v41, v58, v4, 0 op_sel_hi:[1,1,0]
	v_fma_mix_f32 v40, v53, v4, v40 op_sel:[0,1,0] op_sel_hi:[1,1,0]
	s_delay_alu instid0(VALU_DEP_2) | instskip(NEXT) | instid1(VALU_DEP_2)
	v_fma_mix_f32 v41, v59, v4, v41 op_sel:[0,1,0] op_sel_hi:[1,1,0]
	v_fma_mix_f32 v40, v54, v5, v40 op_sel_hi:[1,1,0]
	s_delay_alu instid0(VALU_DEP_2) | instskip(NEXT) | instid1(VALU_DEP_2)
	v_fma_mix_f32 v41, v60, v5, v41 op_sel_hi:[1,1,0]
	v_fma_mix_f32 v40, v8, v5, v40 op_sel:[0,1,0] op_sel_hi:[1,1,0]
	s_delay_alu instid0(VALU_DEP_2) | instskip(NEXT) | instid1(VALU_DEP_2)
	v_fma_mix_f32 v41, v9, v5, v41 op_sel:[0,1,0] op_sel_hi:[1,1,0]
	v_fma_mix_f32 v40, v55, v6, v40 op_sel_hi:[1,1,0]
	s_delay_alu instid0(VALU_DEP_2) | instskip(NEXT) | instid1(VALU_DEP_2)
	;; [unrolled: 6-line block ×3, first 2 shown]
	v_fma_mix_f32 v41, v63, v7, v41 op_sel_hi:[1,1,0]
	v_fma_mix_f32 v40, v12, v7, v40 op_sel:[0,1,0] op_sel_hi:[1,1,0]
	s_delay_alu instid0(VALU_DEP_2) | instskip(NEXT) | instid1(VALU_DEP_2)
	v_fma_mix_f32 v41, v13, v7, v41 op_sel:[0,1,0] op_sel_hi:[1,1,0]
	v_fma_mixlo_f16 v40, v40, v18, 0 op_sel_hi:[0,1,0]
	s_delay_alu instid0(VALU_DEP_2) | instskip(NEXT) | instid1(VALU_DEP_2)
	v_fma_mixlo_f16 v41, v41, v25, 0 op_sel_hi:[0,1,0]
	v_add_f16_e32 v40, v44, v40
	v_fma_mix_f32 v44, v64, v4, 0 op_sel_hi:[1,1,0]
	s_delay_alu instid0(VALU_DEP_3) | instskip(NEXT) | instid1(VALU_DEP_2)
	v_add_f16_e32 v41, v45, v41
	v_fma_mix_f32 v44, v65, v4, v44 op_sel:[0,1,0] op_sel_hi:[1,1,0]
	s_delay_alu instid0(VALU_DEP_1) | instskip(NEXT) | instid1(VALU_DEP_1)
	v_fma_mix_f32 v44, v68, v5, v44 op_sel_hi:[1,1,0]
	v_fma_mix_f32 v44, v10, v5, v44 op_sel:[0,1,0] op_sel_hi:[1,1,0]
	s_delay_alu instid0(VALU_DEP_1) | instskip(NEXT) | instid1(VALU_DEP_1)
	v_fma_mix_f32 v44, v69, v6, v44 op_sel_hi:[1,1,0]
	;; [unrolled: 3-line block ×3, first 2 shown]
	v_fma_mix_f32 v44, v14, v7, v44 op_sel:[0,1,0] op_sel_hi:[1,1,0]
	s_delay_alu instid0(VALU_DEP_1) | instskip(NEXT) | instid1(VALU_DEP_1)
	v_fma_mixlo_f16 v44, v44, v19, 0 op_sel_hi:[0,1,0]
	v_add_f16_e32 v66, v46, v44
	v_fma_mix_f32 v44, v72, v4, 0 op_sel_hi:[1,1,0]
	s_delay_alu instid0(VALU_DEP_1) | instskip(NEXT) | instid1(VALU_DEP_1)
	v_fma_mix_f32 v4, v73, v4, v44 op_sel:[0,1,0] op_sel_hi:[1,1,0]
	v_fma_mix_f32 v4, v74, v5, v4 op_sel_hi:[1,1,0]
	s_delay_alu instid0(VALU_DEP_1) | instskip(NEXT) | instid1(VALU_DEP_1)
	v_fma_mix_f32 v4, v11, v5, v4 op_sel:[0,1,0] op_sel_hi:[1,1,0]
	;; [unrolled: 3-line block ×4, first 2 shown]
	v_fma_mixlo_f16 v4, v4, v28, 0 op_sel_hi:[0,1,0]
	s_delay_alu instid0(VALU_DEP_1) | instskip(SKIP_3) | instid1(VALU_DEP_1)
	v_add_f16_e32 v67, v47, v4
	ds_load_b128 v[44:47], v31 offset:800
	s_waitcnt lgkmcnt(0)
	v_fma_mix_f32 v4, v52, v44, 0 op_sel_hi:[1,1,0]
	v_fma_mix_f32 v4, v53, v44, v4 op_sel:[0,1,0] op_sel_hi:[1,1,0]
	s_delay_alu instid0(VALU_DEP_1) | instskip(NEXT) | instid1(VALU_DEP_1)
	v_fma_mix_f32 v4, v54, v45, v4 op_sel_hi:[1,1,0]
	v_fma_mix_f32 v4, v8, v45, v4 op_sel:[0,1,0] op_sel_hi:[1,1,0]
	v_add_co_u32 v8, vcc_lo, v22, s2
	s_delay_alu instid0(VALU_DEP_2) | instskip(NEXT) | instid1(VALU_DEP_1)
	v_fma_mix_f32 v4, v55, v46, v4 op_sel_hi:[1,1,0]
	v_fma_mix_f32 v4, v56, v46, v4 op_sel:[0,1,0] op_sel_hi:[1,1,0]
	s_delay_alu instid0(VALU_DEP_1) | instskip(NEXT) | instid1(VALU_DEP_1)
	v_fma_mix_f32 v4, v57, v47, v4 op_sel_hi:[1,1,0]
	v_fma_mix_f32 v4, v12, v47, v4 op_sel:[0,1,0] op_sel_hi:[1,1,0]
	s_delay_alu instid0(VALU_DEP_1) | instskip(NEXT) | instid1(VALU_DEP_1)
	v_fma_mixlo_f16 v4, v4, v18, 0 op_sel_hi:[0,1,0]
	v_add_f16_e32 v7, v48, v4
	v_fma_mix_f32 v4, v58, v44, 0 op_sel_hi:[1,1,0]
	s_delay_alu instid0(VALU_DEP_1) | instskip(NEXT) | instid1(VALU_DEP_1)
	v_fma_mix_f32 v4, v59, v44, v4 op_sel:[0,1,0] op_sel_hi:[1,1,0]
	v_fma_mix_f32 v4, v60, v45, v4 op_sel_hi:[1,1,0]
	s_delay_alu instid0(VALU_DEP_1) | instskip(SKIP_1) | instid1(VALU_DEP_2)
	v_fma_mix_f32 v4, v9, v45, v4 op_sel:[0,1,0] op_sel_hi:[1,1,0]
	v_add_co_ci_u32_e32 v9, vcc_lo, s3, v23, vcc_lo
	v_fma_mix_f32 v4, v61, v46, v4 op_sel_hi:[1,1,0]
	global_load_b128 v[54:57], v[8:9], off
	v_add_co_u32 v8, vcc_lo, v8, s2
	v_add_co_ci_u32_e32 v9, vcc_lo, s3, v9, vcc_lo
	v_fma_mix_f32 v4, v62, v46, v4 op_sel:[0,1,0] op_sel_hi:[1,1,0]
	v_add_co_u32 v20, vcc_lo, v20, s0
	v_add_co_ci_u32_e32 v21, vcc_lo, s1, v21, vcc_lo
	s_delay_alu instid0(VALU_DEP_3) | instskip(NEXT) | instid1(VALU_DEP_1)
	v_fma_mix_f32 v4, v63, v47, v4 op_sel_hi:[1,1,0]
	v_fma_mix_f32 v4, v13, v47, v4 op_sel:[0,1,0] op_sel_hi:[1,1,0]
	s_delay_alu instid0(VALU_DEP_1) | instskip(NEXT) | instid1(VALU_DEP_1)
	v_fma_mixlo_f16 v4, v4, v25, 0 op_sel_hi:[0,1,0]
	v_add_f16_e32 v6, v49, v4
	v_fma_mix_f32 v4, v64, v44, 0 op_sel_hi:[1,1,0]
	s_delay_alu instid0(VALU_DEP_1) | instskip(NEXT) | instid1(VALU_DEP_1)
	v_fma_mix_f32 v4, v65, v44, v4 op_sel:[0,1,0] op_sel_hi:[1,1,0]
	v_fma_mix_f32 v4, v68, v45, v4 op_sel_hi:[1,1,0]
	s_delay_alu instid0(VALU_DEP_1) | instskip(NEXT) | instid1(VALU_DEP_1)
	v_fma_mix_f32 v4, v10, v45, v4 op_sel:[0,1,0] op_sel_hi:[1,1,0]
	;; [unrolled: 3-line block ×3, first 2 shown]
	v_fma_mix_f32 v4, v71, v47, v4 op_sel_hi:[1,1,0]
	global_load_b128 v[68:71], v[8:9], off
	v_fma_mix_f32 v4, v14, v47, v4 op_sel:[0,1,0] op_sel_hi:[1,1,0]
	s_delay_alu instid0(VALU_DEP_1) | instskip(NEXT) | instid1(VALU_DEP_1)
	v_fma_mixlo_f16 v4, v4, v19, 0 op_sel_hi:[0,1,0]
	v_add_f16_e32 v5, v50, v4
	v_fma_mix_f32 v4, v72, v44, 0 op_sel_hi:[1,1,0]
	s_delay_alu instid0(VALU_DEP_1) | instskip(NEXT) | instid1(VALU_DEP_1)
	v_fma_mix_f32 v4, v73, v44, v4 op_sel:[0,1,0] op_sel_hi:[1,1,0]
	v_fma_mix_f32 v4, v74, v45, v4 op_sel_hi:[1,1,0]
	s_delay_alu instid0(VALU_DEP_1) | instskip(NEXT) | instid1(VALU_DEP_1)
	v_fma_mix_f32 v4, v11, v45, v4 op_sel:[0,1,0] op_sel_hi:[1,1,0]
	;; [unrolled: 3-line block ×4, first 2 shown]
	v_fma_mixlo_f16 v4, v4, v28, 0 op_sel_hi:[0,1,0]
	s_delay_alu instid0(VALU_DEP_1)
	v_add_f16_e32 v4, v51, v4
	s_waitcnt vmcnt(1)
	v_bfe_u32 v14, v55, 8, 8
	v_and_b32_e32 v8, 0xff, v54
	v_bfe_u32 v9, v54, 8, 8
	v_bfe_u32 v10, v54, 16, 8
	v_lshrrev_b32_e32 v11, 24, v54
	v_sub_nc_u32_e32 v14, v14, v34
	v_sub_nc_u32_e32 v8, v8, v35
	;; [unrolled: 1-line block ×5, first 2 shown]
	v_cvt_f32_i32_e32 v14, v14
	v_cvt_f32_i32_e32 v8, v8
	;; [unrolled: 1-line block ×5, first 2 shown]
	s_delay_alu instid0(VALU_DEP_4) | instskip(NEXT) | instid1(VALU_DEP_4)
	v_cvt_f16_f32_e32 v8, v8
	v_cvt_f16_f32_e32 v9, v9
	s_delay_alu instid0(VALU_DEP_4) | instskip(NEXT) | instid1(VALU_DEP_4)
	v_cvt_f16_f32_e32 v10, v10
	v_cvt_f16_f32_e32 v11, v11
	s_waitcnt vmcnt(0)
	v_bfe_u32 v13, v68, 8, 8
	v_and_b32_e32 v12, 0xff, v68
	s_delay_alu instid0(VALU_DEP_2) | instskip(NEXT) | instid1(VALU_DEP_2)
	v_sub_nc_u32_e32 v13, v13, v35
	v_sub_nc_u32_e32 v12, v12, v35
	s_delay_alu instid0(VALU_DEP_2) | instskip(NEXT) | instid1(VALU_DEP_2)
	v_cvt_f32_i32_e32 v13, v13
	v_cvt_f32_i32_e32 v12, v12
	s_delay_alu instid0(VALU_DEP_2) | instskip(SKIP_1) | instid1(VALU_DEP_3)
	v_cvt_f16_f32_e32 v44, v13
	v_bfe_u32 v13, v68, 16, 8
	v_cvt_f16_f32_e32 v12, v12
	s_delay_alu instid0(VALU_DEP_2) | instskip(NEXT) | instid1(VALU_DEP_1)
	v_sub_nc_u32_e32 v13, v13, v35
	v_cvt_f32_i32_e32 v13, v13
	s_delay_alu instid0(VALU_DEP_1) | instskip(SKIP_1) | instid1(VALU_DEP_1)
	v_cvt_f16_f32_e32 v45, v13
	v_lshrrev_b32_e32 v13, 24, v68
	v_sub_nc_u32_e32 v13, v13, v35
	v_cvt_f16_f32_e32 v35, v14
	v_bfe_u32 v14, v55, 16, 8
	s_delay_alu instid0(VALU_DEP_3) | instskip(NEXT) | instid1(VALU_DEP_2)
	v_cvt_f32_i32_e32 v13, v13
	v_sub_nc_u32_e32 v14, v14, v34
	s_delay_alu instid0(VALU_DEP_2) | instskip(SKIP_1) | instid1(VALU_DEP_3)
	v_cvt_f16_f32_e32 v47, v13
	v_and_b32_e32 v13, 0xff, v55
	v_cvt_f32_i32_e32 v14, v14
	s_delay_alu instid0(VALU_DEP_2) | instskip(NEXT) | instid1(VALU_DEP_2)
	v_sub_nc_u32_e32 v13, v13, v34
	v_cvt_f16_f32_e32 v46, v14
	v_lshrrev_b32_e32 v14, 24, v55
	s_delay_alu instid0(VALU_DEP_3) | instskip(NEXT) | instid1(VALU_DEP_2)
	v_cvt_f32_i32_e32 v13, v13
	v_sub_nc_u32_e32 v14, v14, v34
	s_delay_alu instid0(VALU_DEP_2) | instskip(NEXT) | instid1(VALU_DEP_2)
	v_cvt_f16_f32_e32 v13, v13
	v_cvt_f32_i32_e32 v14, v14
	s_delay_alu instid0(VALU_DEP_1) | instskip(SKIP_1) | instid1(VALU_DEP_1)
	v_cvt_f16_f32_e32 v48, v14
	v_and_b32_e32 v14, 0xff, v69
	v_sub_nc_u32_e32 v14, v14, v34
	s_delay_alu instid0(VALU_DEP_1) | instskip(NEXT) | instid1(VALU_DEP_1)
	v_cvt_f32_i32_e32 v14, v14
	v_cvt_f16_f32_e32 v49, v14
	v_bfe_u32 v14, v69, 8, 8
	s_delay_alu instid0(VALU_DEP_1) | instskip(NEXT) | instid1(VALU_DEP_1)
	v_sub_nc_u32_e32 v14, v14, v34
	v_cvt_f32_i32_e32 v14, v14
	s_delay_alu instid0(VALU_DEP_1) | instskip(SKIP_1) | instid1(VALU_DEP_1)
	v_cvt_f16_f32_e32 v50, v14
	v_bfe_u32 v14, v69, 16, 8
	v_sub_nc_u32_e32 v14, v14, v34
	s_delay_alu instid0(VALU_DEP_1) | instskip(NEXT) | instid1(VALU_DEP_1)
	v_cvt_f32_i32_e32 v14, v14
	v_cvt_f16_f32_e32 v52, v14
	v_lshrrev_b32_e32 v14, 24, v69
	s_delay_alu instid0(VALU_DEP_1) | instskip(NEXT) | instid1(VALU_DEP_1)
	v_sub_nc_u32_e32 v14, v14, v34
	v_cvt_f32_i32_e32 v14, v14
	s_delay_alu instid0(VALU_DEP_1) | instskip(SKIP_1) | instid1(VALU_DEP_1)
	v_cvt_f16_f32_e32 v54, v14
	v_and_b32_e32 v14, 0xff, v56
	v_sub_nc_u32_e32 v14, v14, v33
	s_delay_alu instid0(VALU_DEP_1) | instskip(NEXT) | instid1(VALU_DEP_1)
	v_cvt_f32_i32_e32 v14, v14
	v_cvt_f16_f32_e32 v34, v14
	v_bfe_u32 v14, v56, 8, 8
	s_delay_alu instid0(VALU_DEP_1) | instskip(NEXT) | instid1(VALU_DEP_1)
	v_sub_nc_u32_e32 v14, v14, v33
	v_cvt_f32_i32_e32 v14, v14
	s_delay_alu instid0(VALU_DEP_1) | instskip(SKIP_1) | instid1(VALU_DEP_1)
	v_cvt_f16_f32_e32 v51, v14
	v_bfe_u32 v14, v56, 16, 8
	v_sub_nc_u32_e32 v14, v14, v33
	s_delay_alu instid0(VALU_DEP_1) | instskip(NEXT) | instid1(VALU_DEP_1)
	v_cvt_f32_i32_e32 v14, v14
	v_cvt_f16_f32_e32 v53, v14
	v_lshrrev_b32_e32 v14, 24, v56
	s_delay_alu instid0(VALU_DEP_1) | instskip(NEXT) | instid1(VALU_DEP_1)
	v_sub_nc_u32_e32 v14, v14, v33
	;; [unrolled: 22-line block ×5, first 2 shown]
	v_cvt_f32_i32_e32 v14, v14
	s_delay_alu instid0(VALU_DEP_1) | instskip(SKIP_1) | instid1(VALU_DEP_1)
	v_cvt_f16_f32_e32 v32, v14
	v_fma_mix_f32 v14, v8, v0, 0 op_sel_hi:[1,1,0]
	v_fma_mix_f32 v14, v9, v0, v14 op_sel:[0,1,0] op_sel_hi:[1,1,0]
	s_delay_alu instid0(VALU_DEP_1) | instskip(NEXT) | instid1(VALU_DEP_1)
	v_fma_mix_f32 v14, v10, v1, v14 op_sel_hi:[1,1,0]
	v_fma_mix_f32 v14, v11, v1, v14 op_sel:[0,1,0] op_sel_hi:[1,1,0]
	s_delay_alu instid0(VALU_DEP_1) | instskip(NEXT) | instid1(VALU_DEP_1)
	v_fma_mix_f32 v14, v12, v2, v14 op_sel_hi:[1,1,0]
	v_fma_mix_f32 v14, v44, v2, v14 op_sel:[0,1,0] op_sel_hi:[1,1,0]
	s_delay_alu instid0(VALU_DEP_1) | instskip(NEXT) | instid1(VALU_DEP_1)
	v_fma_mix_f32 v14, v45, v3, v14 op_sel_hi:[1,1,0]
	v_fma_mix_f32 v14, v47, v3, v14 op_sel:[0,1,0] op_sel_hi:[1,1,0]
	s_delay_alu instid0(VALU_DEP_1) | instskip(NEXT) | instid1(VALU_DEP_1)
	v_fma_mixlo_f16 v14, v14, v18, 0 op_sel_hi:[0,1,0]
	v_add_f16_e32 v22, v78, v14
	v_fma_mix_f32 v14, v13, v0, 0 op_sel_hi:[1,1,0]
	s_delay_alu instid0(VALU_DEP_1) | instskip(NEXT) | instid1(VALU_DEP_1)
	v_fma_mix_f32 v14, v35, v0, v14 op_sel:[0,1,0] op_sel_hi:[1,1,0]
	v_fma_mix_f32 v14, v46, v1, v14 op_sel_hi:[1,1,0]
	s_delay_alu instid0(VALU_DEP_1) | instskip(NEXT) | instid1(VALU_DEP_1)
	v_fma_mix_f32 v14, v48, v1, v14 op_sel:[0,1,0] op_sel_hi:[1,1,0]
	v_fma_mix_f32 v14, v49, v2, v14 op_sel_hi:[1,1,0]
	s_delay_alu instid0(VALU_DEP_1) | instskip(NEXT) | instid1(VALU_DEP_1)
	v_fma_mix_f32 v14, v50, v2, v14 op_sel:[0,1,0] op_sel_hi:[1,1,0]
	v_fma_mix_f32 v14, v52, v3, v14 op_sel_hi:[1,1,0]
	s_delay_alu instid0(VALU_DEP_1) | instskip(NEXT) | instid1(VALU_DEP_1)
	v_fma_mix_f32 v14, v54, v3, v14 op_sel:[0,1,0] op_sel_hi:[1,1,0]
	v_fma_mixlo_f16 v14, v14, v25, 0 op_sel_hi:[0,1,0]
	s_delay_alu instid0(VALU_DEP_1) | instskip(SKIP_1) | instid1(VALU_DEP_1)
	v_add_f16_e32 v23, v79, v14
	v_fma_mix_f32 v14, v34, v0, 0 op_sel_hi:[1,1,0]
	v_fma_mix_f32 v14, v51, v0, v14 op_sel:[0,1,0] op_sel_hi:[1,1,0]
	s_delay_alu instid0(VALU_DEP_1) | instskip(NEXT) | instid1(VALU_DEP_1)
	v_fma_mix_f32 v14, v53, v1, v14 op_sel_hi:[1,1,0]
	v_fma_mix_f32 v14, v56, v1, v14 op_sel:[0,1,0] op_sel_hi:[1,1,0]
	s_delay_alu instid0(VALU_DEP_1) | instskip(NEXT) | instid1(VALU_DEP_1)
	v_fma_mix_f32 v14, v60, v2, v14 op_sel_hi:[1,1,0]
	v_fma_mix_f32 v14, v63, v2, v14 op_sel:[0,1,0] op_sel_hi:[1,1,0]
	s_delay_alu instid0(VALU_DEP_1) | instskip(NEXT) | instid1(VALU_DEP_1)
	v_fma_mix_f32 v14, v64, v3, v14 op_sel_hi:[1,1,0]
	v_fma_mix_f32 v14, v65, v3, v14 op_sel:[0,1,0] op_sel_hi:[1,1,0]
	s_delay_alu instid0(VALU_DEP_1) | instskip(NEXT) | instid1(VALU_DEP_1)
	v_fma_mixlo_f16 v14, v14, v19, 0 op_sel_hi:[0,1,0]
	v_add_f16_e32 v15, v38, v14
	v_fma_mix_f32 v14, v62, v0, 0 op_sel_hi:[1,1,0]
	s_delay_alu instid0(VALU_DEP_1) | instskip(NEXT) | instid1(VALU_DEP_1)
	v_fma_mix_f32 v0, v61, v0, v14 op_sel:[0,1,0] op_sel_hi:[1,1,0]
	v_fma_mix_f32 v0, v59, v1, v0 op_sel_hi:[1,1,0]
	s_delay_alu instid0(VALU_DEP_1) | instskip(NEXT) | instid1(VALU_DEP_1)
	v_fma_mix_f32 v0, v58, v1, v0 op_sel:[0,1,0] op_sel_hi:[1,1,0]
	v_fma_mix_f32 v0, v57, v2, v0 op_sel_hi:[1,1,0]
	s_delay_alu instid0(VALU_DEP_1) | instskip(NEXT) | instid1(VALU_DEP_1)
	v_fma_mix_f32 v0, v55, v2, v0 op_sel:[0,1,0] op_sel_hi:[1,1,0]
	v_fma_mix_f32 v0, v33, v3, v0 op_sel_hi:[1,1,0]
	s_delay_alu instid0(VALU_DEP_1) | instskip(NEXT) | instid1(VALU_DEP_1)
	v_fma_mix_f32 v0, v32, v3, v0 op_sel:[0,1,0] op_sel_hi:[1,1,0]
	v_fma_mixlo_f16 v0, v0, v28, 0 op_sel_hi:[0,1,0]
	s_delay_alu instid0(VALU_DEP_1) | instskip(SKIP_3) | instid1(VALU_DEP_1)
	v_add_f16_e32 v14, v39, v0
	ds_load_b128 v[0:3], v31 offset:304
	s_waitcnt lgkmcnt(0)
	v_fma_mix_f32 v38, v8, v0, 0 op_sel_hi:[1,1,0]
	v_fma_mix_f32 v38, v9, v0, v38 op_sel:[0,1,0] op_sel_hi:[1,1,0]
	s_delay_alu instid0(VALU_DEP_1) | instskip(NEXT) | instid1(VALU_DEP_1)
	v_fma_mix_f32 v38, v10, v1, v38 op_sel_hi:[1,1,0]
	v_fma_mix_f32 v38, v11, v1, v38 op_sel:[0,1,0] op_sel_hi:[1,1,0]
	s_delay_alu instid0(VALU_DEP_1) | instskip(NEXT) | instid1(VALU_DEP_1)
	v_fma_mix_f32 v38, v12, v2, v38 op_sel_hi:[1,1,0]
	v_fma_mix_f32 v38, v44, v2, v38 op_sel:[0,1,0] op_sel_hi:[1,1,0]
	s_delay_alu instid0(VALU_DEP_1) | instskip(NEXT) | instid1(VALU_DEP_1)
	v_fma_mix_f32 v38, v45, v3, v38 op_sel_hi:[1,1,0]
	v_fma_mix_f32 v38, v47, v3, v38 op_sel:[0,1,0] op_sel_hi:[1,1,0]
	s_delay_alu instid0(VALU_DEP_1) | instskip(NEXT) | instid1(VALU_DEP_1)
	v_fma_mixlo_f16 v38, v38, v18, 0 op_sel_hi:[0,1,0]
	v_add_f16_e32 v39, v36, v38
	v_fma_mix_f32 v36, v13, v0, 0 op_sel_hi:[1,1,0]
	s_delay_alu instid0(VALU_DEP_1) | instskip(NEXT) | instid1(VALU_DEP_1)
	v_fma_mix_f32 v36, v35, v0, v36 op_sel:[0,1,0] op_sel_hi:[1,1,0]
	v_fma_mix_f32 v36, v46, v1, v36 op_sel_hi:[1,1,0]
	s_delay_alu instid0(VALU_DEP_1) | instskip(NEXT) | instid1(VALU_DEP_1)
	v_fma_mix_f32 v36, v48, v1, v36 op_sel:[0,1,0] op_sel_hi:[1,1,0]
	v_fma_mix_f32 v36, v49, v2, v36 op_sel_hi:[1,1,0]
	s_delay_alu instid0(VALU_DEP_1) | instskip(NEXT) | instid1(VALU_DEP_1)
	v_fma_mix_f32 v36, v50, v2, v36 op_sel:[0,1,0] op_sel_hi:[1,1,0]
	v_fma_mix_f32 v36, v52, v3, v36 op_sel_hi:[1,1,0]
	s_delay_alu instid0(VALU_DEP_1) | instskip(NEXT) | instid1(VALU_DEP_1)
	v_fma_mix_f32 v36, v54, v3, v36 op_sel:[0,1,0] op_sel_hi:[1,1,0]
	v_fma_mixlo_f16 v36, v36, v25, 0 op_sel_hi:[0,1,0]
	s_delay_alu instid0(VALU_DEP_1) | instskip(SKIP_1) | instid1(VALU_DEP_1)
	v_add_f16_e32 v38, v37, v36
	v_fma_mix_f32 v36, v34, v0, 0 op_sel_hi:[1,1,0]
	v_fma_mix_f32 v36, v51, v0, v36 op_sel:[0,1,0] op_sel_hi:[1,1,0]
	s_delay_alu instid0(VALU_DEP_1) | instskip(NEXT) | instid1(VALU_DEP_1)
	v_fma_mix_f32 v36, v53, v1, v36 op_sel_hi:[1,1,0]
	v_fma_mix_f32 v36, v56, v1, v36 op_sel:[0,1,0] op_sel_hi:[1,1,0]
	s_delay_alu instid0(VALU_DEP_1) | instskip(NEXT) | instid1(VALU_DEP_1)
	v_fma_mix_f32 v36, v60, v2, v36 op_sel_hi:[1,1,0]
	v_fma_mix_f32 v36, v63, v2, v36 op_sel:[0,1,0] op_sel_hi:[1,1,0]
	s_delay_alu instid0(VALU_DEP_1) | instskip(NEXT) | instid1(VALU_DEP_1)
	v_fma_mix_f32 v36, v64, v3, v36 op_sel_hi:[1,1,0]
	v_fma_mix_f32 v36, v65, v3, v36 op_sel:[0,1,0] op_sel_hi:[1,1,0]
	s_delay_alu instid0(VALU_DEP_1) | instskip(NEXT) | instid1(VALU_DEP_1)
	v_fma_mixlo_f16 v36, v36, v19, 0 op_sel_hi:[0,1,0]
	v_add_f16_e32 v37, v42, v36
	v_fma_mix_f32 v36, v62, v0, 0 op_sel_hi:[1,1,0]
	s_delay_alu instid0(VALU_DEP_1) | instskip(NEXT) | instid1(VALU_DEP_1)
	v_fma_mix_f32 v0, v61, v0, v36 op_sel:[0,1,0] op_sel_hi:[1,1,0]
	v_fma_mix_f32 v0, v59, v1, v0 op_sel_hi:[1,1,0]
	s_delay_alu instid0(VALU_DEP_1) | instskip(NEXT) | instid1(VALU_DEP_1)
	v_fma_mix_f32 v0, v58, v1, v0 op_sel:[0,1,0] op_sel_hi:[1,1,0]
	v_fma_mix_f32 v0, v57, v2, v0 op_sel_hi:[1,1,0]
	s_delay_alu instid0(VALU_DEP_1) | instskip(NEXT) | instid1(VALU_DEP_1)
	v_fma_mix_f32 v0, v55, v2, v0 op_sel:[0,1,0] op_sel_hi:[1,1,0]
	v_fma_mix_f32 v0, v33, v3, v0 op_sel_hi:[1,1,0]
	s_delay_alu instid0(VALU_DEP_1) | instskip(NEXT) | instid1(VALU_DEP_1)
	v_fma_mix_f32 v0, v32, v3, v0 op_sel:[0,1,0] op_sel_hi:[1,1,0]
	v_fma_mixlo_f16 v0, v0, v28, 0 op_sel_hi:[0,1,0]
	s_delay_alu instid0(VALU_DEP_1) | instskip(SKIP_3) | instid1(VALU_DEP_1)
	v_add_f16_e32 v36, v43, v0
	ds_load_b128 v[0:3], v31 offset:560
	s_waitcnt lgkmcnt(0)
	;; [unrolled: 60-line block ×3, first 2 shown]
	v_fma_mix_f32 v8, v8, v0, 0 op_sel_hi:[1,1,0]
	v_fma_mix_f32 v8, v9, v0, v8 op_sel:[0,1,0] op_sel_hi:[1,1,0]
	s_delay_alu instid0(VALU_DEP_1) | instskip(NEXT) | instid1(VALU_DEP_1)
	v_fma_mix_f32 v8, v10, v1, v8 op_sel_hi:[1,1,0]
	v_fma_mix_f32 v8, v11, v1, v8 op_sel:[0,1,0] op_sel_hi:[1,1,0]
	s_delay_alu instid0(VALU_DEP_1) | instskip(NEXT) | instid1(VALU_DEP_1)
	;; [unrolled: 3-line block ×4, first 2 shown]
	v_fma_mixlo_f16 v8, v8, v18, 0 op_sel_hi:[0,1,0]
	v_add_f16_e32 v45, v7, v8
	v_fma_mix_f32 v7, v13, v0, 0 op_sel_hi:[1,1,0]
	s_delay_alu instid0(VALU_DEP_1) | instskip(NEXT) | instid1(VALU_DEP_1)
	v_fma_mix_f32 v7, v35, v0, v7 op_sel:[0,1,0] op_sel_hi:[1,1,0]
	v_fma_mix_f32 v7, v46, v1, v7 op_sel_hi:[1,1,0]
	s_delay_alu instid0(VALU_DEP_1) | instskip(NEXT) | instid1(VALU_DEP_1)
	v_fma_mix_f32 v7, v48, v1, v7 op_sel:[0,1,0] op_sel_hi:[1,1,0]
	;; [unrolled: 3-line block ×4, first 2 shown]
	v_fma_mixlo_f16 v7, v7, v25, 0 op_sel_hi:[0,1,0]
	s_delay_alu instid0(VALU_DEP_1) | instskip(SKIP_1) | instid1(VALU_DEP_1)
	v_add_f16_e32 v46, v6, v7
	v_fma_mix_f32 v6, v34, v0, 0 op_sel_hi:[1,1,0]
	v_fma_mix_f32 v6, v51, v0, v6 op_sel:[0,1,0] op_sel_hi:[1,1,0]
	s_delay_alu instid0(VALU_DEP_1) | instskip(NEXT) | instid1(VALU_DEP_1)
	v_fma_mix_f32 v6, v53, v1, v6 op_sel_hi:[1,1,0]
	v_fma_mix_f32 v6, v56, v1, v6 op_sel:[0,1,0] op_sel_hi:[1,1,0]
	s_delay_alu instid0(VALU_DEP_1) | instskip(NEXT) | instid1(VALU_DEP_1)
	;; [unrolled: 3-line block ×4, first 2 shown]
	v_fma_mixlo_f16 v6, v6, v19, 0 op_sel_hi:[0,1,0]
	v_add_f16_e32 v44, v5, v6
	v_fma_mix_f32 v5, v62, v0, 0 op_sel_hi:[1,1,0]
	s_delay_alu instid0(VALU_DEP_1) | instskip(NEXT) | instid1(VALU_DEP_1)
	v_fma_mix_f32 v0, v61, v0, v5 op_sel:[0,1,0] op_sel_hi:[1,1,0]
	v_fma_mix_f32 v0, v59, v1, v0 op_sel_hi:[1,1,0]
	s_delay_alu instid0(VALU_DEP_1) | instskip(NEXT) | instid1(VALU_DEP_1)
	v_fma_mix_f32 v0, v58, v1, v0 op_sel:[0,1,0] op_sel_hi:[1,1,0]
	;; [unrolled: 3-line block ×4, first 2 shown]
	v_fma_mixlo_f16 v0, v0, v28, 0 op_sel_hi:[0,1,0]
	s_delay_alu instid0(VALU_DEP_1)
	v_add_f16_e32 v47, v4, v0
	s_cbranch_scc1 .LBB30_16
.LBB30_14:                              ; =>This Inner Loop Header: Depth=1
	s_cmp_lg_u32 s15, s4
	s_cbranch_scc1 .LBB30_13
; %bb.15:                               ;   in Loop: Header=BB30_14 Depth=1
	s_add_i32 s18, s18, 1
	s_add_i32 s4, s4, s14
	s_mul_i32 s5, s18, s16
	s_delay_alu instid0(SALU_CYCLE_1) | instskip(SKIP_2) | instid1(SALU_CYCLE_1)
	s_ashr_i32 s17, s5, 31
	v_add_nc_u32_e32 v0, s5, v16
	s_lshr_b32 s17, s17, 30
	s_add_i32 s5, s5, s17
	s_delay_alu instid0(VALU_DEP_1) | instskip(SKIP_1) | instid1(SALU_CYCLE_1)
	v_ashrrev_i32_e32 v1, 31, v0
	s_ashr_i32 s5, s5, 2
	v_add_nc_u32_e32 v2, s5, v24
	s_delay_alu instid0(VALU_DEP_2) | instskip(NEXT) | instid1(VALU_DEP_2)
	v_lshlrev_b64 v[0:1], 1, v[0:1]
	v_ashrrev_i32_e32 v3, 31, v2
	s_delay_alu instid0(VALU_DEP_2) | instskip(NEXT) | instid1(VALU_DEP_2)
	v_add_co_u32 v0, vcc_lo, s8, v0
	v_lshlrev_b64 v[2:3], 2, v[2:3]
	s_delay_alu instid0(VALU_DEP_4) | instskip(NEXT) | instid1(VALU_DEP_2)
	v_add_co_ci_u32_e32 v1, vcc_lo, s9, v1, vcc_lo
	v_add_co_u32 v2, vcc_lo, s6, v2
	s_delay_alu instid0(VALU_DEP_3)
	v_add_co_ci_u32_e32 v3, vcc_lo, s7, v3, vcc_lo
	global_load_b64 v[18:19], v[0:1], off
	global_load_b32 v0, v[2:3], off
	s_waitcnt vmcnt(1)
	v_lshrrev_b32_e32 v25, 16, v18
	s_waitcnt vmcnt(0)
	v_and_b32_e32 v26, 0xff, v0
	v_bfe_u32 v27, v0, 8, 8
	v_bfe_u32 v29, v0, 16, 8
	v_lshrrev_b32_e32 v30, 24, v0
	v_lshrrev_b32_e32 v28, 16, v19
	s_branch .LBB30_13
.LBB30_16:
	v_mad_u64_u32 v[0:1], null, s12, s16, v[16:17]
	v_perm_b32 v5, v23, v22, 0x5040100
	s_mov_b32 s0, 0
	s_delay_alu instid0(VALU_DEP_2) | instskip(NEXT) | instid1(VALU_DEP_1)
	v_ashrrev_i32_e32 v1, 31, v0
	v_lshlrev_b64 v[1:2], 1, v[0:1]
	s_delay_alu instid0(VALU_DEP_1) | instskip(NEXT) | instid1(VALU_DEP_2)
	v_add_co_u32 v1, vcc_lo, s10, v1
	v_add_co_ci_u32_e32 v2, vcc_lo, s11, v2, vcc_lo
	global_load_b32 v4, v[1:2], off
.LBB30_17:                              ; =>This Inner Loop Header: Depth=1
	s_waitcnt vmcnt(0)
	v_pk_add_f16 v3, v5, v4
	global_atomic_cmpswap_b32 v3, v[1:2], v[3:4], off glc
	s_waitcnt vmcnt(0)
	v_cmp_eq_u32_e32 vcc_lo, v4, v3
	v_mov_b32_e32 v4, v3
	s_or_b32 s0, vcc_lo, s0
	s_delay_alu instid0(SALU_CYCLE_1)
	s_and_not1_b32 exec_lo, exec_lo, s0
	s_cbranch_execnz .LBB30_17
; %bb.18:
	s_or_b32 exec_lo, exec_lo, s0
	global_load_b32 v4, v[1:2], off offset:4
	v_perm_b32 v5, v14, v15, 0x5040100
	s_mov_b32 s0, 0
.LBB30_19:                              ; =>This Inner Loop Header: Depth=1
	s_waitcnt vmcnt(0)
	s_delay_alu instid0(VALU_DEP_1)
	v_pk_add_f16 v3, v5, v4
	global_atomic_cmpswap_b32 v3, v[1:2], v[3:4], off offset:4 glc
	s_waitcnt vmcnt(0)
	v_cmp_eq_u32_e32 vcc_lo, v4, v3
	v_mov_b32_e32 v4, v3
	s_or_b32 s0, vcc_lo, s0
	s_delay_alu instid0(SALU_CYCLE_1)
	s_and_not1_b32 exec_lo, exec_lo, s0
	s_cbranch_execnz .LBB30_19
; %bb.20:
	s_or_b32 exec_lo, exec_lo, s0
	v_add_nc_u32_e32 v0, s16, v0
	v_perm_b32 v5, v38, v39, 0x5040100
	s_mov_b32 s0, 0
	s_delay_alu instid0(VALU_DEP_2) | instskip(NEXT) | instid1(VALU_DEP_1)
	v_ashrrev_i32_e32 v1, 31, v0
	v_lshlrev_b64 v[1:2], 1, v[0:1]
	s_delay_alu instid0(VALU_DEP_1) | instskip(NEXT) | instid1(VALU_DEP_2)
	v_add_co_u32 v1, vcc_lo, s10, v1
	v_add_co_ci_u32_e32 v2, vcc_lo, s11, v2, vcc_lo
	global_load_b32 v4, v[1:2], off
.LBB30_21:                              ; =>This Inner Loop Header: Depth=1
	s_waitcnt vmcnt(0)
	v_pk_add_f16 v3, v5, v4
	global_atomic_cmpswap_b32 v3, v[1:2], v[3:4], off glc
	s_waitcnt vmcnt(0)
	v_cmp_eq_u32_e32 vcc_lo, v4, v3
	v_mov_b32_e32 v4, v3
	s_or_b32 s0, vcc_lo, s0
	s_delay_alu instid0(SALU_CYCLE_1)
	s_and_not1_b32 exec_lo, exec_lo, s0
	s_cbranch_execnz .LBB30_21
; %bb.22:
	s_or_b32 exec_lo, exec_lo, s0
	global_load_b32 v4, v[1:2], off offset:4
	v_perm_b32 v5, v36, v37, 0x5040100
	s_mov_b32 s0, 0
.LBB30_23:                              ; =>This Inner Loop Header: Depth=1
	s_waitcnt vmcnt(0)
	s_delay_alu instid0(VALU_DEP_1)
	v_pk_add_f16 v3, v5, v4
	global_atomic_cmpswap_b32 v3, v[1:2], v[3:4], off offset:4 glc
	s_waitcnt vmcnt(0)
	v_cmp_eq_u32_e32 vcc_lo, v4, v3
	v_mov_b32_e32 v4, v3
	s_or_b32 s0, vcc_lo, s0
	s_delay_alu instid0(SALU_CYCLE_1)
	s_and_not1_b32 exec_lo, exec_lo, s0
	s_cbranch_execnz .LBB30_23
; %bb.24:
	s_or_b32 exec_lo, exec_lo, s0
	v_add_nc_u32_e32 v0, s16, v0
	;; [unrolled: 40-line block ×3, first 2 shown]
	v_perm_b32 v4, v46, v45, 0x5040100
	s_mov_b32 s0, 0
	s_delay_alu instid0(VALU_DEP_2) | instskip(NEXT) | instid1(VALU_DEP_1)
	v_ashrrev_i32_e32 v1, 31, v0
	v_lshlrev_b64 v[0:1], 1, v[0:1]
	s_delay_alu instid0(VALU_DEP_1) | instskip(NEXT) | instid1(VALU_DEP_2)
	v_add_co_u32 v0, vcc_lo, s10, v0
	v_add_co_ci_u32_e32 v1, vcc_lo, s11, v1, vcc_lo
	global_load_b32 v3, v[0:1], off
.LBB30_29:                              ; =>This Inner Loop Header: Depth=1
	s_waitcnt vmcnt(0)
	v_pk_add_f16 v2, v4, v3
	global_atomic_cmpswap_b32 v2, v[0:1], v[2:3], off glc
	s_waitcnt vmcnt(0)
	v_cmp_eq_u32_e32 vcc_lo, v3, v2
	v_mov_b32_e32 v3, v2
	s_or_b32 s0, vcc_lo, s0
	s_delay_alu instid0(SALU_CYCLE_1)
	s_and_not1_b32 exec_lo, exec_lo, s0
	s_cbranch_execnz .LBB30_29
; %bb.30:
	s_or_b32 exec_lo, exec_lo, s0
	global_load_b32 v3, v[0:1], off offset:4
	v_perm_b32 v4, v47, v44, 0x5040100
	s_mov_b32 s0, 0
.LBB30_31:                              ; =>This Inner Loop Header: Depth=1
	s_waitcnt vmcnt(0)
	s_delay_alu instid0(VALU_DEP_1)
	v_pk_add_f16 v2, v4, v3
	global_atomic_cmpswap_b32 v2, v[0:1], v[2:3], off offset:4 glc
	s_waitcnt vmcnt(0)
	v_cmp_eq_u32_e32 vcc_lo, v3, v2
	v_mov_b32_e32 v3, v2
	s_or_b32 s0, vcc_lo, s0
	s_delay_alu instid0(SALU_CYCLE_1)
	s_and_not1_b32 exec_lo, exec_lo, s0
	s_cbranch_execnz .LBB30_31
.LBB30_32:
	s_endpgm
	.section	.rodata,"a",@progbits
	.p2align	6, 0x0
	.amdhsa_kernel _ZN4vllm4gptq33gemm_half_q_half_gptq_8bit_kernelILb1ELi4EEEvPK6__halfPKjS6_S4_PS2_iiiibPKi
		.amdhsa_group_segment_fixed_size 1024
		.amdhsa_private_segment_fixed_size 0
		.amdhsa_kernarg_size 72
		.amdhsa_user_sgpr_count 13
		.amdhsa_user_sgpr_dispatch_ptr 0
		.amdhsa_user_sgpr_queue_ptr 0
		.amdhsa_user_sgpr_kernarg_segment_ptr 1
		.amdhsa_user_sgpr_dispatch_id 0
		.amdhsa_user_sgpr_private_segment_size 0
		.amdhsa_wavefront_size32 1
		.amdhsa_uses_dynamic_stack 0
		.amdhsa_enable_private_segment 0
		.amdhsa_system_sgpr_workgroup_id_x 1
		.amdhsa_system_sgpr_workgroup_id_y 1
		.amdhsa_system_sgpr_workgroup_id_z 1
		.amdhsa_system_sgpr_workgroup_info 0
		.amdhsa_system_vgpr_workitem_id 0
		.amdhsa_next_free_vgpr 92
		.amdhsa_next_free_sgpr 24
		.amdhsa_reserve_vcc 1
		.amdhsa_float_round_mode_32 0
		.amdhsa_float_round_mode_16_64 0
		.amdhsa_float_denorm_mode_32 3
		.amdhsa_float_denorm_mode_16_64 3
		.amdhsa_dx10_clamp 1
		.amdhsa_ieee_mode 1
		.amdhsa_fp16_overflow 0
		.amdhsa_workgroup_processor_mode 1
		.amdhsa_memory_ordered 1
		.amdhsa_forward_progress 0
		.amdhsa_shared_vgpr_count 0
		.amdhsa_exception_fp_ieee_invalid_op 0
		.amdhsa_exception_fp_denorm_src 0
		.amdhsa_exception_fp_ieee_div_zero 0
		.amdhsa_exception_fp_ieee_overflow 0
		.amdhsa_exception_fp_ieee_underflow 0
		.amdhsa_exception_fp_ieee_inexact 0
		.amdhsa_exception_int_div_zero 0
	.end_amdhsa_kernel
	.section	.text._ZN4vllm4gptq33gemm_half_q_half_gptq_8bit_kernelILb1ELi4EEEvPK6__halfPKjS6_S4_PS2_iiiibPKi,"axG",@progbits,_ZN4vllm4gptq33gemm_half_q_half_gptq_8bit_kernelILb1ELi4EEEvPK6__halfPKjS6_S4_PS2_iiiibPKi,comdat
.Lfunc_end30:
	.size	_ZN4vllm4gptq33gemm_half_q_half_gptq_8bit_kernelILb1ELi4EEEvPK6__halfPKjS6_S4_PS2_iiiibPKi, .Lfunc_end30-_ZN4vllm4gptq33gemm_half_q_half_gptq_8bit_kernelILb1ELi4EEEvPK6__halfPKjS6_S4_PS2_iiiibPKi
                                        ; -- End function
	.section	.AMDGPU.csdata,"",@progbits
; Kernel info:
; codeLenInByte = 11604
; NumSgprs: 26
; NumVgprs: 92
; ScratchSize: 0
; MemoryBound: 0
; FloatMode: 240
; IeeeMode: 1
; LDSByteSize: 1024 bytes/workgroup (compile time only)
; SGPRBlocks: 3
; VGPRBlocks: 11
; NumSGPRsForWavesPerEU: 26
; NumVGPRsForWavesPerEU: 92
; Occupancy: 16
; WaveLimiterHint : 0
; COMPUTE_PGM_RSRC2:SCRATCH_EN: 0
; COMPUTE_PGM_RSRC2:USER_SGPR: 13
; COMPUTE_PGM_RSRC2:TRAP_HANDLER: 0
; COMPUTE_PGM_RSRC2:TGID_X_EN: 1
; COMPUTE_PGM_RSRC2:TGID_Y_EN: 1
; COMPUTE_PGM_RSRC2:TGID_Z_EN: 1
; COMPUTE_PGM_RSRC2:TIDIG_COMP_CNT: 0
	.section	.text._ZN4vllm4gptq33gemm_half_q_half_gptq_2bit_kernelILb1ELi5EEEvPK6__halfPKjS6_S4_PS2_iiiibPKi,"axG",@progbits,_ZN4vllm4gptq33gemm_half_q_half_gptq_2bit_kernelILb1ELi5EEEvPK6__halfPKjS6_S4_PS2_iiiibPKi,comdat
	.protected	_ZN4vllm4gptq33gemm_half_q_half_gptq_2bit_kernelILb1ELi5EEEvPK6__halfPKjS6_S4_PS2_iiiibPKi ; -- Begin function _ZN4vllm4gptq33gemm_half_q_half_gptq_2bit_kernelILb1ELi5EEEvPK6__halfPKjS6_S4_PS2_iiiibPKi
	.globl	_ZN4vllm4gptq33gemm_half_q_half_gptq_2bit_kernelILb1ELi5EEEvPK6__halfPKjS6_S4_PS2_iiiibPKi
	.p2align	8
	.type	_ZN4vllm4gptq33gemm_half_q_half_gptq_2bit_kernelILb1ELi5EEEvPK6__halfPKjS6_S4_PS2_iiiibPKi,@function
_ZN4vllm4gptq33gemm_half_q_half_gptq_2bit_kernelILb1ELi5EEEvPK6__halfPKjS6_S4_PS2_iiiibPKi: ; @_ZN4vllm4gptq33gemm_half_q_half_gptq_2bit_kernelILb1ELi5EEEvPK6__halfPKjS6_S4_PS2_iiiibPKi
; %bb.0:
	s_load_b128 s[16:19], s[0:1], 0x2c
	s_lshl_b32 s15, s15, 7
	s_load_b256 s[4:11], s[0:1], 0x8
	s_add_i32 s2, s15, 0x80
	s_mul_i32 s12, s14, 5
	v_cvt_f64_u32_e32 v[1:2], s2
	s_mov_b32 s14, exec_lo
	s_waitcnt lgkmcnt(0)
	v_cvt_f64_i32_e32 v[3:4], s17
	s_delay_alu instid0(VALU_DEP_1) | instskip(NEXT) | instid1(VALU_DEP_1)
	v_min_f64 v[1:2], v[1:2], v[3:4]
	v_cvt_i32_f64_e32 v2, v[1:2]
	v_add_nc_u32_e32 v1, s15, v0
	s_delay_alu instid0(VALU_DEP_2) | instskip(NEXT) | instid1(VALU_DEP_2)
	v_readfirstlane_b32 s20, v2
	v_cmpx_lt_u32_e64 v1, v2
	s_cbranch_execz .LBB31_12
; %bb.1:
	s_clause 0x1
	s_load_b64 s[2:3], s[0:1], 0x40
	s_load_b64 s[0:1], s[0:1], 0x0
	v_mov_b32_e32 v2, 0
	s_delay_alu instid0(VALU_DEP_1) | instskip(SKIP_2) | instid1(VALU_DEP_2)
	v_lshlrev_b64 v[3:4], 2, v[1:2]
	v_dual_mov_b32 v6, v2 :: v_dual_mov_b32 v5, v1
	s_waitcnt lgkmcnt(0)
	v_add_co_u32 v3, vcc_lo, s2, v3
	s_delay_alu instid0(VALU_DEP_3)
	v_add_co_ci_u32_e32 v4, vcc_lo, s3, v4, vcc_lo
	s_cmp_lg_u64 s[2:3], 0
	s_cselect_b32 s21, -1, 0
	s_cmp_eq_u64 s[2:3], 0
	s_cbranch_scc1 .LBB31_3
; %bb.2:
	global_load_b32 v5, v[3:4], off
	s_waitcnt vmcnt(0)
	v_ashrrev_i32_e32 v6, 31, v5
.LBB31_3:
	s_mul_i32 s2, s12, s17
	s_delay_alu instid0(VALU_DEP_1)
	v_lshlrev_b64 v[5:6], 1, v[5:6]
	s_ashr_i32 s3, s2, 31
	v_lshlrev_b32_e32 v7, 1, v0
	s_lshl_b64 s[22:23], s[2:3], 1
	v_cndmask_b32_e64 v8, 0, 1, s21
	s_add_u32 s3, s0, s22
	s_addc_u32 s22, s1, s23
	v_add_co_u32 v5, vcc_lo, s3, v5
	v_add_co_ci_u32_e32 v6, vcc_lo, s22, v6, vcc_lo
	s_and_not1_b32 vcc_lo, exec_lo, s21
	global_load_u16 v9, v[5:6], off
	v_dual_mov_b32 v6, v2 :: v_dual_mov_b32 v5, v1
	s_waitcnt vmcnt(0)
	ds_store_b16 v7, v9
	s_cbranch_vccnz .LBB31_5
; %bb.4:
	global_load_b32 v5, v[3:4], off
	s_waitcnt vmcnt(0)
	v_ashrrev_i32_e32 v6, 31, v5
.LBB31_5:
	s_add_i32 s2, s2, s17
	s_delay_alu instid0(VALU_DEP_1) | instskip(SKIP_1) | instid1(SALU_CYCLE_1)
	v_lshlrev_b64 v[5:6], 1, v[5:6]
	s_ashr_i32 s3, s2, 31
	s_lshl_b64 s[22:23], s[2:3], 1
	s_delay_alu instid0(SALU_CYCLE_1) | instskip(SKIP_1) | instid1(VALU_DEP_1)
	s_add_u32 s3, s0, s22
	s_addc_u32 s21, s1, s23
	v_add_co_u32 v5, vcc_lo, s3, v5
	v_add_co_ci_u32_e32 v6, vcc_lo, s21, v6, vcc_lo
	v_cmp_ne_u32_e32 vcc_lo, 1, v8
	global_load_u16 v9, v[5:6], off
	v_dual_mov_b32 v6, v2 :: v_dual_mov_b32 v5, v1
	s_waitcnt vmcnt(0)
	ds_store_b16 v7, v9 offset:256
	s_cbranch_vccnz .LBB31_7
; %bb.6:
	global_load_b32 v5, v[3:4], off
	s_waitcnt vmcnt(0)
	v_ashrrev_i32_e32 v6, 31, v5
.LBB31_7:
	s_add_i32 s2, s2, s17
	s_delay_alu instid0(VALU_DEP_1) | instskip(SKIP_1) | instid1(SALU_CYCLE_1)
	v_lshlrev_b64 v[5:6], 1, v[5:6]
	s_ashr_i32 s3, s2, 31
	s_lshl_b64 s[22:23], s[2:3], 1
	s_delay_alu instid0(SALU_CYCLE_1) | instskip(SKIP_1) | instid1(VALU_DEP_1)
	s_add_u32 s3, s0, s22
	s_addc_u32 s21, s1, s23
	v_add_co_u32 v5, vcc_lo, s3, v5
	v_add_co_ci_u32_e32 v6, vcc_lo, s21, v6, vcc_lo
	v_cmp_ne_u32_e32 vcc_lo, 1, v8
	global_load_u16 v9, v[5:6], off
	v_dual_mov_b32 v6, v2 :: v_dual_mov_b32 v5, v1
	s_waitcnt vmcnt(0)
	ds_store_b16 v7, v9 offset:512
	s_cbranch_vccnz .LBB31_9
; %bb.8:
	global_load_b32 v5, v[3:4], off
	s_waitcnt vmcnt(0)
	v_ashrrev_i32_e32 v6, 31, v5
.LBB31_9:
	s_add_i32 s2, s2, s17
	s_delay_alu instid0(VALU_DEP_1) | instskip(SKIP_1) | instid1(SALU_CYCLE_1)
	v_lshlrev_b64 v[5:6], 1, v[5:6]
	s_ashr_i32 s3, s2, 31
	s_lshl_b64 s[22:23], s[2:3], 1
	s_delay_alu instid0(SALU_CYCLE_1) | instskip(SKIP_1) | instid1(VALU_DEP_1)
	s_add_u32 s3, s0, s22
	s_addc_u32 s21, s1, s23
	v_add_co_u32 v5, vcc_lo, s3, v5
	v_add_co_ci_u32_e32 v6, vcc_lo, s21, v6, vcc_lo
	v_cmp_ne_u32_e32 vcc_lo, 1, v8
	global_load_u16 v5, v[5:6], off
	s_waitcnt vmcnt(0)
	ds_store_b16 v7, v5 offset:768
	s_cbranch_vccnz .LBB31_11
; %bb.10:
	global_load_b32 v1, v[3:4], off
	s_waitcnt vmcnt(0)
	v_ashrrev_i32_e32 v2, 31, v1
.LBB31_11:
	s_add_i32 s2, s2, s17
	s_delay_alu instid0(VALU_DEP_1) | instskip(SKIP_1) | instid1(SALU_CYCLE_1)
	v_lshlrev_b64 v[1:2], 1, v[1:2]
	s_ashr_i32 s3, s2, 31
	s_lshl_b64 s[2:3], s[2:3], 1
	s_delay_alu instid0(SALU_CYCLE_1) | instskip(SKIP_1) | instid1(VALU_DEP_1)
	s_add_u32 s0, s0, s2
	s_addc_u32 s1, s1, s3
	v_add_co_u32 v1, vcc_lo, s0, v1
	v_add_co_ci_u32_e32 v2, vcc_lo, s1, v2, vcc_lo
	global_load_u16 v1, v[1:2], off
	s_waitcnt vmcnt(0)
	ds_store_b16 v7, v1 offset:1024
.LBB31_12:
	s_or_b32 exec_lo, exec_lo, s14
	v_lshlrev_b32_e32 v1, 2, v0
	s_mov_b32 s0, exec_lo
	s_delay_alu instid0(VALU_DEP_1) | instskip(NEXT) | instid1(VALU_DEP_1)
	v_lshl_add_u32 v1, s13, 9, v1
	v_cmpx_gt_i32_e64 s16, v1
	s_cbranch_execz .LBB31_38
; %bb.13:
	s_abs_i32 s0, s18
	v_dual_mov_b32 v15, 0 :: v_dual_mov_b32 v14, 0
	v_cvt_f32_u32_e32 v2, s0
	v_dual_mov_b32 v13, 0 :: v_dual_mov_b32 v12, 0
	v_dual_mov_b32 v11, 0 :: v_dual_mov_b32 v10, 0
	s_delay_alu instid0(VALU_DEP_3)
	v_rcp_iflag_f32_e32 v2, v2
	v_mov_b32_e32 v17, 0
	v_dual_mov_b32 v9, 0 :: v_dual_mov_b32 v8, 0
	v_mov_b32_e32 v7, 0
	s_cmp_ge_i32 s15, s20
	s_mov_b32 s2, 0
	s_waitcnt lgkmcnt(0)
	s_barrier
	buffer_gl0_inv
	v_mul_f32_e32 v2, 0x4f7ffffe, v2
	s_delay_alu instid0(VALU_DEP_1) | instskip(NEXT) | instid1(VALU_DEP_1)
	v_cvt_u32_f32_e32 v2, v2
	v_readfirstlane_b32 s1, v2
	s_cbranch_scc1 .LBB31_18
; %bb.14:
	s_sub_i32 s3, 0, s0
	s_abs_i32 s13, s17
	s_delay_alu instid0(VALU_DEP_1)
	s_mul_i32 s3, s3, s1
	s_ashr_i32 s14, s18, 31
	s_mul_hi_u32 s3, s1, s3
	v_dual_mov_b32 v7, 0 :: v_dual_lshlrev_b32 v18, 3, v0
	s_add_i32 s1, s1, s3
	s_ashr_i32 s3, s17, 31
	s_mul_hi_u32 s1, s13, s1
	s_xor_b32 s3, s3, s14
	s_mul_i32 s17, s1, s0
	s_add_i32 s14, s1, 1
	s_sub_i32 s13, s13, s17
	v_dual_mov_b32 v13, 0 :: v_dual_and_b32 v0, 24, v18
	s_sub_i32 s17, s13, s0
	s_cmp_ge_u32 s13, s0
	v_dual_mov_b32 v9, 0 :: v_dual_mov_b32 v12, 0
	s_cselect_b32 s1, s14, s1
	s_cselect_b32 s13, s17, s13
	s_add_i32 s14, s1, 1
	s_cmp_ge_u32 s13, s0
	v_dual_mov_b32 v11, 0 :: v_dual_mov_b32 v14, 0
	s_cselect_b32 s0, s14, s1
	v_mov_b32_e32 v15, 0
	s_xor_b32 s0, s0, s3
	v_mov_b32_e32 v10, 0
	s_sub_i32 s3, s0, s3
	s_bitcmp1_b32 s19, 0
	v_cvt_f32_u32_e32 v2, s3
	s_cselect_b32 s1, -1, 0
	s_sub_i32 s13, 0, s3
	s_xor_b32 s1, s1, -1
	v_mov_b32_e32 v8, 0
	v_rcp_iflag_f32_e32 v2, v2
	s_waitcnt_depctr 0xfff
	v_mul_f32_e32 v2, 0x4f7ffffe, v2
	s_delay_alu instid0(VALU_DEP_1) | instskip(NEXT) | instid1(VALU_DEP_1)
	v_cvt_u32_f32_e32 v2, v2
	v_readfirstlane_b32 s0, v2
	v_ashrrev_i32_e32 v2, 31, v1
	s_delay_alu instid0(VALU_DEP_2) | instskip(NEXT) | instid1(VALU_DEP_1)
	s_mul_i32 s13, s13, s0
	v_lshrrev_b32_e32 v3, 28, v2
	s_mul_hi_u32 s13, s0, s13
	s_delay_alu instid0(SALU_CYCLE_1) | instskip(NEXT) | instid1(VALU_DEP_1)
	s_add_i32 s0, s0, s13
	v_add_nc_u32_e32 v3, v1, v3
	s_mul_hi_u32 s0, s15, s0
	s_delay_alu instid0(SALU_CYCLE_1)
	s_mul_i32 s13, s0, s3
	s_add_i32 s14, s0, 1
	s_sub_i32 s13, s15, s13
	v_ashrrev_i32_e32 v16, 4, v3
	s_sub_i32 s17, s13, s3
	s_cmp_ge_u32 s13, s3
	s_cselect_b32 s0, s14, s0
	s_cselect_b32 s13, s17, s13
	s_add_i32 s14, s0, 1
	s_cmp_ge_u32 s13, s3
	s_cselect_b32 s13, s14, s0
	s_add_i32 s18, s3, s15
	s_mul_i32 s0, s13, s16
	s_ashr_i32 s17, s16, 31
	s_ashr_i32 s14, s0, 31
	v_add_nc_u32_e32 v5, s0, v1
	s_lshr_b32 s14, s14, 28
	s_delay_alu instid0(SALU_CYCLE_1)
	s_add_i32 s14, s0, s14
	s_lshr_b32 s0, s15, 4
	s_ashr_i32 s14, s14, 4
	v_ashrrev_i32_e32 v6, 31, v5
	v_add_nc_u32_e32 v3, s14, v16
	s_mul_i32 s0, s0, s16
	s_mov_b32 s14, 0x30003
	s_delay_alu instid0(VALU_DEP_1) | instskip(NEXT) | instid1(VALU_DEP_1)
	v_ashrrev_i32_e32 v4, 31, v3
	v_lshlrev_b64 v[3:4], 2, v[3:4]
	s_delay_alu instid0(VALU_DEP_1) | instskip(NEXT) | instid1(VALU_DEP_2)
	v_add_co_u32 v3, vcc_lo, s6, v3
	v_add_co_ci_u32_e32 v4, vcc_lo, s7, v4, vcc_lo
	global_load_b32 v17, v[3:4], off
	v_lshlrev_b64 v[3:4], 1, v[5:6]
	v_lshlrev_b64 v[5:6], 2, v[1:2]
	v_cndmask_b32_e64 v2, 0, 1, s1
	s_ashr_i32 s1, s0, 31
	s_delay_alu instid0(SALU_CYCLE_1) | instskip(NEXT) | instid1(VALU_DEP_3)
	s_lshl_b64 s[0:1], s[0:1], 2
	v_add_co_u32 v3, vcc_lo, s8, v3
	v_add_co_ci_u32_e32 v4, vcc_lo, s9, v4, vcc_lo
	s_add_u32 s4, s4, s0
	s_addc_u32 s5, s5, s1
	v_add_co_u32 v5, vcc_lo, s4, v5
	global_load_b64 v[3:4], v[3:4], off
	v_add_co_ci_u32_e32 v6, vcc_lo, s5, v6, vcc_lo
	v_add_co_u32 v5, vcc_lo, v5, 8
	s_lshl_b64 s[0:1], s[16:17], 2
	s_delay_alu instid0(VALU_DEP_2)
	v_add_co_ci_u32_e32 v6, vcc_lo, 0, v6, vcc_lo
	s_mov_b32 s4, 0xc000c
	s_mov_b32 s5, 0x300030
	;; [unrolled: 1-line block ×3, first 2 shown]
	s_waitcnt vmcnt(1)
	v_lshrrev_b32_e32 v21, v18, v17
	v_bfe_u32 v18, v17, v0, 2
	v_mov_b32_e32 v17, 0
	s_delay_alu instid0(VALU_DEP_3)
	v_bfe_u32 v19, v21, 2, 2
	v_bfe_u32 v20, v21, 4, 2
	;; [unrolled: 1-line block ×3, first 2 shown]
	s_branch .LBB31_16
.LBB31_15:                              ;   in Loop: Header=BB31_16 Depth=1
	global_load_b128 v[29:32], v[5:6], off offset:-8
	v_add_nc_u32_e32 v22, v18, v2
	v_mov_b32_e32 v62, s2
	s_add_i32 s19, s2, 0x400
	v_add_co_u32 v5, vcc_lo, v5, s0
	s_delay_alu instid0(VALU_DEP_3) | instskip(SKIP_3) | instid1(VALU_DEP_2)
	v_or_b32_e32 v23, 0xffffe400, v22
	v_cvt_f32_i32_e32 v22, v22
	v_add_co_ci_u32_e32 v6, vcc_lo, s1, v6, vcc_lo
	s_add_i32 s15, s15, 16
	v_cvt_f16_f32_e32 v22, v22
	s_delay_alu instid0(VALU_DEP_1) | instskip(SKIP_3) | instid1(VALU_DEP_1)
	v_sub_f16_e32 v24, 0xdc00, v22
	v_sub_f16_e32 v25, 0xd400, v22
	;; [unrolled: 1-line block ×3, first 2 shown]
	v_add_nc_u32_e32 v22, v19, v2
	v_or_b32_e32 v27, 0xffffe400, v22
	v_cvt_f32_i32_e32 v22, v22
	s_delay_alu instid0(VALU_DEP_1) | instskip(NEXT) | instid1(VALU_DEP_1)
	v_cvt_f16_f32_e32 v22, v22
	v_sub_f16_e32 v28, 0xdc00, v22
	v_sub_f16_e32 v33, 0xd400, v22
	;; [unrolled: 1-line block ×3, first 2 shown]
	v_add_nc_u32_e32 v22, v20, v2
	s_delay_alu instid0(VALU_DEP_1) | instskip(SKIP_1) | instid1(VALU_DEP_1)
	v_or_b32_e32 v35, 0xffffe400, v22
	v_cvt_f32_i32_e32 v22, v22
	v_cvt_f16_f32_e32 v22, v22
	s_delay_alu instid0(VALU_DEP_1) | instskip(SKIP_3) | instid1(VALU_DEP_1)
	v_sub_f16_e32 v36, 0xdc00, v22
	v_sub_f16_e32 v37, 0xd400, v22
	;; [unrolled: 1-line block ×3, first 2 shown]
	v_add_nc_u32_e32 v22, v21, v2
	v_or_b32_e32 v39, 0xffffe400, v22
	v_cvt_f32_i32_e32 v22, v22
	s_delay_alu instid0(VALU_DEP_1) | instskip(NEXT) | instid1(VALU_DEP_1)
	v_cvt_f16_f32_e32 v22, v22
	v_sub_f16_e32 v54, 0xdc00, v22
	v_sub_f16_e32 v55, 0xd400, v22
	;; [unrolled: 1-line block ×3, first 2 shown]
	s_waitcnt vmcnt(0)
	v_and_or_b32 v22, v29, s14, 0x64006400
	v_and_or_b32 v40, v29, s4, 0x64006400
	;; [unrolled: 1-line block ×4, first 2 shown]
	v_lshrrev_b32_e32 v29, 8, v29
	v_pk_add_f16 v53, v23, v22 op_sel_hi:[0,1]
	v_pk_fma_f16 v52, 0x3400, v40, v24 op_sel_hi:[0,1,0]
	v_pk_fma_f16 v51, 0x2c00, v41, v25 op_sel_hi:[0,1,0]
	;; [unrolled: 1-line block ×3, first 2 shown]
	v_and_or_b32 v43, v29, s14, 0x64006400
	v_and_or_b32 v44, v29, s4, 0x64006400
	;; [unrolled: 1-line block ×4, first 2 shown]
	s_delay_alu instid0(VALU_DEP_4) | instskip(NEXT) | instid1(VALU_DEP_4)
	v_pk_add_f16 v49, v23, v43 op_sel_hi:[0,1]
	v_pk_fma_f16 v48, 0x3400, v44, v24 op_sel_hi:[0,1,0]
	s_delay_alu instid0(VALU_DEP_4) | instskip(NEXT) | instid1(VALU_DEP_4)
	v_pk_fma_f16 v22, 0x2c00, v45, v25 op_sel_hi:[0,1,0]
	v_pk_fma_f16 v23, 0x2400, v29, v26 op_sel_hi:[0,1,0]
	v_and_or_b32 v24, v30, s14, 0x64006400
	v_and_or_b32 v25, v30, s4, 0x64006400
	;; [unrolled: 1-line block ×4, first 2 shown]
	v_lshrrev_b32_e32 v30, 8, v30
	v_pk_add_f16 v40, v27, v24 op_sel_hi:[0,1]
	v_pk_fma_f16 v41, 0x3400, v25, v28 op_sel_hi:[0,1,0]
	v_pk_fma_f16 v42, 0x2c00, v26, v33 op_sel_hi:[0,1,0]
	;; [unrolled: 1-line block ×3, first 2 shown]
	v_and_or_b32 v45, v30, s4, 0x64006400
	v_and_or_b32 v44, v30, s14, 0x64006400
	;; [unrolled: 1-line block ×5, first 2 shown]
	v_pk_fma_f16 v45, 0x3400, v45, v28 op_sel_hi:[0,1,0]
	v_lshrrev_b32_e32 v28, 8, v31
	v_pk_add_f16 v44, v27, v44 op_sel_hi:[0,1]
	v_pk_fma_f16 v46, 0x2c00, v46, v33 op_sel_hi:[0,1,0]
	v_pk_fma_f16 v47, 0x2400, v30, v34 op_sel_hi:[0,1,0]
	v_and_or_b32 v25, v31, s4, 0x64006400
	v_and_or_b32 v26, v31, s5, 0x64006400
	v_and_or_b32 v27, v31, s17, 0x64006400
	v_and_or_b32 v29, v28, s14, 0x64006400
	v_and_or_b32 v30, v28, s4, 0x64006400
	v_and_or_b32 v31, v28, s5, 0x64006400
	v_and_or_b32 v33, v28, s17, 0x64006400
	v_pk_add_f16 v24, v35, v24 op_sel_hi:[0,1]
	v_pk_fma_f16 v25, 0x3400, v25, v36 op_sel_hi:[0,1,0]
	v_pk_add_f16 v28, v35, v29 op_sel_hi:[0,1]
	v_pk_fma_f16 v29, 0x3400, v30, v36 op_sel_hi:[0,1,0]
	v_pk_fma_f16 v30, 0x2c00, v31, v37 op_sel_hi:[0,1,0]
	;; [unrolled: 1-line block ×3, first 2 shown]
	v_and_or_b32 v33, v32, s14, 0x64006400
	v_and_or_b32 v34, v32, s4, 0x64006400
	;; [unrolled: 1-line block ×4, first 2 shown]
	v_lshrrev_b32_e32 v32, 8, v32
	v_pk_fma_f16 v26, 0x2c00, v26, v37 op_sel_hi:[0,1,0]
	v_pk_fma_f16 v27, 0x2400, v27, v38 op_sel_hi:[0,1,0]
	s_delay_alu instid0(VALU_DEP_3)
	v_and_or_b32 v37, v32, s14, 0x64006400
	v_and_or_b32 v38, v32, s4, 0x64006400
	;; [unrolled: 1-line block ×4, first 2 shown]
	v_pk_add_f16 v32, v39, v33 op_sel_hi:[0,1]
	v_pk_fma_f16 v33, 0x3400, v34, v54 op_sel_hi:[0,1,0]
	v_pk_fma_f16 v34, 0x2c00, v35, v55 op_sel_hi:[0,1,0]
	v_pk_fma_f16 v35, 0x2400, v36, v56 op_sel_hi:[0,1,0]
	v_pk_add_f16 v36, v39, v37 op_sel_hi:[0,1]
	v_pk_fma_f16 v37, 0x3400, v38, v54 op_sel_hi:[0,1,0]
	v_pk_fma_f16 v38, 0x2c00, v57, v55 op_sel_hi:[0,1,0]
	ds_load_2addr_b32 v[54:55], v62 offset1:1
	v_pk_fma_f16 v39, 0x2400, v58, v56 op_sel_hi:[0,1,0]
	s_waitcnt lgkmcnt(0)
	v_pk_fma_f16 v56, v53, v54, 0
	v_pk_fma_f16 v64, v40, v54, 0
	s_delay_alu instid0(VALU_DEP_2) | instskip(SKIP_4) | instid1(VALU_DEP_2)
	v_pk_fma_f16 v58, v52, v55, v56
	ds_load_2addr_b32 v[56:57], v62 offset0:2 offset1:3
	v_pk_fma_f16 v64, v41, v55, v64
	s_waitcnt lgkmcnt(0)
	v_pk_fma_f16 v58, v51, v56, v58
	v_pk_fma_f16 v64, v42, v56, v64
	s_delay_alu instid0(VALU_DEP_2) | instskip(SKIP_4) | instid1(VALU_DEP_2)
	v_pk_fma_f16 v60, v50, v57, v58
	ds_load_2addr_b32 v[58:59], v62 offset0:4 offset1:5
	v_pk_fma_f16 v64, v43, v57, v64
	s_waitcnt lgkmcnt(0)
	v_pk_fma_f16 v60, v49, v58, v60
	v_pk_fma_f16 v64, v44, v58, v64
	s_delay_alu instid0(VALU_DEP_2) | instskip(SKIP_4) | instid1(VALU_DEP_2)
	v_pk_fma_f16 v63, v48, v59, v60
	ds_load_2addr_b32 v[60:61], v62 offset0:6 offset1:7
	v_pk_fma_f16 v64, v45, v59, v64
	s_waitcnt lgkmcnt(0)
	v_pk_fma_f16 v63, v22, v60, v63
	v_pk_fma_f16 v64, v46, v60, v64
	s_delay_alu instid0(VALU_DEP_2) | instskip(NEXT) | instid1(VALU_DEP_2)
	v_pk_fma_f16 v63, v23, v61, v63
	v_pk_fma_f16 v64, v47, v61, v64
	s_delay_alu instid0(VALU_DEP_1) | instskip(SKIP_1) | instid1(VALU_DEP_1)
	v_pack_b32_f16 v65, v63, v64
	v_perm_b32 v63, v64, v63, 0x7060302
	v_pk_add_f16 v63, v65, v63
	s_delay_alu instid0(VALU_DEP_1) | instskip(SKIP_2) | instid1(VALU_DEP_2)
	v_pk_fma_f16 v17, v63, v3, v17
	v_pk_fma_f16 v63, v24, v54, 0
	v_pk_fma_f16 v54, v32, v54, 0
	v_pk_fma_f16 v63, v25, v55, v63
	s_delay_alu instid0(VALU_DEP_2) | instskip(NEXT) | instid1(VALU_DEP_2)
	v_pk_fma_f16 v54, v33, v55, v54
	v_pk_fma_f16 v63, v26, v56, v63
	s_delay_alu instid0(VALU_DEP_2) | instskip(NEXT) | instid1(VALU_DEP_2)
	v_pk_fma_f16 v54, v34, v56, v54
	v_pk_fma_f16 v63, v27, v57, v63
	s_delay_alu instid0(VALU_DEP_2) | instskip(NEXT) | instid1(VALU_DEP_2)
	v_pk_fma_f16 v54, v35, v57, v54
	v_pk_fma_f16 v63, v28, v58, v63
	s_delay_alu instid0(VALU_DEP_2) | instskip(NEXT) | instid1(VALU_DEP_2)
	v_pk_fma_f16 v54, v36, v58, v54
	v_pk_fma_f16 v63, v29, v59, v63
	s_delay_alu instid0(VALU_DEP_2) | instskip(NEXT) | instid1(VALU_DEP_2)
	v_pk_fma_f16 v54, v37, v59, v54
	v_pk_fma_f16 v63, v30, v60, v63
	s_delay_alu instid0(VALU_DEP_2) | instskip(NEXT) | instid1(VALU_DEP_2)
	v_pk_fma_f16 v54, v38, v60, v54
	v_pk_fma_f16 v63, v31, v61, v63
	s_delay_alu instid0(VALU_DEP_2) | instskip(NEXT) | instid1(VALU_DEP_1)
	v_pk_fma_f16 v54, v39, v61, v54
	v_pack_b32_f16 v55, v63, v54
	v_perm_b32 v54, v54, v63, 0x7060302
	s_delay_alu instid0(VALU_DEP_1) | instskip(NEXT) | instid1(VALU_DEP_1)
	v_pk_add_f16 v54, v55, v54
	v_pk_fma_f16 v15, v54, v4, v15
	ds_load_2addr_b32 v[54:55], v62 offset0:64 offset1:65
	s_waitcnt lgkmcnt(0)
	v_pk_fma_f16 v56, v53, v54, 0
	v_pk_fma_f16 v64, v40, v54, 0
	s_delay_alu instid0(VALU_DEP_2) | instskip(SKIP_4) | instid1(VALU_DEP_2)
	v_pk_fma_f16 v58, v52, v55, v56
	ds_load_2addr_b32 v[56:57], v62 offset0:66 offset1:67
	v_pk_fma_f16 v64, v41, v55, v64
	s_waitcnt lgkmcnt(0)
	v_pk_fma_f16 v58, v51, v56, v58
	v_pk_fma_f16 v64, v42, v56, v64
	s_delay_alu instid0(VALU_DEP_2) | instskip(SKIP_4) | instid1(VALU_DEP_2)
	v_pk_fma_f16 v60, v50, v57, v58
	ds_load_2addr_b32 v[58:59], v62 offset0:68 offset1:69
	v_pk_fma_f16 v64, v43, v57, v64
	s_waitcnt lgkmcnt(0)
	v_pk_fma_f16 v60, v49, v58, v60
	v_pk_fma_f16 v64, v44, v58, v64
	s_delay_alu instid0(VALU_DEP_2) | instskip(SKIP_4) | instid1(VALU_DEP_2)
	v_pk_fma_f16 v63, v48, v59, v60
	ds_load_2addr_b32 v[60:61], v62 offset0:70 offset1:71
	v_pk_fma_f16 v64, v45, v59, v64
	s_waitcnt lgkmcnt(0)
	v_pk_fma_f16 v63, v22, v60, v63
	v_pk_fma_f16 v64, v46, v60, v64
	s_delay_alu instid0(VALU_DEP_2) | instskip(NEXT) | instid1(VALU_DEP_2)
	v_pk_fma_f16 v63, v23, v61, v63
	v_pk_fma_f16 v64, v47, v61, v64
	s_delay_alu instid0(VALU_DEP_1) | instskip(SKIP_1) | instid1(VALU_DEP_1)
	v_pack_b32_f16 v65, v63, v64
	v_perm_b32 v63, v64, v63, 0x7060302
	v_pk_add_f16 v63, v65, v63
	s_delay_alu instid0(VALU_DEP_1) | instskip(SKIP_2) | instid1(VALU_DEP_2)
	v_pk_fma_f16 v14, v63, v3, v14
	v_pk_fma_f16 v63, v24, v54, 0
	v_pk_fma_f16 v54, v32, v54, 0
	v_pk_fma_f16 v63, v25, v55, v63
	s_delay_alu instid0(VALU_DEP_2) | instskip(NEXT) | instid1(VALU_DEP_2)
	v_pk_fma_f16 v54, v33, v55, v54
	v_pk_fma_f16 v63, v26, v56, v63
	s_delay_alu instid0(VALU_DEP_2) | instskip(NEXT) | instid1(VALU_DEP_2)
	v_pk_fma_f16 v54, v34, v56, v54
	v_pk_fma_f16 v63, v27, v57, v63
	s_delay_alu instid0(VALU_DEP_2) | instskip(NEXT) | instid1(VALU_DEP_2)
	v_pk_fma_f16 v54, v35, v57, v54
	v_pk_fma_f16 v63, v28, v58, v63
	s_delay_alu instid0(VALU_DEP_2) | instskip(NEXT) | instid1(VALU_DEP_2)
	v_pk_fma_f16 v54, v36, v58, v54
	v_pk_fma_f16 v63, v29, v59, v63
	s_delay_alu instid0(VALU_DEP_2) | instskip(NEXT) | instid1(VALU_DEP_2)
	v_pk_fma_f16 v54, v37, v59, v54
	v_pk_fma_f16 v63, v30, v60, v63
	s_delay_alu instid0(VALU_DEP_2) | instskip(NEXT) | instid1(VALU_DEP_2)
	v_pk_fma_f16 v54, v38, v60, v54
	v_pk_fma_f16 v63, v31, v61, v63
	s_delay_alu instid0(VALU_DEP_2) | instskip(NEXT) | instid1(VALU_DEP_1)
	v_pk_fma_f16 v54, v39, v61, v54
	v_pack_b32_f16 v55, v63, v54
	v_perm_b32 v54, v54, v63, 0x7060302
	s_delay_alu instid0(VALU_DEP_1) | instskip(NEXT) | instid1(VALU_DEP_1)
	v_pk_add_f16 v54, v55, v54
	v_pk_fma_f16 v13, v54, v4, v13
	ds_load_2addr_b32 v[54:55], v62 offset0:128 offset1:129
	;; [unrolled: 62-line block ×3, first 2 shown]
	s_waitcnt lgkmcnt(0)
	v_pk_fma_f16 v56, v53, v54, 0
	s_delay_alu instid0(VALU_DEP_1) | instskip(SKIP_3) | instid1(VALU_DEP_1)
	v_pk_fma_f16 v58, v52, v55, v56
	ds_load_2addr_b32 v[56:57], v62 offset0:194 offset1:195
	s_waitcnt lgkmcnt(0)
	v_pk_fma_f16 v58, v51, v56, v58
	v_pk_fma_f16 v60, v50, v57, v58
	ds_load_2addr_b32 v[58:59], v62 offset0:196 offset1:197
	s_waitcnt lgkmcnt(0)
	v_pk_fma_f16 v60, v49, v58, v60
	s_delay_alu instid0(VALU_DEP_1) | instskip(SKIP_4) | instid1(VALU_DEP_2)
	v_pk_fma_f16 v63, v48, v59, v60
	ds_load_2addr_b32 v[60:61], v62 offset0:198 offset1:199
	s_waitcnt lgkmcnt(0)
	v_pk_fma_f16 v62, v22, v60, v63
	v_pk_fma_f16 v63, v40, v54, 0
	;; [unrolled: 1-line block ×3, first 2 shown]
	s_delay_alu instid0(VALU_DEP_2) | instskip(NEXT) | instid1(VALU_DEP_1)
	v_pk_fma_f16 v63, v41, v55, v63
	v_pk_fma_f16 v63, v42, v56, v63
	s_delay_alu instid0(VALU_DEP_1) | instskip(NEXT) | instid1(VALU_DEP_1)
	v_pk_fma_f16 v63, v43, v57, v63
	v_pk_fma_f16 v63, v44, v58, v63
	s_delay_alu instid0(VALU_DEP_1) | instskip(NEXT) | instid1(VALU_DEP_1)
	v_pk_fma_f16 v63, v45, v59, v63
	v_pk_fma_f16 v63, v46, v60, v63
	s_delay_alu instid0(VALU_DEP_1) | instskip(NEXT) | instid1(VALU_DEP_1)
	v_pk_fma_f16 v63, v47, v61, v63
	v_pack_b32_f16 v64, v62, v63
	v_perm_b32 v62, v63, v62, 0x7060302
	s_delay_alu instid0(VALU_DEP_1) | instskip(NEXT) | instid1(VALU_DEP_1)
	v_pk_add_f16 v62, v64, v62
	v_pk_fma_f16 v10, v62, v3, v10
	v_pk_fma_f16 v62, v24, v54, 0
	;; [unrolled: 1-line block ×3, first 2 shown]
	s_delay_alu instid0(VALU_DEP_2) | instskip(NEXT) | instid1(VALU_DEP_2)
	v_pk_fma_f16 v62, v25, v55, v62
	v_pk_fma_f16 v54, v33, v55, v54
	s_delay_alu instid0(VALU_DEP_2) | instskip(NEXT) | instid1(VALU_DEP_2)
	v_pk_fma_f16 v62, v26, v56, v62
	v_pk_fma_f16 v54, v34, v56, v54
	;; [unrolled: 3-line block ×7, first 2 shown]
	s_delay_alu instid0(VALU_DEP_1) | instskip(SKIP_1) | instid1(VALU_DEP_1)
	v_pack_b32_f16 v55, v62, v54
	v_perm_b32 v54, v54, v62, 0x7060302
	v_pk_add_f16 v54, v55, v54
	s_delay_alu instid0(VALU_DEP_1)
	v_pk_fma_f16 v9, v54, v4, v9
	v_mov_b32_e32 v54, s19
	s_add_i32 s19, s2, 0x408
	ds_load_2addr_b32 v[54:55], v54 offset1:1
	s_waitcnt lgkmcnt(0)
	v_pk_fma_f16 v53, v53, v54, 0
	s_delay_alu instid0(VALU_DEP_1)
	v_pk_fma_f16 v56, v52, v55, v53
	v_mov_b32_e32 v52, s19
	s_add_i32 s19, s2, 0x410
	ds_load_2addr_b32 v[52:53], v52 offset1:1
	s_waitcnt lgkmcnt(0)
	v_pk_fma_f16 v51, v51, v52, v56
	s_delay_alu instid0(VALU_DEP_1)
	v_pk_fma_f16 v56, v50, v53, v51
	v_mov_b32_e32 v50, s19
	s_add_i32 s19, s2, 0x418
	s_add_i32 s2, s2, 32
	s_cmp_ge_i32 s15, s20
	ds_load_2addr_b32 v[50:51], v50 offset1:1
	s_waitcnt lgkmcnt(0)
	v_pk_fma_f16 v49, v49, v50, v56
	s_delay_alu instid0(VALU_DEP_1) | instskip(SKIP_4) | instid1(VALU_DEP_1)
	v_pk_fma_f16 v56, v48, v51, v49
	v_mov_b32_e32 v48, s19
	ds_load_2addr_b32 v[48:49], v48 offset1:1
	s_waitcnt lgkmcnt(0)
	v_pk_fma_f16 v22, v22, v48, v56
	v_pk_fma_f16 v22, v23, v49, v22
	;; [unrolled: 1-line block ×3, first 2 shown]
	s_delay_alu instid0(VALU_DEP_1) | instskip(NEXT) | instid1(VALU_DEP_1)
	v_pk_fma_f16 v23, v41, v55, v23
	v_pk_fma_f16 v23, v42, v52, v23
	s_delay_alu instid0(VALU_DEP_1) | instskip(NEXT) | instid1(VALU_DEP_1)
	v_pk_fma_f16 v23, v43, v53, v23
	v_pk_fma_f16 v23, v44, v50, v23
	;; [unrolled: 3-line block ×3, first 2 shown]
	s_delay_alu instid0(VALU_DEP_1) | instskip(NEXT) | instid1(VALU_DEP_1)
	v_pk_fma_f16 v23, v47, v49, v23
	v_pack_b32_f16 v40, v22, v23
	v_perm_b32 v22, v23, v22, 0x7060302
	v_pk_fma_f16 v23, v32, v54, 0
	s_delay_alu instid0(VALU_DEP_2) | instskip(NEXT) | instid1(VALU_DEP_2)
	v_pk_add_f16 v22, v40, v22
	v_pk_fma_f16 v23, v33, v55, v23
	s_delay_alu instid0(VALU_DEP_2) | instskip(SKIP_1) | instid1(VALU_DEP_3)
	v_pk_fma_f16 v8, v22, v3, v8
	v_pk_fma_f16 v22, v24, v54, 0
	;; [unrolled: 1-line block ×3, first 2 shown]
	s_delay_alu instid0(VALU_DEP_2) | instskip(NEXT) | instid1(VALU_DEP_2)
	v_pk_fma_f16 v22, v25, v55, v22
	v_pk_fma_f16 v23, v35, v53, v23
	s_delay_alu instid0(VALU_DEP_2) | instskip(NEXT) | instid1(VALU_DEP_2)
	v_pk_fma_f16 v22, v26, v52, v22
	v_pk_fma_f16 v23, v36, v50, v23
	;; [unrolled: 3-line block ×5, first 2 shown]
	s_delay_alu instid0(VALU_DEP_2) | instskip(NEXT) | instid1(VALU_DEP_1)
	v_pk_fma_f16 v22, v30, v48, v22
	v_pk_fma_f16 v22, v31, v49, v22
	s_delay_alu instid0(VALU_DEP_1) | instskip(SKIP_1) | instid1(VALU_DEP_1)
	v_pack_b32_f16 v24, v22, v23
	v_perm_b32 v22, v23, v22, 0x7060302
	v_pk_add_f16 v22, v24, v22
	s_delay_alu instid0(VALU_DEP_1)
	v_pk_fma_f16 v7, v22, v4, v7
	s_cbranch_scc1 .LBB31_18
.LBB31_16:                              ; =>This Inner Loop Header: Depth=1
	s_cmp_lg_u32 s15, s18
	s_cbranch_scc1 .LBB31_15
; %bb.17:                               ;   in Loop: Header=BB31_16 Depth=1
	s_add_i32 s13, s13, 1
	s_add_i32 s18, s18, s3
	s_mul_i32 s19, s13, s16
	s_delay_alu instid0(SALU_CYCLE_1) | instskip(SKIP_2) | instid1(SALU_CYCLE_1)
	s_ashr_i32 s21, s19, 31
	v_add_nc_u32_e32 v18, s19, v1
	s_lshr_b32 s21, s21, 28
	s_add_i32 s21, s19, s21
	s_delay_alu instid0(VALU_DEP_1) | instskip(SKIP_3) | instid1(VALU_DEP_2)
	v_ashrrev_i32_e32 v19, 31, v18
	s_ashr_i32 s21, s21, 4
	s_waitcnt vmcnt(0)
	v_add_nc_u32_e32 v3, s21, v16
	v_lshlrev_b64 v[18:19], 1, v[18:19]
	s_delay_alu instid0(VALU_DEP_2) | instskip(NEXT) | instid1(VALU_DEP_1)
	v_ashrrev_i32_e32 v4, 31, v3
	v_lshlrev_b64 v[3:4], 2, v[3:4]
	s_delay_alu instid0(VALU_DEP_1) | instskip(NEXT) | instid1(VALU_DEP_2)
	v_add_co_u32 v3, vcc_lo, s6, v3
	v_add_co_ci_u32_e32 v4, vcc_lo, s7, v4, vcc_lo
	global_load_b32 v20, v[3:4], off
	v_add_co_u32 v3, vcc_lo, s8, v18
	v_add_co_ci_u32_e32 v4, vcc_lo, s9, v19, vcc_lo
	global_load_b64 v[3:4], v[3:4], off
	s_waitcnt vmcnt(1)
	v_lshrrev_b32_e32 v21, v0, v20
	v_bfe_u32 v18, v20, v0, 2
	s_delay_alu instid0(VALU_DEP_2)
	v_bfe_u32 v19, v21, 2, 2
	v_bfe_u32 v20, v21, 4, 2
	;; [unrolled: 1-line block ×3, first 2 shown]
	s_branch .LBB31_15
.LBB31_18:
	v_mad_u64_u32 v[2:3], null, s12, s16, v[1:2]
	s_mov_b32 s0, 0
	s_delay_alu instid0(VALU_DEP_1) | instskip(NEXT) | instid1(VALU_DEP_1)
	v_ashrrev_i32_e32 v3, 31, v2
	v_lshlrev_b64 v[0:1], 1, v[2:3]
	s_delay_alu instid0(VALU_DEP_1) | instskip(NEXT) | instid1(VALU_DEP_2)
	v_add_co_u32 v0, vcc_lo, s10, v0
	v_add_co_ci_u32_e32 v1, vcc_lo, s11, v1, vcc_lo
	global_load_b32 v4, v[0:1], off
.LBB31_19:                              ; =>This Inner Loop Header: Depth=1
	s_waitcnt vmcnt(0)
	v_pk_add_f16 v3, v17, v4
	global_atomic_cmpswap_b32 v3, v[0:1], v[3:4], off glc
	s_waitcnt vmcnt(0)
	v_cmp_eq_u32_e32 vcc_lo, v4, v3
	v_mov_b32_e32 v4, v3
	s_or_b32 s0, vcc_lo, s0
	s_delay_alu instid0(SALU_CYCLE_1)
	s_and_not1_b32 exec_lo, exec_lo, s0
	s_cbranch_execnz .LBB31_19
; %bb.20:
	s_or_b32 exec_lo, exec_lo, s0
	global_load_b32 v4, v[0:1], off offset:4
	s_mov_b32 s0, 0
.LBB31_21:                              ; =>This Inner Loop Header: Depth=1
	s_waitcnt vmcnt(0)
	v_pk_add_f16 v3, v15, v4
	global_atomic_cmpswap_b32 v3, v[0:1], v[3:4], off offset:4 glc
	s_waitcnt vmcnt(0)
	v_cmp_eq_u32_e32 vcc_lo, v4, v3
	v_mov_b32_e32 v4, v3
	s_or_b32 s0, vcc_lo, s0
	s_delay_alu instid0(SALU_CYCLE_1)
	s_and_not1_b32 exec_lo, exec_lo, s0
	s_cbranch_execnz .LBB31_21
; %bb.22:
	s_or_b32 exec_lo, exec_lo, s0
	v_add_nc_u32_e32 v0, s16, v2
	s_mov_b32 s0, 0
	s_delay_alu instid0(VALU_DEP_1) | instskip(NEXT) | instid1(VALU_DEP_1)
	v_ashrrev_i32_e32 v1, 31, v0
	v_lshlrev_b64 v[1:2], 1, v[0:1]
	s_delay_alu instid0(VALU_DEP_1) | instskip(NEXT) | instid1(VALU_DEP_2)
	v_add_co_u32 v1, vcc_lo, s10, v1
	v_add_co_ci_u32_e32 v2, vcc_lo, s11, v2, vcc_lo
	global_load_b32 v4, v[1:2], off
.LBB31_23:                              ; =>This Inner Loop Header: Depth=1
	s_waitcnt vmcnt(0)
	v_pk_add_f16 v3, v14, v4
	global_atomic_cmpswap_b32 v3, v[1:2], v[3:4], off glc
	s_waitcnt vmcnt(0)
	v_cmp_eq_u32_e32 vcc_lo, v4, v3
	v_mov_b32_e32 v4, v3
	s_or_b32 s0, vcc_lo, s0
	s_delay_alu instid0(SALU_CYCLE_1)
	s_and_not1_b32 exec_lo, exec_lo, s0
	s_cbranch_execnz .LBB31_23
; %bb.24:
	s_or_b32 exec_lo, exec_lo, s0
	global_load_b32 v4, v[1:2], off offset:4
	s_mov_b32 s0, 0
.LBB31_25:                              ; =>This Inner Loop Header: Depth=1
	s_waitcnt vmcnt(0)
	v_pk_add_f16 v3, v13, v4
	global_atomic_cmpswap_b32 v3, v[1:2], v[3:4], off offset:4 glc
	s_waitcnt vmcnt(0)
	v_cmp_eq_u32_e32 vcc_lo, v4, v3
	v_mov_b32_e32 v4, v3
	s_or_b32 s0, vcc_lo, s0
	s_delay_alu instid0(SALU_CYCLE_1)
	s_and_not1_b32 exec_lo, exec_lo, s0
	s_cbranch_execnz .LBB31_25
; %bb.26:
	s_or_b32 exec_lo, exec_lo, s0
	v_add_nc_u32_e32 v0, s16, v0
	;; [unrolled: 37-line block ×4, first 2 shown]
	s_mov_b32 s0, 0
	s_delay_alu instid0(VALU_DEP_1) | instskip(NEXT) | instid1(VALU_DEP_1)
	v_ashrrev_i32_e32 v1, 31, v0
	v_lshlrev_b64 v[0:1], 1, v[0:1]
	s_delay_alu instid0(VALU_DEP_1) | instskip(NEXT) | instid1(VALU_DEP_2)
	v_add_co_u32 v0, vcc_lo, s10, v0
	v_add_co_ci_u32_e32 v1, vcc_lo, s11, v1, vcc_lo
	global_load_b32 v3, v[0:1], off
.LBB31_35:                              ; =>This Inner Loop Header: Depth=1
	s_waitcnt vmcnt(0)
	v_pk_add_f16 v2, v8, v3
	global_atomic_cmpswap_b32 v2, v[0:1], v[2:3], off glc
	s_waitcnt vmcnt(0)
	v_cmp_eq_u32_e32 vcc_lo, v3, v2
	v_mov_b32_e32 v3, v2
	s_or_b32 s0, vcc_lo, s0
	s_delay_alu instid0(SALU_CYCLE_1)
	s_and_not1_b32 exec_lo, exec_lo, s0
	s_cbranch_execnz .LBB31_35
; %bb.36:
	s_or_b32 exec_lo, exec_lo, s0
	global_load_b32 v3, v[0:1], off offset:4
	s_mov_b32 s0, 0
.LBB31_37:                              ; =>This Inner Loop Header: Depth=1
	s_waitcnt vmcnt(0)
	v_pk_add_f16 v2, v7, v3
	global_atomic_cmpswap_b32 v2, v[0:1], v[2:3], off offset:4 glc
	s_waitcnt vmcnt(0)
	v_cmp_eq_u32_e32 vcc_lo, v3, v2
	v_mov_b32_e32 v3, v2
	s_or_b32 s0, vcc_lo, s0
	s_delay_alu instid0(SALU_CYCLE_1)
	s_and_not1_b32 exec_lo, exec_lo, s0
	s_cbranch_execnz .LBB31_37
.LBB31_38:
	s_endpgm
	.section	.rodata,"a",@progbits
	.p2align	6, 0x0
	.amdhsa_kernel _ZN4vllm4gptq33gemm_half_q_half_gptq_2bit_kernelILb1ELi5EEEvPK6__halfPKjS6_S4_PS2_iiiibPKi
		.amdhsa_group_segment_fixed_size 1280
		.amdhsa_private_segment_fixed_size 0
		.amdhsa_kernarg_size 72
		.amdhsa_user_sgpr_count 13
		.amdhsa_user_sgpr_dispatch_ptr 0
		.amdhsa_user_sgpr_queue_ptr 0
		.amdhsa_user_sgpr_kernarg_segment_ptr 1
		.amdhsa_user_sgpr_dispatch_id 0
		.amdhsa_user_sgpr_private_segment_size 0
		.amdhsa_wavefront_size32 1
		.amdhsa_uses_dynamic_stack 0
		.amdhsa_enable_private_segment 0
		.amdhsa_system_sgpr_workgroup_id_x 1
		.amdhsa_system_sgpr_workgroup_id_y 1
		.amdhsa_system_sgpr_workgroup_id_z 1
		.amdhsa_system_sgpr_workgroup_info 0
		.amdhsa_system_vgpr_workitem_id 0
		.amdhsa_next_free_vgpr 66
		.amdhsa_next_free_sgpr 24
		.amdhsa_reserve_vcc 1
		.amdhsa_float_round_mode_32 0
		.amdhsa_float_round_mode_16_64 0
		.amdhsa_float_denorm_mode_32 3
		.amdhsa_float_denorm_mode_16_64 3
		.amdhsa_dx10_clamp 1
		.amdhsa_ieee_mode 1
		.amdhsa_fp16_overflow 0
		.amdhsa_workgroup_processor_mode 1
		.amdhsa_memory_ordered 1
		.amdhsa_forward_progress 0
		.amdhsa_shared_vgpr_count 0
		.amdhsa_exception_fp_ieee_invalid_op 0
		.amdhsa_exception_fp_denorm_src 0
		.amdhsa_exception_fp_ieee_div_zero 0
		.amdhsa_exception_fp_ieee_overflow 0
		.amdhsa_exception_fp_ieee_underflow 0
		.amdhsa_exception_fp_ieee_inexact 0
		.amdhsa_exception_int_div_zero 0
	.end_amdhsa_kernel
	.section	.text._ZN4vllm4gptq33gemm_half_q_half_gptq_2bit_kernelILb1ELi5EEEvPK6__halfPKjS6_S4_PS2_iiiibPKi,"axG",@progbits,_ZN4vllm4gptq33gemm_half_q_half_gptq_2bit_kernelILb1ELi5EEEvPK6__halfPKjS6_S4_PS2_iiiibPKi,comdat
.Lfunc_end31:
	.size	_ZN4vllm4gptq33gemm_half_q_half_gptq_2bit_kernelILb1ELi5EEEvPK6__halfPKjS6_S4_PS2_iiiibPKi, .Lfunc_end31-_ZN4vllm4gptq33gemm_half_q_half_gptq_2bit_kernelILb1ELi5EEEvPK6__halfPKjS6_S4_PS2_iiiibPKi
                                        ; -- End function
	.section	.AMDGPU.csdata,"",@progbits
; Kernel info:
; codeLenInByte = 5564
; NumSgprs: 26
; NumVgprs: 66
; ScratchSize: 0
; MemoryBound: 0
; FloatMode: 240
; IeeeMode: 1
; LDSByteSize: 1280 bytes/workgroup (compile time only)
; SGPRBlocks: 3
; VGPRBlocks: 8
; NumSGPRsForWavesPerEU: 26
; NumVGPRsForWavesPerEU: 66
; Occupancy: 16
; WaveLimiterHint : 0
; COMPUTE_PGM_RSRC2:SCRATCH_EN: 0
; COMPUTE_PGM_RSRC2:USER_SGPR: 13
; COMPUTE_PGM_RSRC2:TRAP_HANDLER: 0
; COMPUTE_PGM_RSRC2:TGID_X_EN: 1
; COMPUTE_PGM_RSRC2:TGID_Y_EN: 1
; COMPUTE_PGM_RSRC2:TGID_Z_EN: 1
; COMPUTE_PGM_RSRC2:TIDIG_COMP_CNT: 0
	.section	.text._ZN4vllm4gptq33gemm_half_q_half_gptq_3bit_kernelILb1ELi5EEEvPK6__halfPKjS6_S4_PS2_iiiibPKi,"axG",@progbits,_ZN4vllm4gptq33gemm_half_q_half_gptq_3bit_kernelILb1ELi5EEEvPK6__halfPKjS6_S4_PS2_iiiibPKi,comdat
	.protected	_ZN4vllm4gptq33gemm_half_q_half_gptq_3bit_kernelILb1ELi5EEEvPK6__halfPKjS6_S4_PS2_iiiibPKi ; -- Begin function _ZN4vllm4gptq33gemm_half_q_half_gptq_3bit_kernelILb1ELi5EEEvPK6__halfPKjS6_S4_PS2_iiiibPKi
	.globl	_ZN4vllm4gptq33gemm_half_q_half_gptq_3bit_kernelILb1ELi5EEEvPK6__halfPKjS6_S4_PS2_iiiibPKi
	.p2align	8
	.type	_ZN4vllm4gptq33gemm_half_q_half_gptq_3bit_kernelILb1ELi5EEEvPK6__halfPKjS6_S4_PS2_iiiibPKi,@function
_ZN4vllm4gptq33gemm_half_q_half_gptq_3bit_kernelILb1ELi5EEEvPK6__halfPKjS6_S4_PS2_iiiibPKi: ; @_ZN4vllm4gptq33gemm_half_q_half_gptq_3bit_kernelILb1ELi5EEEvPK6__halfPKjS6_S4_PS2_iiiibPKi
; %bb.0:
	s_load_b128 s[16:19], s[0:1], 0x2c
	s_lshl_b32 s15, s15, 7
	s_load_b256 s[4:11], s[0:1], 0x8
	s_add_i32 s2, s15, 0x80
	s_mul_i32 s12, s14, 5
	v_cvt_f64_u32_e32 v[1:2], s2
	s_mov_b32 s14, exec_lo
	s_waitcnt lgkmcnt(0)
	v_cvt_f64_i32_e32 v[3:4], s17
	s_delay_alu instid0(VALU_DEP_1) | instskip(NEXT) | instid1(VALU_DEP_1)
	v_min_f64 v[1:2], v[1:2], v[3:4]
	v_cvt_i32_f64_e32 v2, v[1:2]
	v_add_nc_u32_e32 v1, s15, v0
	s_delay_alu instid0(VALU_DEP_2) | instskip(NEXT) | instid1(VALU_DEP_2)
	v_readfirstlane_b32 s20, v2
	v_cmpx_lt_u32_e64 v1, v2
	s_cbranch_execz .LBB32_12
; %bb.1:
	s_clause 0x1
	s_load_b64 s[2:3], s[0:1], 0x40
	s_load_b64 s[0:1], s[0:1], 0x0
	v_mov_b32_e32 v2, 0
	s_delay_alu instid0(VALU_DEP_1) | instskip(SKIP_2) | instid1(VALU_DEP_2)
	v_lshlrev_b64 v[3:4], 2, v[1:2]
	v_dual_mov_b32 v6, v2 :: v_dual_mov_b32 v5, v1
	s_waitcnt lgkmcnt(0)
	v_add_co_u32 v3, vcc_lo, s2, v3
	s_delay_alu instid0(VALU_DEP_3)
	v_add_co_ci_u32_e32 v4, vcc_lo, s3, v4, vcc_lo
	s_cmp_lg_u64 s[2:3], 0
	s_cselect_b32 s21, -1, 0
	s_cmp_eq_u64 s[2:3], 0
	s_cbranch_scc1 .LBB32_3
; %bb.2:
	global_load_b32 v5, v[3:4], off
	s_waitcnt vmcnt(0)
	v_ashrrev_i32_e32 v6, 31, v5
.LBB32_3:
	s_mul_i32 s2, s12, s17
	s_delay_alu instid0(VALU_DEP_1)
	v_lshlrev_b64 v[5:6], 1, v[5:6]
	s_ashr_i32 s3, s2, 31
	v_lshlrev_b32_e32 v7, 1, v0
	s_lshl_b64 s[22:23], s[2:3], 1
	v_cndmask_b32_e64 v8, 0, 1, s21
	s_add_u32 s3, s0, s22
	s_addc_u32 s22, s1, s23
	v_add_co_u32 v5, vcc_lo, s3, v5
	v_add_co_ci_u32_e32 v6, vcc_lo, s22, v6, vcc_lo
	s_and_not1_b32 vcc_lo, exec_lo, s21
	global_load_u16 v9, v[5:6], off
	v_dual_mov_b32 v6, v2 :: v_dual_mov_b32 v5, v1
	s_waitcnt vmcnt(0)
	ds_store_b16 v7, v9
	s_cbranch_vccnz .LBB32_5
; %bb.4:
	global_load_b32 v5, v[3:4], off
	s_waitcnt vmcnt(0)
	v_ashrrev_i32_e32 v6, 31, v5
.LBB32_5:
	s_add_i32 s2, s2, s17
	s_delay_alu instid0(VALU_DEP_1) | instskip(SKIP_1) | instid1(SALU_CYCLE_1)
	v_lshlrev_b64 v[5:6], 1, v[5:6]
	s_ashr_i32 s3, s2, 31
	s_lshl_b64 s[22:23], s[2:3], 1
	s_delay_alu instid0(SALU_CYCLE_1) | instskip(SKIP_1) | instid1(VALU_DEP_1)
	s_add_u32 s3, s0, s22
	s_addc_u32 s21, s1, s23
	v_add_co_u32 v5, vcc_lo, s3, v5
	v_add_co_ci_u32_e32 v6, vcc_lo, s21, v6, vcc_lo
	v_cmp_ne_u32_e32 vcc_lo, 1, v8
	global_load_u16 v9, v[5:6], off
	v_dual_mov_b32 v6, v2 :: v_dual_mov_b32 v5, v1
	s_waitcnt vmcnt(0)
	ds_store_b16 v7, v9 offset:256
	s_cbranch_vccnz .LBB32_7
; %bb.6:
	global_load_b32 v5, v[3:4], off
	s_waitcnt vmcnt(0)
	v_ashrrev_i32_e32 v6, 31, v5
.LBB32_7:
	s_add_i32 s2, s2, s17
	s_delay_alu instid0(VALU_DEP_1) | instskip(SKIP_1) | instid1(SALU_CYCLE_1)
	v_lshlrev_b64 v[5:6], 1, v[5:6]
	s_ashr_i32 s3, s2, 31
	s_lshl_b64 s[22:23], s[2:3], 1
	s_delay_alu instid0(SALU_CYCLE_1) | instskip(SKIP_1) | instid1(VALU_DEP_1)
	s_add_u32 s3, s0, s22
	s_addc_u32 s21, s1, s23
	v_add_co_u32 v5, vcc_lo, s3, v5
	v_add_co_ci_u32_e32 v6, vcc_lo, s21, v6, vcc_lo
	v_cmp_ne_u32_e32 vcc_lo, 1, v8
	global_load_u16 v9, v[5:6], off
	v_dual_mov_b32 v6, v2 :: v_dual_mov_b32 v5, v1
	s_waitcnt vmcnt(0)
	ds_store_b16 v7, v9 offset:512
	s_cbranch_vccnz .LBB32_9
; %bb.8:
	global_load_b32 v5, v[3:4], off
	s_waitcnt vmcnt(0)
	v_ashrrev_i32_e32 v6, 31, v5
.LBB32_9:
	s_add_i32 s2, s2, s17
	s_delay_alu instid0(VALU_DEP_1) | instskip(SKIP_1) | instid1(SALU_CYCLE_1)
	v_lshlrev_b64 v[5:6], 1, v[5:6]
	s_ashr_i32 s3, s2, 31
	s_lshl_b64 s[22:23], s[2:3], 1
	s_delay_alu instid0(SALU_CYCLE_1) | instskip(SKIP_1) | instid1(VALU_DEP_1)
	s_add_u32 s3, s0, s22
	s_addc_u32 s21, s1, s23
	v_add_co_u32 v5, vcc_lo, s3, v5
	v_add_co_ci_u32_e32 v6, vcc_lo, s21, v6, vcc_lo
	v_cmp_ne_u32_e32 vcc_lo, 1, v8
	global_load_u16 v5, v[5:6], off
	s_waitcnt vmcnt(0)
	ds_store_b16 v7, v5 offset:768
	s_cbranch_vccnz .LBB32_11
; %bb.10:
	global_load_b32 v1, v[3:4], off
	s_waitcnt vmcnt(0)
	v_ashrrev_i32_e32 v2, 31, v1
.LBB32_11:
	s_add_i32 s2, s2, s17
	s_delay_alu instid0(VALU_DEP_1) | instskip(SKIP_1) | instid1(SALU_CYCLE_1)
	v_lshlrev_b64 v[1:2], 1, v[1:2]
	s_ashr_i32 s3, s2, 31
	s_lshl_b64 s[2:3], s[2:3], 1
	s_delay_alu instid0(SALU_CYCLE_1) | instskip(SKIP_1) | instid1(VALU_DEP_1)
	s_add_u32 s0, s0, s2
	s_addc_u32 s1, s1, s3
	v_add_co_u32 v1, vcc_lo, s0, v1
	v_add_co_ci_u32_e32 v2, vcc_lo, s1, v2, vcc_lo
	global_load_u16 v1, v[1:2], off
	s_waitcnt vmcnt(0)
	ds_store_b16 v7, v1 offset:1024
.LBB32_12:
	s_or_b32 exec_lo, exec_lo, s14
	v_lshlrev_b32_e32 v0, 2, v0
	s_mov_b32 s0, exec_lo
	s_delay_alu instid0(VALU_DEP_1) | instskip(NEXT) | instid1(VALU_DEP_1)
	v_lshl_add_u32 v12, s13, 9, v0
	v_cmpx_gt_i32_e64 s16, v12
	s_cbranch_execz .LBB32_70
; %bb.13:
	s_abs_i32 s0, s18
	s_abs_i32 s3, s17
	v_cvt_f32_u32_e32 v1, s0
	s_sub_i32 s2, 0, s0
	s_waitcnt lgkmcnt(0)
	s_barrier
	buffer_gl0_inv
	v_rcp_iflag_f32_e32 v1, v1
                                        ; implicit-def: $vgpr3
                                        ; implicit-def: $vgpr4
	v_and_b32_e32 v2, 28, v0
	s_delay_alu instid0(VALU_DEP_1) | instskip(SKIP_2) | instid1(VALU_DEP_1)
	v_cmp_lt_u32_e32 vcc_lo, 4, v2
	s_waitcnt_depctr 0xfff
	v_mul_f32_e32 v1, 0x4f7ffffe, v1
	v_cvt_u32_f32_e32 v1, v1
	s_delay_alu instid0(VALU_DEP_1) | instskip(NEXT) | instid1(VALU_DEP_1)
	v_readfirstlane_b32 s1, v1
	s_mul_i32 s2, s2, s1
	s_delay_alu instid0(SALU_CYCLE_1) | instskip(NEXT) | instid1(SALU_CYCLE_1)
	s_mul_hi_u32 s2, s1, s2
	s_add_i32 s1, s1, s2
	s_xor_b32 s2, s17, s18
	s_mul_hi_u32 s1, s3, s1
	s_ashr_i32 s2, s2, 31
	s_mul_i32 s13, s1, s0
	s_delay_alu instid0(SALU_CYCLE_1)
	s_sub_i32 s3, s3, s13
	s_add_i32 s13, s1, 1
	s_sub_i32 s14, s3, s0
	s_cmp_ge_u32 s3, s0
	s_cselect_b32 s1, s13, s1
	s_cselect_b32 s3, s14, s3
	s_add_i32 s13, s1, 1
	s_cmp_ge_u32 s3, s0
	s_cselect_b32 s0, s13, s1
	s_delay_alu instid0(SALU_CYCLE_1) | instskip(NEXT) | instid1(SALU_CYCLE_1)
	s_xor_b32 s0, s0, s2
	s_sub_i32 s13, s0, s2
	s_delay_alu instid0(SALU_CYCLE_1) | instskip(SKIP_1) | instid1(VALU_DEP_1)
	v_cvt_f32_u32_e32 v1, s13
	s_sub_i32 s1, 0, s13
	v_rcp_iflag_f32_e32 v1, v1
	s_waitcnt_depctr 0xfff
	v_mul_f32_e32 v1, 0x4f7ffffe, v1
	s_delay_alu instid0(VALU_DEP_1) | instskip(NEXT) | instid1(VALU_DEP_1)
	v_cvt_u32_f32_e32 v1, v1
	v_readfirstlane_b32 s0, v1
	s_delay_alu instid0(VALU_DEP_1) | instskip(NEXT) | instid1(SALU_CYCLE_1)
	s_mul_i32 s1, s1, s0
	s_mul_hi_u32 s1, s0, s1
	s_delay_alu instid0(SALU_CYCLE_1) | instskip(NEXT) | instid1(SALU_CYCLE_1)
	s_add_i32 s0, s0, s1
	s_mul_hi_u32 s0, s15, s0
	s_delay_alu instid0(SALU_CYCLE_1) | instskip(SKIP_2) | instid1(SALU_CYCLE_1)
	s_mul_i32 s1, s0, s13
	s_add_i32 s2, s0, 1
	s_sub_i32 s1, s15, s1
	s_sub_i32 s3, s1, s13
	s_cmp_ge_u32 s1, s13
	s_cselect_b32 s0, s2, s0
	s_cselect_b32 s1, s3, s1
	s_add_i32 s2, s0, 1
	s_cmp_ge_u32 s1, s13
	s_cselect_b32 s14, s2, s0
	s_and_saveexec_b32 s0, vcc_lo
	s_delay_alu instid0(SALU_CYCLE_1)
	s_xor_b32 s1, exec_lo, s0
	s_cbranch_execz .LBB32_27
; %bb.14:
	s_mov_b32 s2, exec_lo
                                        ; implicit-def: $vgpr3
                                        ; implicit-def: $vgpr4
	v_cmpx_ne_u32_e32 8, v2
	s_xor_b32 s2, exec_lo, s2
	s_cbranch_execz .LBB32_24
; %bb.15:
	s_mov_b32 s3, exec_lo
                                        ; implicit-def: $vgpr3
                                        ; implicit-def: $vgpr4
	v_cmpx_lt_u32_e32 16, v2
	s_xor_b32 s3, exec_lo, s3
	s_cbranch_execz .LBB32_21
; %bb.16:
	v_lshl_add_u32 v0, v12, 1, v12
	s_mul_i32 s17, s14, s16
	s_delay_alu instid0(SALU_CYCLE_1) | instskip(NEXT) | instid1(SALU_CYCLE_1)
	s_ashr_i32 s0, s17, 31
	s_lshr_b32 s0, s0, 27
	s_delay_alu instid0(VALU_DEP_1) | instskip(SKIP_1) | instid1(SALU_CYCLE_1)
	v_ashrrev_i32_e32 v1, 31, v0
	s_add_i32 s0, s17, s0
	s_ashr_i32 s0, s0, 5
	s_delay_alu instid0(VALU_DEP_1) | instskip(NEXT) | instid1(VALU_DEP_1)
	v_lshrrev_b32_e32 v1, 27, v1
	v_add_nc_u32_e32 v0, v0, v1
	s_delay_alu instid0(VALU_DEP_1) | instskip(NEXT) | instid1(VALU_DEP_1)
	v_ashrrev_i32_e32 v0, 5, v0
	v_mad_u64_u32 v[3:4], null, s0, 3, v[0:1]
	s_delay_alu instid0(VALU_DEP_1) | instskip(NEXT) | instid1(VALU_DEP_1)
	v_ashrrev_i32_e32 v4, 31, v3
	v_lshlrev_b64 v[0:1], 2, v[3:4]
                                        ; implicit-def: $vgpr3
	s_delay_alu instid0(VALU_DEP_1) | instskip(NEXT) | instid1(VALU_DEP_1)
	v_add_co_u32 v0, s0, s6, v0
	v_add_co_ci_u32_e64 v1, s0, s7, v1, s0
	v_cmp_ne_u32_e64 s0, 20, v2
	global_load_b32 v5, v[0:1], off
	s_and_saveexec_b32 s18, s0
	s_delay_alu instid0(SALU_CYCLE_1)
	s_xor_b32 s0, exec_lo, s18
	s_cbranch_execz .LBB32_18
; %bb.17:
	v_mad_u32_u24 v0, v2, 3, 0xffffffc0
	s_waitcnt vmcnt(0)
	s_delay_alu instid0(VALU_DEP_1)
	v_lshrrev_b32_e32 v3, v0, v5
                                        ; implicit-def: $vgpr0_vgpr1
                                        ; implicit-def: $vgpr5
.LBB32_18:
	s_or_saveexec_b32 s0, s0
	v_mov_b32_e32 v4, s17
	s_xor_b32 exec_lo, exec_lo, s0
	s_cbranch_execz .LBB32_20
; %bb.19:
	global_load_b32 v0, v[0:1], off offset:4
	v_mov_b32_e32 v4, s17
	s_waitcnt vmcnt(0)
	v_alignbit_b32 v0, v0, v5, 28
	s_delay_alu instid0(VALU_DEP_1)
	v_and_b32_e32 v3, 0xfff, v0
.LBB32_20:
	s_or_b32 exec_lo, exec_lo, s0
.LBB32_21:
	s_and_not1_saveexec_b32 s3, s3
	s_cbranch_execz .LBB32_23
; %bb.22:
	v_lshl_add_u32 v0, v12, 1, v12
	s_mul_i32 s17, s14, s16
	s_delay_alu instid0(SALU_CYCLE_1) | instskip(NEXT) | instid1(SALU_CYCLE_1)
	s_ashr_i32 s0, s17, 31
	s_lshr_b32 s0, s0, 27
	s_delay_alu instid0(VALU_DEP_1) | instskip(SKIP_1) | instid1(SALU_CYCLE_1)
	v_ashrrev_i32_e32 v1, 31, v0
	s_add_i32 s0, s17, s0
	s_ashr_i32 s0, s0, 5
	s_delay_alu instid0(VALU_DEP_1) | instskip(NEXT) | instid1(VALU_DEP_1)
	v_lshrrev_b32_e32 v1, 27, v1
	v_add_nc_u32_e32 v0, v0, v1
	s_delay_alu instid0(VALU_DEP_1) | instskip(NEXT) | instid1(VALU_DEP_1)
	v_ashrrev_i32_e32 v0, 5, v0
	v_mad_u64_u32 v[3:4], null, s0, 3, v[0:1]
	s_delay_alu instid0(VALU_DEP_1) | instskip(NEXT) | instid1(VALU_DEP_1)
	v_ashrrev_i32_e32 v4, 31, v3
	v_lshlrev_b64 v[0:1], 2, v[3:4]
	v_mov_b32_e32 v4, s17
	s_delay_alu instid0(VALU_DEP_2) | instskip(NEXT) | instid1(VALU_DEP_1)
	v_add_co_u32 v0, s0, s6, v0
	v_add_co_ci_u32_e64 v1, s0, s7, v1, s0
	global_load_b32 v0, v[0:1], off
	v_mad_u32_u24 v1, v2, 3, 0xffffffe0
	s_waitcnt vmcnt(0)
	s_delay_alu instid0(VALU_DEP_1)
	v_lshrrev_b32_e32 v3, v1, v0
.LBB32_23:
	s_or_b32 exec_lo, exec_lo, s3
.LBB32_24:
	s_and_not1_saveexec_b32 s2, s2
	s_cbranch_execz .LBB32_26
; %bb.25:
	v_lshl_add_u32 v0, v12, 1, v12
	s_mul_i32 s3, s14, s16
	s_delay_alu instid0(SALU_CYCLE_1) | instskip(NEXT) | instid1(SALU_CYCLE_1)
	s_ashr_i32 s0, s3, 31
	s_lshr_b32 s0, s0, 27
	s_delay_alu instid0(VALU_DEP_1) | instskip(SKIP_1) | instid1(SALU_CYCLE_1)
	v_ashrrev_i32_e32 v1, 31, v0
	s_add_i32 s0, s3, s0
	s_ashr_i32 s0, s0, 5
	s_delay_alu instid0(VALU_DEP_1) | instskip(NEXT) | instid1(VALU_DEP_1)
	v_lshrrev_b32_e32 v1, 27, v1
	v_add_nc_u32_e32 v0, v0, v1
	s_delay_alu instid0(VALU_DEP_1) | instskip(NEXT) | instid1(VALU_DEP_1)
	v_ashrrev_i32_e32 v0, 5, v0
	v_mad_u64_u32 v[3:4], null, s0, 3, v[0:1]
	s_delay_alu instid0(VALU_DEP_1) | instskip(NEXT) | instid1(VALU_DEP_1)
	v_ashrrev_i32_e32 v4, 31, v3
	v_lshlrev_b64 v[0:1], 2, v[3:4]
	v_mov_b32_e32 v4, s3
	s_delay_alu instid0(VALU_DEP_2) | instskip(NEXT) | instid1(VALU_DEP_1)
	v_add_co_u32 v0, s0, s6, v0
	v_add_co_ci_u32_e64 v1, s0, s7, v1, s0
	global_load_b64 v[0:1], v[0:1], off
	s_waitcnt vmcnt(0)
	v_perm_b32 v0, v0, v1, 0x2010007
	s_delay_alu instid0(VALU_DEP_1)
	v_and_b32_e32 v3, 0xfff, v0
.LBB32_26:
	s_or_b32 exec_lo, exec_lo, s2
.LBB32_27:
	s_or_saveexec_b32 s1, s1
	v_lshl_add_u32 v0, v12, 1, v12
	v_mul_u32_u24_e32 v24, 3, v2
	s_delay_alu instid0(VALU_DEP_2)
	v_ashrrev_i32_e32 v1, 31, v0
	s_xor_b32 exec_lo, exec_lo, s1
	s_cbranch_execz .LBB32_29
; %bb.28:
	s_delay_alu instid0(VALU_DEP_1) | instskip(SKIP_1) | instid1(SALU_CYCLE_1)
	v_lshrrev_b32_e32 v3, 27, v1
	s_mul_i32 s2, s14, s16
	s_ashr_i32 s0, s2, 31
	s_delay_alu instid0(SALU_CYCLE_1) | instskip(NEXT) | instid1(VALU_DEP_1)
	s_lshr_b32 s0, s0, 27
	v_add_nc_u32_e32 v3, v0, v3
	s_add_i32 s0, s2, s0
	s_delay_alu instid0(SALU_CYCLE_1) | instskip(NEXT) | instid1(VALU_DEP_1)
	s_ashr_i32 s0, s0, 5
	v_ashrrev_i32_e32 v3, 5, v3
	s_waitcnt vmcnt(0)
	s_delay_alu instid0(VALU_DEP_1) | instskip(NEXT) | instid1(VALU_DEP_1)
	v_mad_u64_u32 v[4:5], null, s0, 3, v[3:4]
	v_ashrrev_i32_e32 v5, 31, v4
	s_delay_alu instid0(VALU_DEP_1) | instskip(NEXT) | instid1(VALU_DEP_1)
	v_lshlrev_b64 v[3:4], 2, v[4:5]
	v_add_co_u32 v3, s0, s6, v3
	s_delay_alu instid0(VALU_DEP_1)
	v_add_co_ci_u32_e64 v4, s0, s7, v4, s0
	global_load_b32 v3, v[3:4], off
	v_mov_b32_e32 v4, s2
	s_waitcnt vmcnt(0)
	v_lshrrev_b32_e32 v3, v24, v3
.LBB32_29:
	s_or_b32 exec_lo, exec_lo, s1
	v_dual_mov_b32 v28, 0 :: v_dual_mov_b32 v27, 0
	v_dual_mov_b32 v26, 0 :: v_dual_mov_b32 v25, 0
	;; [unrolled: 1-line block ×4, first 2 shown]
	v_mov_b32_e32 v19, 0
	v_mov_b32_e32 v13, 0
	s_cmp_ge_i32 s15, s20
	s_mov_b32 s18, 0
	s_cbranch_scc1 .LBB32_50
; %bb.30:
	v_lshrrev_b32_e32 v1, 27, v1
	v_add_nc_u32_e32 v4, v4, v12
	v_ashrrev_i32_e32 v13, 31, v12
	s_add_i32 s21, s13, s15
	v_dual_mov_b32 v19, 0 :: v_dual_and_b32 v32, 7, v3
	v_dual_mov_b32 v21, 0 :: v_dual_add_nc_u32 v0, v0, v1
	v_bfe_u32 v33, v3, 3, 3
	v_bfe_u32 v34, v3, 6, 3
	;; [unrolled: 1-line block ×3, first 2 shown]
	s_delay_alu instid0(VALU_DEP_4)
	v_ashrrev_i32_e32 v14, 5, v0
	v_lshlrev_b64 v[0:1], 2, v[12:13]
	v_mov_b32_e32 v13, 0
	s_waitcnt vmcnt(0)
	v_ashrrev_i32_e32 v5, 31, v4
	v_cmp_lt_u32_e64 s1, 16, v2
	v_cmp_ne_u32_e64 s2, 20, v2
	v_mad_u32_u24 v30, v2, 3, 0xffffffc0
	v_mad_u32_u24 v31, v2, 3, 0xffffffe0
	v_lshlrev_b64 v[4:5], 1, v[4:5]
	v_dual_mov_b32 v20, 0 :: v_dual_mov_b32 v23, 0
	v_dual_mov_b32 v22, 0 :: v_dual_mov_b32 v25, 0
	v_dual_mov_b32 v26, 0 :: v_dual_mov_b32 v27, 0
	s_delay_alu instid0(VALU_DEP_4) | instskip(NEXT) | instid1(VALU_DEP_1)
	v_add_co_u32 v4, s0, s8, v4
	v_add_co_ci_u32_e64 v5, s0, s9, v5, s0
	s_lshr_b32 s0, s15, 5
	v_mov_b32_e32 v28, 0
	s_mul_i32 s0, s0, s16
	global_load_b64 v[17:18], v[4:5], off
	s_mul_i32 s22, s0, 3
	s_mov_b32 s24, 0x1c001c0
	s_ashr_i32 s23, s22, 31
	s_bitcmp1_b32 s19, 0
	s_mul_hi_i32 s19, s16, 12
	s_cselect_b32 s0, -1, 0
	s_lshl_b64 s[22:23], s[22:23], 2
	s_xor_b32 s0, s0, -1
	s_ashr_i32 s17, s16, 31
	s_add_u32 s3, s4, s22
	s_addc_u32 s4, s5, s23
	v_add_co_u32 v15, s3, s3, v0
	v_cndmask_b32_e64 v29, 0, 1, s0
	v_cmp_ne_u32_e64 s0, 8, v2
	v_add_co_ci_u32_e64 v16, s3, s4, v1, s3
	s_mul_i32 s22, s16, 12
	s_lshl_b64 s[4:5], s[16:17], 2
	s_mov_b32 s17, 0x70007
	s_mov_b32 s23, 0x380038
	s_branch .LBB32_33
.LBB32_31:                              ;   in Loop: Header=BB32_33 Depth=1
	s_or_b32 exec_lo, exec_lo, s3
	v_add_nc_u32_e32 v0, s25, v12
	s_delay_alu instid0(VALU_DEP_2)
	v_and_b32_e32 v32, 7, v2
	v_bfe_u32 v33, v2, 3, 3
	v_bfe_u32 v34, v2, 6, 3
	;; [unrolled: 1-line block ×3, first 2 shown]
	v_ashrrev_i32_e32 v1, 31, v0
	s_add_i32 s21, s21, s13
	s_delay_alu instid0(VALU_DEP_1) | instskip(NEXT) | instid1(VALU_DEP_1)
	v_lshlrev_b64 v[0:1], 1, v[0:1]
	v_add_co_u32 v0, s3, s8, v0
	s_delay_alu instid0(VALU_DEP_1)
	v_add_co_ci_u32_e64 v1, s3, s9, v1, s3
	global_load_b64 v[17:18], v[0:1], off
.LBB32_32:                              ;   in Loop: Header=BB32_33 Depth=1
	global_load_b128 v[8:11], v[15:16], off
	v_add_co_u32 v0, s3, v15, s4
	s_delay_alu instid0(VALU_DEP_1) | instskip(SKIP_4) | instid1(VALU_DEP_1)
	v_add_co_ci_u32_e64 v1, s3, s5, v16, s3
	v_dual_mov_b32 v36, s18 :: v_dual_add_nc_u32 v39, v33, v29
	v_add_nc_u32_e32 v40, v34, v29
	global_load_b128 v[4:7], v[0:1], off
	v_add_co_u32 v0, s3, v0, s4
	v_add_co_ci_u32_e64 v1, s3, s5, v1, s3
	v_add_nc_u32_e32 v41, v35, v29
	ds_load_2addr_b32 v[81:82], v36 offset1:1
	ds_load_2addr_b32 v[105:106], v36 offset0:2 offset1:3
	s_add_i32 s3, s18, 0x400
	v_add_nc_u32_e32 v38, v32, v29
	v_cvt_f32_i32_e32 v43, v39
	v_cvt_f32_i32_e32 v44, v40
	v_cvt_f32_i32_e32 v45, v41
	ds_load_2addr_b32 v[90:91], v36 offset0:128 offset1:129
	v_cvt_f32_i32_e32 v42, v38
	v_or_b32_e32 v37, 0xffffe400, v38
	v_or_b32_e32 v38, 0xffffe400, v39
	;; [unrolled: 1-line block ×4, first 2 shown]
	v_cvt_f16_f32_e32 v58, v42
	v_cvt_f16_f32_e32 v62, v43
	;; [unrolled: 1-line block ×4, first 2 shown]
	global_load_b128 v[0:3], v[0:1], off
	v_sub_f16_e32 v44, 0xd800, v58
	v_sub_f16_e32 v43, 0xd800, v62
	;; [unrolled: 1-line block ×4, first 2 shown]
	s_add_i32 s15, s15, 32
	ds_load_2addr_b32 v[95:96], v36 offset0:192 offset1:193
	ds_load_2addr_b32 v[111:112], v36 offset0:194 offset1:195
	s_waitcnt vmcnt(2)
	v_and_or_b32 v45, v8, s17, 0x64006400
	v_and_or_b32 v47, v9, s17, 0x64006400
	;; [unrolled: 1-line block ×8, first 2 shown]
	v_pk_add_f16 v74, v37, v45 op_sel_hi:[0,1]
	v_pk_add_f16 v98, v38, v47 op_sel_hi:[0,1]
	;; [unrolled: 1-line block ×4, first 2 shown]
	v_pk_fma_f16 v86, 0x3000, v46, v44 op_sel_hi:[0,1,0]
	v_pk_fma_f16 v99, 0x3000, v48, v43 op_sel_hi:[0,1,0]
	;; [unrolled: 1-line block ×3, first 2 shown]
	s_waitcnt lgkmcnt(4)
	v_pk_fma_f16 v67, v74, v81, 0
	v_pk_fma_f16 v83, v98, v81, 0
	;; [unrolled: 1-line block ×3, first 2 shown]
	v_pk_fma_f16 v103, 0x3000, v59, v41 op_sel_hi:[0,1,0]
	v_pk_fma_f16 v57, v102, v81, 0
	v_pk_fma_f16 v84, v86, v82, v67
	;; [unrolled: 1-line block ×4, first 2 shown]
	s_waitcnt lgkmcnt(2)
	v_pk_fma_f16 v67, v98, v90, 0
	v_pk_fma_f16 v92, v103, v82, v57
	ds_load_2addr_b32 v[82:83], v36 offset0:64 offset1:65
	v_lshrrev_b32_e32 v68, 6, v8
	v_lshrrev_b32_e32 v69, 6, v9
	;; [unrolled: 1-line block ×4, first 2 shown]
	s_waitcnt vmcnt(1)
	v_and_or_b32 v77, v4, s17, 0x64006400
	v_and_or_b32 v78, v5, s17, 0x64006400
	;; [unrolled: 1-line block ×4, first 2 shown]
	v_lshrrev_b32_e32 v60, 6, v4
	v_and_or_b32 v71, v5, s23, 0x64006400
	v_and_or_b32 v70, v4, s23, 0x64006400
	v_lshrrev_b32_e32 v61, 6, v5
	v_and_or_b32 v72, v6, s23, 0x64006400
	v_lshrrev_b32_e32 v63, 6, v6
	;; [unrolled: 2-line block ×3, first 2 shown]
	s_waitcnt vmcnt(0)
	v_and_or_b32 v51, v1, s17, 0x64006400
	v_and_or_b32 v52, v1, s23, 0x64006400
	;; [unrolled: 1-line block ×3, first 2 shown]
	s_waitcnt lgkmcnt(0)
	v_pk_fma_f16 v59, v98, v82, 0
	v_pk_fma_f16 v57, v74, v82, 0
	v_and_or_b32 v54, v2, s23, 0x64006400
	v_and_or_b32 v55, v3, s17, 0x64006400
	;; [unrolled: 1-line block ×3, first 2 shown]
	v_pk_fma_f16 v81, v99, v83, v59
	v_pk_fma_f16 v59, v100, v82, 0
	;; [unrolled: 1-line block ×3, first 2 shown]
	v_and_or_b32 v50, v0, s23, 0x64006400
	v_and_or_b32 v56, v3, s23, 0x64006400
	v_lshrrev_b32_e32 v45, 14, v7
	v_pk_fma_f16 v88, v101, v83, v59
	v_pk_fma_f16 v59, v102, v82, 0
	v_pk_fma_f16 v82, v99, v91, v67
	v_pk_fma_f16 v67, v100, v90, 0
	v_pk_fma_f16 v50, 0x3000, v50, v44 op_sel_hi:[0,1,0]
	v_lshrrev_b32_e32 v7, 6, v0
	v_pk_fma_f16 v93, v103, v83, v59
	v_pk_fma_f16 v59, v74, v90, 0
	;; [unrolled: 1-line block ×7, first 2 shown]
	v_lshrrev_b32_e32 v46, 13, v0
	v_pk_fma_f16 v94, v103, v91, v67
	v_pk_fma_f16 v91, v102, v95, 0
	;; [unrolled: 1-line block ×5, first 2 shown]
	v_lshrrev_b32_e32 v0, 6, v1
	v_pk_fma_f16 v95, v103, v96, v91
	v_mov_b32_e32 v91, s3
	v_pk_fma_f16 v67, v86, v96, v67
	s_add_i32 s3, s18, 0x408
	v_lshrrev_b32_e32 v47, 13, v1
	v_lshrrev_b32_e32 v1, 6, v2
	ds_load_2addr_b32 v[96:97], v91 offset1:1
	v_lshrrev_b32_e32 v48, 13, v2
	v_lshrrev_b32_e32 v2, 6, v3
	;; [unrolled: 1-line block ×7, first 2 shown]
	v_and_b32_e32 v4, 0x20002, v4
	v_lshrrev_b32_e32 v3, 13, v3
	v_and_b32_e32 v6, 0x20002, v6
	v_lshrrev_b32_e32 v5, 14, v5
	v_lshrrev_b32_e32 v9, 15, v9
	v_and_or_b32 v4, 0x10001, v8, v4
	v_and_b32_e32 v8, 0x20002, v45
	v_and_or_b32 v6, 0x10001, v10, v6
	v_and_b32_e32 v5, 0x20002, v5
	s_delay_alu instid0(VALU_DEP_3)
	v_and_or_b32 v8, 0x10001, v11, v8
	s_waitcnt lgkmcnt(0)
	v_pk_fma_f16 v74, v74, v96, 0
	v_pk_fma_f16 v91, v100, v96, 0
	v_and_or_b32 v5, 0x10001, v9, v5
	v_and_b32_e32 v9, 0x40004, v46
	s_delay_alu instid0(VALU_DEP_4)
	v_pk_fma_f16 v74, v86, v97, v74
	v_pk_fma_f16 v86, v98, v96, 0
	;; [unrolled: 1-line block ×4, first 2 shown]
	v_and_or_b32 v101, v75, s17, 0x64006400
	v_or3_b32 v4, v4, v9, 0x64006400
	v_pk_fma_f16 v86, v99, v97, v86
	v_pk_fma_f16 v96, v103, v97, v96
	v_and_or_b32 v97, v68, s17, 0x64006400
	v_and_or_b32 v99, v69, s17, 0x64006400
	;; [unrolled: 1-line block ×3, first 2 shown]
	v_pk_add_f16 v102, v39, v101 op_sel_hi:[0,1]
	v_and_or_b32 v101, v75, s23, 0x64006400
	v_pk_add_f16 v98, v37, v97 op_sel_hi:[0,1]
	v_and_or_b32 v97, v68, s23, 0x64006400
	;; [unrolled: 2-line block ×3, first 2 shown]
	v_pk_add_f16 v104, v40, v103 op_sel_hi:[0,1]
	v_pk_fma_f16 v84, v98, v105, v84
	v_pk_fma_f16 v97, 0x3000, v97, v44 op_sel_hi:[0,1,0]
	v_pk_fma_f16 v85, v100, v105, v85
	v_pk_fma_f16 v99, 0x3000, v99, v43 op_sel_hi:[0,1,0]
	v_pk_fma_f16 v107, v102, v105, v87
	v_pk_fma_f16 v105, v104, v105, v92
	;; [unrolled: 1-line block ×3, first 2 shown]
	v_and_or_b32 v103, v76, s23, 0x64006400
	v_pk_fma_f16 v92, v99, v106, v85
	ds_load_2addr_b32 v[84:85], v36 offset0:66 offset1:67
	v_pk_fma_f16 v101, 0x3000, v101, v42 op_sel_hi:[0,1,0]
	v_pk_fma_f16 v103, 0x3000, v103, v41 op_sel_hi:[0,1,0]
	s_delay_alu instid0(VALU_DEP_2) | instskip(NEXT) | instid1(VALU_DEP_2)
	v_pk_fma_f16 v107, v101, v106, v107
	v_pk_fma_f16 v108, v103, v106, v105
	s_waitcnt lgkmcnt(0)
	v_pk_fma_f16 v57, v98, v84, v57
	v_pk_fma_f16 v105, v100, v84, v81
	;; [unrolled: 1-line block ×4, first 2 shown]
	s_delay_alu instid0(VALU_DEP_4) | instskip(NEXT) | instid1(VALU_DEP_4)
	v_pk_fma_f16 v81, v97, v85, v57
	v_pk_fma_f16 v88, v99, v85, v105
	s_delay_alu instid0(VALU_DEP_4) | instskip(NEXT) | instid1(VALU_DEP_4)
	v_pk_fma_f16 v109, v101, v85, v106
	v_pk_fma_f16 v110, v103, v85, v84
	ds_load_2addr_b32 v[84:85], v36 offset0:130 offset1:131
	s_waitcnt lgkmcnt(0)
	v_pk_fma_f16 v57, v98, v84, v59
	v_pk_fma_f16 v59, v100, v84, v82
	;; [unrolled: 1-line block ×4, first 2 shown]
	s_delay_alu instid0(VALU_DEP_4)
	v_pk_fma_f16 v93, v97, v85, v57
	v_pk_fma_f16 v57, v98, v111, v67
	;; [unrolled: 1-line block ×7, first 2 shown]
	v_mov_b32_e32 v57, s3
	v_pk_fma_f16 v59, v100, v111, v83
	v_pk_fma_f16 v84, v104, v111, v95
	v_sub_f16_e32 v95, 0xcc00, v66
	v_and_or_b32 v66, v76, s24, 0x64006400
	ds_load_2addr_b32 v[89:90], v57 offset1:1
	v_pk_fma_f16 v82, v99, v112, v59
	v_pk_fma_f16 v83, v101, v112, v67
	;; [unrolled: 1-line block ×3, first 2 shown]
	v_pk_fma_f16 v66, 0x2400, v66, v95 op_sel_hi:[0,1,0]
	s_add_i32 s3, s18, 0x410
	s_waitcnt lgkmcnt(0)
	v_pk_fma_f16 v57, v98, v89, v74
	v_pk_fma_f16 v59, v100, v89, v86
	;; [unrolled: 1-line block ×4, first 2 shown]
	v_sub_f16_e32 v96, 0xcc00, v64
	v_pk_fma_f16 v74, v97, v90, v57
	v_sub_f16_e32 v97, 0xcc00, v62
	v_and_or_b32 v62, v69, s24, 0x64006400
	v_and_or_b32 v64, v75, s24, 0x64006400
	v_pk_add_f16 v75, v37, v77 op_sel_hi:[0,1]
	v_sub_f16_e32 v98, 0xcc00, v58
	v_and_or_b32 v58, v68, s24, 0x64006400
	v_pk_fma_f16 v69, 0x2400, v62, v97 op_sel_hi:[0,1,0]
	v_pk_add_f16 v62, v38, v78 op_sel_hi:[0,1]
	ds_load_2addr_b32 v[77:78], v36 offset0:4 offset1:5
	v_pk_fma_f16 v68, 0x2400, v64, v96 op_sel_hi:[0,1,0]
	v_pk_fma_f16 v76, 0x2400, v58, v98 op_sel_hi:[0,1,0]
	v_pk_fma_f16 v67, v99, v90, v59
	v_pk_fma_f16 v59, v101, v90, v86
	v_pk_add_f16 v64, v39, v79 op_sel_hi:[0,1]
	v_pk_add_f16 v58, v40, v80 op_sel_hi:[0,1]
	v_pk_fma_f16 v57, v103, v90, v89
	s_waitcnt lgkmcnt(0)
	v_pk_fma_f16 v79, v76, v77, v87
	v_pk_fma_f16 v80, v69, v77, v92
	;; [unrolled: 1-line block ×4, first 2 shown]
	v_and_or_b32 v107, v65, s23, 0x64006400
	v_pk_fma_f16 v89, v75, v78, v79
	v_pk_fma_f16 v90, v62, v78, v80
	;; [unrolled: 1-line block ×4, first 2 shown]
	ds_load_2addr_b32 v[77:78], v36 offset0:68 offset1:69
	ds_load_2addr_b32 v[86:87], v36 offset0:6 offset1:7
	v_and_or_b32 v108, v65, s24, 0x64006400
	s_waitcnt lgkmcnt(1)
	v_pk_fma_f16 v79, v76, v77, v81
	v_pk_fma_f16 v80, v69, v77, v88
	;; [unrolled: 1-line block ×4, first 2 shown]
	s_delay_alu instid0(VALU_DEP_4) | instskip(NEXT) | instid1(VALU_DEP_4)
	v_pk_fma_f16 v88, v75, v78, v79
	v_pk_fma_f16 v99, v62, v78, v80
	s_delay_alu instid0(VALU_DEP_4) | instskip(NEXT) | instid1(VALU_DEP_4)
	v_pk_fma_f16 v81, v64, v78, v81
	v_pk_fma_f16 v100, v58, v78, v77
	v_pk_fma_f16 v77, 0x3000, v71, v43 op_sel_hi:[0,1,0]
	v_and_or_b32 v71, v60, s17, 0x64006400
	v_pk_fma_f16 v80, 0x3000, v70, v44 op_sel_hi:[0,1,0]
	v_pk_fma_f16 v78, 0x3000, v72, v42 op_sel_hi:[0,1,0]
	;; [unrolled: 1-line block ×3, first 2 shown]
	v_and_or_b32 v72, v63, s17, 0x64006400
	v_pk_add_f16 v79, v37, v71 op_sel_hi:[0,1]
	v_and_or_b32 v71, v61, s17, 0x64006400
	v_and_or_b32 v73, v65, s17, 0x64006400
	s_waitcnt lgkmcnt(0)
	v_pk_fma_f16 v89, v80, v86, v89
	v_pk_add_f16 v72, v39, v72 op_sel_hi:[0,1]
	v_pk_fma_f16 v90, v77, v86, v90
	v_pk_add_f16 v71, v38, v71 op_sel_hi:[0,1]
	v_pk_add_f16 v73, v40, v73 op_sel_hi:[0,1]
	v_pk_fma_f16 v91, v78, v86, v91
	v_pk_fma_f16 v86, v70, v86, v92
	;; [unrolled: 1-line block ×4, first 2 shown]
	s_delay_alu instid0(VALU_DEP_4) | instskip(NEXT) | instid1(VALU_DEP_4)
	v_pk_fma_f16 v91, v72, v87, v91
	v_pk_fma_f16 v102, v73, v87, v86
	ds_load_2addr_b32 v[86:87], v36 offset0:70 offset1:71
	s_waitcnt lgkmcnt(0)
	v_pk_fma_f16 v88, v80, v86, v88
	v_pk_fma_f16 v90, v77, v86, v99
	;; [unrolled: 1-line block ×4, first 2 shown]
	s_delay_alu instid0(VALU_DEP_4) | instskip(NEXT) | instid1(VALU_DEP_4)
	v_pk_fma_f16 v99, v79, v87, v88
	v_pk_fma_f16 v100, v71, v87, v90
	s_delay_alu instid0(VALU_DEP_4) | instskip(NEXT) | instid1(VALU_DEP_4)
	v_pk_fma_f16 v103, v72, v87, v81
	v_pk_fma_f16 v104, v73, v87, v86
	v_and_or_b32 v81, v60, s23, 0x64006400
	v_and_or_b32 v60, v60, s24, 0x64006400
	;; [unrolled: 1-line block ×6, first 2 shown]
	v_pk_fma_f16 v86, 0x2400, v60, v98 op_sel_hi:[0,1,0]
	v_pk_fma_f16 v92, 0x3000, v81, v44 op_sel_hi:[0,1,0]
	;; [unrolled: 1-line block ×3, first 2 shown]
	ds_load_2addr_b32 v[60:61], v36 offset0:8 offset1:9
	v_pk_fma_f16 v87, 0x3000, v87, v43 op_sel_hi:[0,1,0]
	v_pk_fma_f16 v88, 0x3000, v88, v42 op_sel_hi:[0,1,0]
	;; [unrolled: 1-line block ×5, first 2 shown]
	s_waitcnt lgkmcnt(0)
	v_pk_fma_f16 v89, v92, v60, v89
	v_pk_fma_f16 v101, v87, v60, v101
	;; [unrolled: 1-line block ×4, first 2 shown]
	s_delay_alu instid0(VALU_DEP_4) | instskip(NEXT) | instid1(VALU_DEP_4)
	v_pk_fma_f16 v89, v86, v61, v89
	v_pk_fma_f16 v101, v63, v61, v101
	s_delay_alu instid0(VALU_DEP_4) | instskip(NEXT) | instid1(VALU_DEP_4)
	v_pk_fma_f16 v102, v65, v61, v91
	v_pk_fma_f16 v107, v81, v61, v60
	ds_load_2addr_b32 v[60:61], v36 offset0:72 offset1:73
	s_waitcnt lgkmcnt(0)
	v_pk_fma_f16 v91, v92, v60, v99
	v_pk_fma_f16 v99, v87, v60, v100
	;; [unrolled: 1-line block ×4, first 2 shown]
	s_delay_alu instid0(VALU_DEP_4) | instskip(NEXT) | instid1(VALU_DEP_4)
	v_pk_fma_f16 v103, v86, v61, v91
	v_pk_fma_f16 v99, v63, v61, v99
	s_delay_alu instid0(VALU_DEP_4) | instskip(NEXT) | instid1(VALU_DEP_4)
	v_pk_fma_f16 v100, v65, v61, v100
	v_pk_fma_f16 v104, v81, v61, v60
	v_pk_add_f16 v60, v38, v51 op_sel_hi:[0,1]
	v_pk_fma_f16 v51, 0x3000, v52, v43 op_sel_hi:[0,1,0]
	v_pk_add_f16 v61, v39, v53 op_sel_hi:[0,1]
	v_pk_fma_f16 v52, 0x3000, v54, v42 op_sel_hi:[0,1,0]
	v_pk_add_f16 v53, v40, v55 op_sel_hi:[0,1]
	ds_load_2addr_b32 v[54:55], v36 offset0:10 offset1:11
	v_pk_add_f16 v91, v37, v49 op_sel_hi:[0,1]
	v_pk_fma_f16 v49, 0x3000, v56, v41 op_sel_hi:[0,1,0]
	s_waitcnt lgkmcnt(0)
	s_delay_alu instid0(VALU_DEP_2) | instskip(SKIP_3) | instid1(VALU_DEP_4)
	v_pk_fma_f16 v56, v91, v54, v89
	v_pk_fma_f16 v89, v60, v54, v101
	;; [unrolled: 1-line block ×5, first 2 shown]
	s_delay_alu instid0(VALU_DEP_4) | instskip(NEXT) | instid1(VALU_DEP_4)
	v_pk_fma_f16 v107, v51, v55, v89
	v_pk_fma_f16 v101, v52, v55, v101
	s_delay_alu instid0(VALU_DEP_4)
	v_pk_fma_f16 v108, v49, v55, v54
	ds_load_2addr_b32 v[54:55], v36 offset0:74 offset1:75
	s_waitcnt lgkmcnt(0)
	v_pk_fma_f16 v56, v91, v54, v103
	v_pk_fma_f16 v89, v60, v54, v99
	;; [unrolled: 1-line block ×4, first 2 shown]
	s_delay_alu instid0(VALU_DEP_4) | instskip(NEXT) | instid1(VALU_DEP_4)
	v_pk_fma_f16 v103, v50, v55, v56
	v_pk_fma_f16 v104, v51, v55, v89
	s_delay_alu instid0(VALU_DEP_4) | instskip(NEXT) | instid1(VALU_DEP_4)
	v_pk_fma_f16 v109, v52, v55, v99
	v_pk_fma_f16 v110, v49, v55, v54
	v_and_or_b32 v54, v7, s23, 0x64006400
	ds_load_2addr_b32 v[99:100], v36 offset0:12 offset1:13
	v_pk_fma_f16 v44, 0x3000, v54, v44 op_sel_hi:[0,1,0]
	v_and_or_b32 v54, v0, s23, 0x64006400
	s_delay_alu instid0(VALU_DEP_1) | instskip(SKIP_1) | instid1(VALU_DEP_1)
	v_pk_fma_f16 v43, 0x3000, v54, v43 op_sel_hi:[0,1,0]
	v_and_or_b32 v54, v1, s23, 0x64006400
	v_pk_fma_f16 v42, 0x3000, v54, v42 op_sel_hi:[0,1,0]
	v_and_or_b32 v54, v2, s23, 0x64006400
	s_delay_alu instid0(VALU_DEP_1) | instskip(SKIP_2) | instid1(VALU_DEP_2)
	v_pk_fma_f16 v41, 0x3000, v54, v41 op_sel_hi:[0,1,0]
	v_and_or_b32 v54, v7, s17, 0x64006400
	v_and_or_b32 v7, v7, s24, 0x64006400
	v_pk_add_f16 v55, v37, v54 op_sel_hi:[0,1]
	v_and_or_b32 v54, v0, s17, 0x64006400
	v_and_or_b32 v0, v0, s24, 0x64006400
	s_delay_alu instid0(VALU_DEP_4)
	v_pk_fma_f16 v10, 0x2400, v7, v98 op_sel_hi:[0,1,0]
	v_and_b32_e32 v7, 0x40004, v47
	v_pk_add_f16 v37, v37, v4 op_sel_hi:[0,1]
	v_pk_add_f16 v56, v38, v54 op_sel_hi:[0,1]
	v_and_or_b32 v54, v1, s17, 0x64006400
	v_and_or_b32 v1, v1, s24, 0x64006400
	v_pk_fma_f16 v45, 0x2400, v0, v97 op_sel_hi:[0,1,0]
	v_and_b32_e32 v0, 0x40004, v48
	v_or3_b32 v5, v5, v7, 0x64006400
	v_pk_add_f16 v89, v39, v54 op_sel_hi:[0,1]
	v_pk_fma_f16 v47, 0x2400, v1, v96 op_sel_hi:[0,1,0]
	v_and_b32_e32 v1, 0x40004, v3
	v_or3_b32 v0, v6, v0, 0x64006400
	v_and_or_b32 v54, v2, s17, 0x64006400
	v_and_or_b32 v2, v2, s24, 0x64006400
	v_pk_add_f16 v38, v38, v5 op_sel_hi:[0,1]
	v_or3_b32 v1, v8, v1, 0x64006400
	v_pk_add_f16 v39, v39, v0 op_sel_hi:[0,1]
	v_pk_add_f16 v54, v40, v54 op_sel_hi:[0,1]
	v_pk_fma_f16 v46, 0x2400, v2, v95 op_sel_hi:[0,1,0]
	s_delay_alu instid0(VALU_DEP_4)
	v_pk_add_f16 v11, v40, v1 op_sel_hi:[0,1]
	ds_load_2addr_b32 v[0:1], v36 offset0:14 offset1:15
	s_waitcnt lgkmcnt(1)
	v_pk_fma_f16 v102, v55, v99, v102
	v_pk_fma_f16 v107, v56, v99, v107
	v_pk_fma_f16 v101, v89, v99, v101
	v_pk_fma_f16 v99, v54, v99, v108
	s_delay_alu instid0(VALU_DEP_4) | instskip(NEXT) | instid1(VALU_DEP_4)
	v_pk_fma_f16 v102, v44, v100, v102
	v_pk_fma_f16 v107, v43, v100, v107
	s_delay_alu instid0(VALU_DEP_4) | instskip(NEXT) | instid1(VALU_DEP_4)
	v_pk_fma_f16 v101, v42, v100, v101
	v_pk_fma_f16 v108, v41, v100, v99
	ds_load_2addr_b32 v[99:100], v36 offset0:76 offset1:77
	s_waitcnt lgkmcnt(1)
	v_pk_fma_f16 v2, v10, v0, v102
	v_pk_fma_f16 v3, v45, v0, v107
	v_pk_fma_f16 v4, v47, v0, v101
	v_pk_fma_f16 v0, v46, v0, v108
	s_delay_alu instid0(VALU_DEP_4) | instskip(NEXT) | instid1(VALU_DEP_4)
	v_pk_fma_f16 v2, v37, v1, v2
	v_pk_fma_f16 v3, v38, v1, v3
	s_delay_alu instid0(VALU_DEP_4) | instskip(NEXT) | instid1(VALU_DEP_4)
	v_pk_fma_f16 v4, v39, v1, v4
	v_pk_fma_f16 v5, v11, v1, v0
	;; [unrolled: 12-line block ×3, first 2 shown]
	s_waitcnt lgkmcnt(0)
	v_pk_fma_f16 v6, v10, v0, v103
	v_pk_fma_f16 v7, v45, v0, v104
	v_pk_fma_f16 v8, v47, v0, v109
	v_pk_fma_f16 v0, v46, v0, v99
	s_delay_alu instid0(VALU_DEP_4) | instskip(NEXT) | instid1(VALU_DEP_4)
	v_pk_fma_f16 v6, v37, v1, v6
	v_pk_fma_f16 v7, v38, v1, v7
	s_delay_alu instid0(VALU_DEP_4) | instskip(NEXT) | instid1(VALU_DEP_4)
	v_pk_fma_f16 v8, v39, v1, v8
	v_pk_fma_f16 v9, v11, v1, v0
	ds_load_2addr_b32 v[0:1], v36 offset0:132 offset1:133
	s_waitcnt lgkmcnt(0)
	v_pk_fma_f16 v40, v76, v0, v93
	v_pk_fma_f16 v48, v69, v0, v94
	v_pk_fma_f16 v93, v68, v0, v105
	v_pk_fma_f16 v0, v66, v0, v106
	s_delay_alu instid0(VALU_DEP_4) | instskip(NEXT) | instid1(VALU_DEP_4)
	v_pk_fma_f16 v40, v75, v1, v40
	v_pk_fma_f16 v48, v62, v1, v48
	s_delay_alu instid0(VALU_DEP_4) | instskip(NEXT) | instid1(VALU_DEP_4)
	v_pk_fma_f16 v93, v64, v1, v93
	v_pk_fma_f16 v94, v58, v1, v0
	ds_load_2addr_b32 v[0:1], v36 offset0:134 offset1:135
	;; [unrolled: 12-line block ×3, first 2 shown]
	s_waitcnt lgkmcnt(0)
	v_pk_fma_f16 v40, v92, v0, v40
	v_pk_fma_f16 v48, v87, v0, v48
	;; [unrolled: 1-line block ×4, first 2 shown]
	s_delay_alu instid0(VALU_DEP_4) | instskip(NEXT) | instid1(VALU_DEP_4)
	v_pk_fma_f16 v40, v86, v1, v40
	v_pk_fma_f16 v48, v63, v1, v48
	s_delay_alu instid0(VALU_DEP_4) | instskip(NEXT) | instid1(VALU_DEP_4)
	v_pk_fma_f16 v93, v65, v1, v93
	v_pk_fma_f16 v94, v81, v1, v0
	v_pack_b32_f16 v0, v2, v3
	v_perm_b32 v1, v3, v2, 0x7060302
	v_pack_b32_f16 v2, v4, v5
	v_perm_b32 v3, v5, v4, 0x7060302
	;; [unrolled: 2-line block ×4, first 2 shown]
	v_pk_add_f16 v8, v0, v1
	ds_load_2addr_b32 v[0:1], v36 offset0:138 offset1:139
	v_pk_add_f16 v9, v2, v3
	v_pk_add_f16 v95, v4, v5
	;; [unrolled: 1-line block ×3, first 2 shown]
	v_pk_fma_f16 v28, v8, v17, v28
	s_delay_alu instid0(VALU_DEP_4) | instskip(NEXT) | instid1(VALU_DEP_4)
	v_pk_fma_f16 v27, v9, v18, v27
	v_pk_fma_f16 v26, v95, v17, v26
	s_delay_alu instid0(VALU_DEP_4)
	v_pk_fma_f16 v25, v6, v18, v25
	s_waitcnt lgkmcnt(0)
	v_pk_fma_f16 v2, v91, v0, v40
	v_pk_fma_f16 v3, v60, v0, v48
	;; [unrolled: 1-line block ×4, first 2 shown]
	s_delay_alu instid0(VALU_DEP_4) | instskip(NEXT) | instid1(VALU_DEP_4)
	v_pk_fma_f16 v4, v50, v1, v2
	v_pk_fma_f16 v5, v51, v1, v3
	ds_load_2addr_b32 v[2:3], v36 offset0:140 offset1:141
	v_pk_fma_f16 v6, v52, v1, v6
	s_waitcnt lgkmcnt(0)
	v_pk_fma_f16 v4, v55, v2, v4
	v_pk_fma_f16 v5, v56, v2, v5
	s_delay_alu instid0(VALU_DEP_3) | instskip(NEXT) | instid1(VALU_DEP_3)
	v_pk_fma_f16 v6, v89, v2, v6
	v_pk_fma_f16 v7, v44, v3, v4
	s_delay_alu instid0(VALU_DEP_3)
	v_pk_fma_f16 v40, v43, v3, v5
	ds_load_2addr_b32 v[4:5], v36 offset0:142 offset1:143
	v_pk_fma_f16 v6, v42, v3, v6
	s_waitcnt lgkmcnt(0)
	v_pk_fma_f16 v7, v10, v4, v7
	v_pk_fma_f16 v40, v45, v4, v40
	s_delay_alu instid0(VALU_DEP_3) | instskip(NEXT) | instid1(VALU_DEP_3)
	v_pk_fma_f16 v6, v47, v4, v6
	v_pk_fma_f16 v7, v37, v5, v7
	s_delay_alu instid0(VALU_DEP_3) | instskip(NEXT) | instid1(VALU_DEP_3)
	v_pk_fma_f16 v40, v38, v5, v40
	v_pk_fma_f16 v9, v39, v5, v6
	s_delay_alu instid0(VALU_DEP_2) | instskip(SKIP_1) | instid1(VALU_DEP_1)
	v_pack_b32_f16 v48, v7, v40
	v_perm_b32 v7, v40, v7, 0x7060302
	v_pk_add_f16 v8, v48, v7
	v_pk_fma_f16 v7, v49, v1, v0
	ds_load_2addr_b32 v[0:1], v36 offset0:196 offset1:197
	v_pk_fma_f16 v23, v8, v17, v23
	v_pk_fma_f16 v2, v54, v2, v7
	s_delay_alu instid0(VALU_DEP_1)
	v_pk_fma_f16 v7, v41, v3, v2
	ds_load_2addr_b32 v[2:3], v36 offset0:198 offset1:199
	v_pk_fma_f16 v4, v46, v4, v7
	ds_load_2addr_b32 v[6:7], v36 offset0:200 offset1:201
	v_pk_fma_f16 v48, v11, v5, v4
	s_waitcnt lgkmcnt(2)
	v_pk_fma_f16 v40, v76, v0, v85
	v_pk_fma_f16 v5, v69, v0, v82
	s_delay_alu instid0(VALU_DEP_2) | instskip(SKIP_2) | instid1(VALU_DEP_4)
	v_pk_fma_f16 v4, v75, v1, v40
	v_pk_fma_f16 v40, v68, v0, v83
	;; [unrolled: 1-line block ×4, first 2 shown]
	s_waitcnt lgkmcnt(1)
	v_pk_fma_f16 v82, v80, v2, v4
	v_pk_fma_f16 v40, v64, v1, v40
	;; [unrolled: 1-line block ×3, first 2 shown]
	ds_load_2addr_b32 v[4:5], v36 offset0:202 offset1:203
	v_pk_fma_f16 v1, v77, v2, v83
	v_pk_fma_f16 v82, v79, v3, v82
	;; [unrolled: 1-line block ×4, first 2 shown]
	s_delay_alu instid0(VALU_DEP_4)
	v_pk_fma_f16 v1, v71, v3, v1
	s_waitcnt lgkmcnt(1)
	v_pk_fma_f16 v82, v92, v6, v82
	v_pk_fma_f16 v40, v72, v3, v40
	;; [unrolled: 1-line block ×3, first 2 shown]
	ds_load_2addr_b32 v[2:3], v36 offset0:204 offset1:205
	v_pk_fma_f16 v0, v87, v6, v1
	v_pk_fma_f16 v1, v86, v7, v82
	;; [unrolled: 1-line block ×4, first 2 shown]
	s_delay_alu instid0(VALU_DEP_4) | instskip(NEXT) | instid1(VALU_DEP_3)
	v_pk_fma_f16 v82, v63, v7, v0
	v_pk_fma_f16 v83, v65, v7, v40
	s_delay_alu instid0(VALU_DEP_3)
	v_pk_fma_f16 v84, v81, v7, v6
	v_mov_b32_e32 v6, s3
	s_add_i32 s3, s18, 0x418
	v_perm_b32 v40, v48, v9, 0x7060302
	ds_load_2addr_b32 v[6:7], v6 offset1:1
	s_waitcnt lgkmcnt(2)
	v_pk_fma_f16 v8, v91, v4, v1
	ds_load_2addr_b32 v[0:1], v36 offset0:206 offset1:207
	v_pk_fma_f16 v36, v60, v4, v82
	v_pk_fma_f16 v8, v50, v5, v8
	s_delay_alu instid0(VALU_DEP_2) | instskip(SKIP_1) | instid1(VALU_DEP_2)
	v_pk_fma_f16 v36, v51, v5, v36
	s_waitcnt lgkmcnt(2)
	v_pk_fma_f16 v8, v55, v2, v8
	s_delay_alu instid0(VALU_DEP_2) | instskip(NEXT) | instid1(VALU_DEP_2)
	v_pk_fma_f16 v36, v56, v2, v36
	v_pk_fma_f16 v8, v44, v3, v8
	s_delay_alu instid0(VALU_DEP_2)
	v_pk_fma_f16 v36, v43, v3, v36
	s_waitcnt lgkmcnt(1)
	v_pk_fma_f16 v67, v69, v6, v67
	v_pk_fma_f16 v59, v68, v6, v59
	s_waitcnt lgkmcnt(0)
	v_pk_fma_f16 v8, v10, v0, v8
	v_pk_fma_f16 v36, v45, v0, v36
	;; [unrolled: 1-line block ×4, first 2 shown]
	s_delay_alu instid0(VALU_DEP_4) | instskip(NEXT) | instid1(VALU_DEP_4)
	v_pk_fma_f16 v8, v37, v1, v8
	v_pk_fma_f16 v82, v38, v1, v36
	v_pack_b32_f16 v36, v9, v48
	v_mov_b32_e32 v9, s3
	s_add_i32 s3, s18, 0x420
	s_delay_alu instid0(VALU_DEP_3) | instskip(SKIP_3) | instid1(VALU_DEP_2)
	v_pack_b32_f16 v48, v8, v82
	v_perm_b32 v82, v82, v8, 0x7060302
	v_pk_fma_f16 v8, v76, v6, v74
	v_pk_fma_f16 v6, v66, v6, v57
	;; [unrolled: 1-line block ×3, first 2 shown]
	ds_load_2addr_b32 v[8:9], v9 offset1:1
	v_pk_fma_f16 v75, v61, v4, v83
	v_pk_fma_f16 v58, v58, v7, v6
	;; [unrolled: 1-line block ×3, first 2 shown]
	s_delay_alu instid0(VALU_DEP_3) | instskip(NEXT) | instid1(VALU_DEP_2)
	v_pk_fma_f16 v75, v52, v5, v75
	v_pk_fma_f16 v4, v49, v5, v4
	s_delay_alu instid0(VALU_DEP_2) | instskip(NEXT) | instid1(VALU_DEP_2)
	v_pk_fma_f16 v75, v89, v2, v75
	v_pk_fma_f16 v2, v54, v2, v4
	s_delay_alu instid0(VALU_DEP_2) | instskip(NEXT) | instid1(VALU_DEP_2)
	v_pk_fma_f16 v75, v42, v3, v75
	v_pk_fma_f16 v2, v41, v3, v2
	s_waitcnt lgkmcnt(0)
	v_pk_fma_f16 v76, v80, v8, v74
	v_mov_b32_e32 v74, s3
	v_pk_fma_f16 v80, v47, v0, v75
	s_add_i32 s3, s18, 0x428
	v_pk_fma_f16 v59, v78, v8, v59
	v_mov_b32_e32 v57, s3
	ds_load_2addr_b32 v[74:75], v74 offset1:1
	s_add_i32 s3, s18, 0x430
	v_pk_fma_f16 v66, v79, v9, v76
	v_pk_fma_f16 v59, v72, v9, v59
	ds_load_2addr_b32 v[6:7], v57 offset1:1
	v_pk_fma_f16 v57, v77, v8, v62
	v_pk_fma_f16 v8, v70, v8, v58
	v_mov_b32_e32 v58, s3
	s_add_i32 s3, s18, 0x438
	v_pk_fma_f16 v0, v46, v0, v2
	v_pk_fma_f16 v57, v71, v9, v57
	;; [unrolled: 1-line block ×3, first 2 shown]
	ds_load_2addr_b32 v[8:9], v58 offset1:1
	v_pk_fma_f16 v69, v39, v1, v80
	v_pk_fma_f16 v0, v11, v1, v0
	s_add_i32 s18, s18, 64
	s_cmp_ge_i32 s15, s20
	s_waitcnt lgkmcnt(2)
	v_pk_fma_f16 v62, v92, v74, v66
	v_pk_fma_f16 v57, v87, v74, v57
	;; [unrolled: 1-line block ×4, first 2 shown]
	v_mov_b32_e32 v64, s3
	v_pk_fma_f16 v62, v86, v75, v62
	v_pk_fma_f16 v63, v63, v75, v57
	;; [unrolled: 1-line block ×4, first 2 shown]
	ds_load_2addr_b32 v[57:58], v64 offset1:1
	s_waitcnt lgkmcnt(2)
	v_pk_fma_f16 v62, v91, v6, v62
	v_pk_fma_f16 v60, v60, v6, v63
	;; [unrolled: 1-line block ×4, first 2 shown]
	v_add_co_u32 v15, s3, v15, s22
	v_pk_fma_f16 v5, v50, v7, v62
	v_pk_fma_f16 v50, v51, v7, v60
	;; [unrolled: 1-line block ×4, first 2 shown]
	v_add_co_ci_u32_e64 v16, s3, s19, v16, s3
	s_waitcnt lgkmcnt(1)
	v_pk_fma_f16 v4, v55, v8, v5
	v_pk_fma_f16 v5, v56, v8, v50
	;; [unrolled: 1-line block ×4, first 2 shown]
	s_delay_alu instid0(VALU_DEP_4) | instskip(NEXT) | instid1(VALU_DEP_4)
	v_pk_fma_f16 v3, v44, v9, v4
	v_pk_fma_f16 v4, v43, v9, v5
	s_delay_alu instid0(VALU_DEP_4) | instskip(NEXT) | instid1(VALU_DEP_4)
	v_pk_fma_f16 v5, v42, v9, v7
	v_pk_fma_f16 v6, v41, v9, v6
	v_pk_add_f16 v7, v48, v82
	s_waitcnt lgkmcnt(0)
	v_pk_fma_f16 v2, v10, v57, v3
	v_pk_fma_f16 v3, v45, v57, v4
	;; [unrolled: 1-line block ×9, first 2 shown]
	v_pack_b32_f16 v5, v69, v0
	v_perm_b32 v0, v0, v69, 0x7060302
	v_pack_b32_f16 v6, v1, v2
	v_perm_b32 v1, v2, v1, 0x7060302
	v_pack_b32_f16 v2, v3, v4
	v_perm_b32 v3, v4, v3, 0x7060302
	v_pk_add_f16 v4, v36, v40
	v_pk_add_f16 v0, v5, v0
	;; [unrolled: 1-line block ×3, first 2 shown]
	s_delay_alu instid0(VALU_DEP_4) | instskip(NEXT) | instid1(VALU_DEP_4)
	v_pk_add_f16 v2, v2, v3
	v_pk_fma_f16 v22, v4, v18, v22
	s_delay_alu instid0(VALU_DEP_4) | instskip(NEXT) | instid1(VALU_DEP_4)
	v_pk_fma_f16 v20, v0, v18, v20
	v_pk_fma_f16 v19, v1, v17, v19
	s_delay_alu instid0(VALU_DEP_4)
	v_pk_fma_f16 v13, v2, v18, v13
	s_cbranch_scc1 .LBB32_50
.LBB32_33:                              ; =>This Inner Loop Header: Depth=1
	s_cmp_lg_u32 s15, s21
	s_cbranch_scc1 .LBB32_32
; %bb.34:                               ;   in Loop: Header=BB32_33 Depth=1
	s_add_i32 s14, s14, 1
                                        ; implicit-def: $vgpr2
	s_delay_alu instid0(SALU_CYCLE_1) | instskip(NEXT) | instid1(SALU_CYCLE_1)
	s_mul_i32 s25, s14, s16
	s_ashr_i32 s3, s25, 31
	s_delay_alu instid0(SALU_CYCLE_1) | instskip(NEXT) | instid1(SALU_CYCLE_1)
	s_lshr_b32 s3, s3, 27
	s_add_i32 s3, s25, s3
	s_delay_alu instid0(SALU_CYCLE_1) | instskip(NEXT) | instid1(SALU_CYCLE_1)
	s_ashr_i32 s3, s3, 5
	v_mad_u64_u32 v[0:1], null, s3, 3, v[14:15]
	s_delay_alu instid0(VALU_DEP_1) | instskip(NEXT) | instid1(VALU_DEP_1)
	v_ashrrev_i32_e32 v1, 31, v0
	v_lshlrev_b64 v[0:1], 2, v[0:1]
	s_delay_alu instid0(VALU_DEP_1) | instskip(NEXT) | instid1(VALU_DEP_1)
	v_add_co_u32 v0, s3, s6, v0
	v_add_co_ci_u32_e64 v1, s3, s7, v1, s3
	global_load_b32 v3, v[0:1], off
	s_and_saveexec_b32 s3, vcc_lo
	s_delay_alu instid0(SALU_CYCLE_1)
	s_xor_b32 s3, exec_lo, s3
	s_cbranch_execz .LBB32_48
; %bb.35:                               ;   in Loop: Header=BB32_33 Depth=1
                                        ; implicit-def: $vgpr2
	s_and_saveexec_b32 s26, s0
	s_delay_alu instid0(SALU_CYCLE_1)
	s_xor_b32 s26, exec_lo, s26
	s_cbranch_execz .LBB32_45
; %bb.36:                               ;   in Loop: Header=BB32_33 Depth=1
                                        ; implicit-def: $vgpr2
	s_and_saveexec_b32 s27, s1
	;; [unrolled: 6-line block ×3, first 2 shown]
	s_delay_alu instid0(SALU_CYCLE_1)
	s_xor_b32 s28, exec_lo, s28
	s_cbranch_execz .LBB32_39
; %bb.38:                               ;   in Loop: Header=BB32_33 Depth=1
	s_waitcnt vmcnt(0)
	v_lshrrev_b32_e32 v2, v30, v3
                                        ; implicit-def: $vgpr0_vgpr1
                                        ; implicit-def: $vgpr3
.LBB32_39:                              ;   in Loop: Header=BB32_33 Depth=1
	s_and_not1_saveexec_b32 s28, s28
	s_cbranch_execz .LBB32_41
; %bb.40:                               ;   in Loop: Header=BB32_33 Depth=1
	global_load_b32 v0, v[0:1], off offset:4
	s_waitcnt vmcnt(0)
	v_alignbit_b32 v0, v0, v3, 28
	s_delay_alu instid0(VALU_DEP_1)
	v_and_b32_e32 v2, 0xfff, v0
.LBB32_41:                              ;   in Loop: Header=BB32_33 Depth=1
	s_or_b32 exec_lo, exec_lo, s28
                                        ; implicit-def: $vgpr3
.LBB32_42:                              ;   in Loop: Header=BB32_33 Depth=1
	s_and_not1_saveexec_b32 s27, s27
	s_cbranch_execz .LBB32_44
; %bb.43:                               ;   in Loop: Header=BB32_33 Depth=1
	s_waitcnt vmcnt(0)
	v_lshrrev_b32_e32 v2, v31, v3
.LBB32_44:                              ;   in Loop: Header=BB32_33 Depth=1
	s_or_b32 exec_lo, exec_lo, s27
                                        ; implicit-def: $vgpr0_vgpr1
                                        ; implicit-def: $vgpr3
.LBB32_45:                              ;   in Loop: Header=BB32_33 Depth=1
	s_and_not1_saveexec_b32 s26, s26
	s_cbranch_execz .LBB32_47
; %bb.46:                               ;   in Loop: Header=BB32_33 Depth=1
	global_load_b32 v0, v[0:1], off offset:4
	s_waitcnt vmcnt(0)
	v_perm_b32 v0, v3, v0, 0x2010007
	s_delay_alu instid0(VALU_DEP_1)
	v_and_b32_e32 v2, 0xfff, v0
.LBB32_47:                              ;   in Loop: Header=BB32_33 Depth=1
	s_or_b32 exec_lo, exec_lo, s26
                                        ; implicit-def: $vgpr3
.LBB32_48:                              ;   in Loop: Header=BB32_33 Depth=1
	s_and_not1_saveexec_b32 s3, s3
	s_cbranch_execz .LBB32_31
; %bb.49:                               ;   in Loop: Header=BB32_33 Depth=1
	s_waitcnt vmcnt(0)
	v_lshrrev_b32_e32 v2, v24, v3
	s_branch .LBB32_31
.LBB32_50:
	s_delay_alu instid0(VALU_DEP_1) | instskip(SKIP_1) | instid1(VALU_DEP_1)
	v_mad_u64_u32 v[0:1], null, s12, s16, v[12:13]
	s_mov_b32 s0, 0
	v_ashrrev_i32_e32 v1, 31, v0
	s_delay_alu instid0(VALU_DEP_1) | instskip(NEXT) | instid1(VALU_DEP_1)
	v_lshlrev_b64 v[1:2], 1, v[0:1]
	v_add_co_u32 v1, vcc_lo, s10, v1
	s_delay_alu instid0(VALU_DEP_2)
	v_add_co_ci_u32_e32 v2, vcc_lo, s11, v2, vcc_lo
	global_load_b32 v4, v[1:2], off
.LBB32_51:                              ; =>This Inner Loop Header: Depth=1
	s_waitcnt vmcnt(0)
	v_pk_add_f16 v3, v28, v4
	global_atomic_cmpswap_b32 v3, v[1:2], v[3:4], off glc
	s_waitcnt vmcnt(0)
	v_cmp_eq_u32_e32 vcc_lo, v4, v3
	v_mov_b32_e32 v4, v3
	s_or_b32 s0, vcc_lo, s0
	s_delay_alu instid0(SALU_CYCLE_1)
	s_and_not1_b32 exec_lo, exec_lo, s0
	s_cbranch_execnz .LBB32_51
; %bb.52:
	s_or_b32 exec_lo, exec_lo, s0
	global_load_b32 v4, v[1:2], off offset:4
	s_mov_b32 s0, 0
.LBB32_53:                              ; =>This Inner Loop Header: Depth=1
	s_waitcnt vmcnt(0)
	v_pk_add_f16 v3, v27, v4
	global_atomic_cmpswap_b32 v3, v[1:2], v[3:4], off offset:4 glc
	s_waitcnt vmcnt(0)
	v_cmp_eq_u32_e32 vcc_lo, v4, v3
	v_mov_b32_e32 v4, v3
	s_or_b32 s0, vcc_lo, s0
	s_delay_alu instid0(SALU_CYCLE_1)
	s_and_not1_b32 exec_lo, exec_lo, s0
	s_cbranch_execnz .LBB32_53
; %bb.54:
	s_or_b32 exec_lo, exec_lo, s0
	v_add_nc_u32_e32 v0, s16, v0
	s_mov_b32 s0, 0
	s_delay_alu instid0(VALU_DEP_1) | instskip(NEXT) | instid1(VALU_DEP_1)
	v_ashrrev_i32_e32 v1, 31, v0
	v_lshlrev_b64 v[1:2], 1, v[0:1]
	s_delay_alu instid0(VALU_DEP_1) | instskip(NEXT) | instid1(VALU_DEP_2)
	v_add_co_u32 v1, vcc_lo, s10, v1
	v_add_co_ci_u32_e32 v2, vcc_lo, s11, v2, vcc_lo
	global_load_b32 v4, v[1:2], off
.LBB32_55:                              ; =>This Inner Loop Header: Depth=1
	s_waitcnt vmcnt(0)
	v_pk_add_f16 v3, v26, v4
	global_atomic_cmpswap_b32 v3, v[1:2], v[3:4], off glc
	s_waitcnt vmcnt(0)
	v_cmp_eq_u32_e32 vcc_lo, v4, v3
	v_mov_b32_e32 v4, v3
	s_or_b32 s0, vcc_lo, s0
	s_delay_alu instid0(SALU_CYCLE_1)
	s_and_not1_b32 exec_lo, exec_lo, s0
	s_cbranch_execnz .LBB32_55
; %bb.56:
	s_or_b32 exec_lo, exec_lo, s0
	global_load_b32 v4, v[1:2], off offset:4
	s_mov_b32 s0, 0
.LBB32_57:                              ; =>This Inner Loop Header: Depth=1
	s_waitcnt vmcnt(0)
	v_pk_add_f16 v3, v25, v4
	global_atomic_cmpswap_b32 v3, v[1:2], v[3:4], off offset:4 glc
	s_waitcnt vmcnt(0)
	v_cmp_eq_u32_e32 vcc_lo, v4, v3
	v_mov_b32_e32 v4, v3
	s_or_b32 s0, vcc_lo, s0
	s_delay_alu instid0(SALU_CYCLE_1)
	s_and_not1_b32 exec_lo, exec_lo, s0
	s_cbranch_execnz .LBB32_57
; %bb.58:
	s_or_b32 exec_lo, exec_lo, s0
	v_add_nc_u32_e32 v0, s16, v0
	s_mov_b32 s0, 0
	s_delay_alu instid0(VALU_DEP_1) | instskip(NEXT) | instid1(VALU_DEP_1)
	v_ashrrev_i32_e32 v1, 31, v0
	v_lshlrev_b64 v[1:2], 1, v[0:1]
	s_delay_alu instid0(VALU_DEP_1) | instskip(NEXT) | instid1(VALU_DEP_2)
	v_add_co_u32 v1, vcc_lo, s10, v1
	;; [unrolled: 37-line block ×4, first 2 shown]
	v_add_co_ci_u32_e32 v1, vcc_lo, s11, v1, vcc_lo
	global_load_b32 v3, v[0:1], off
.LBB32_67:                              ; =>This Inner Loop Header: Depth=1
	s_waitcnt vmcnt(0)
	v_pk_add_f16 v2, v19, v3
	global_atomic_cmpswap_b32 v2, v[0:1], v[2:3], off glc
	s_waitcnt vmcnt(0)
	v_cmp_eq_u32_e32 vcc_lo, v3, v2
	v_mov_b32_e32 v3, v2
	s_or_b32 s0, vcc_lo, s0
	s_delay_alu instid0(SALU_CYCLE_1)
	s_and_not1_b32 exec_lo, exec_lo, s0
	s_cbranch_execnz .LBB32_67
; %bb.68:
	s_or_b32 exec_lo, exec_lo, s0
	global_load_b32 v3, v[0:1], off offset:4
	s_mov_b32 s0, 0
.LBB32_69:                              ; =>This Inner Loop Header: Depth=1
	s_waitcnt vmcnt(0)
	v_pk_add_f16 v2, v13, v3
	global_atomic_cmpswap_b32 v2, v[0:1], v[2:3], off offset:4 glc
	s_waitcnt vmcnt(0)
	v_cmp_eq_u32_e32 vcc_lo, v3, v2
	v_mov_b32_e32 v3, v2
	s_or_b32 s0, vcc_lo, s0
	s_delay_alu instid0(SALU_CYCLE_1)
	s_and_not1_b32 exec_lo, exec_lo, s0
	s_cbranch_execnz .LBB32_69
.LBB32_70:
	s_endpgm
	.section	.rodata,"a",@progbits
	.p2align	6, 0x0
	.amdhsa_kernel _ZN4vllm4gptq33gemm_half_q_half_gptq_3bit_kernelILb1ELi5EEEvPK6__halfPKjS6_S4_PS2_iiiibPKi
		.amdhsa_group_segment_fixed_size 1280
		.amdhsa_private_segment_fixed_size 0
		.amdhsa_kernarg_size 72
		.amdhsa_user_sgpr_count 13
		.amdhsa_user_sgpr_dispatch_ptr 0
		.amdhsa_user_sgpr_queue_ptr 0
		.amdhsa_user_sgpr_kernarg_segment_ptr 1
		.amdhsa_user_sgpr_dispatch_id 0
		.amdhsa_user_sgpr_private_segment_size 0
		.amdhsa_wavefront_size32 1
		.amdhsa_uses_dynamic_stack 0
		.amdhsa_enable_private_segment 0
		.amdhsa_system_sgpr_workgroup_id_x 1
		.amdhsa_system_sgpr_workgroup_id_y 1
		.amdhsa_system_sgpr_workgroup_id_z 1
		.amdhsa_system_sgpr_workgroup_info 0
		.amdhsa_system_vgpr_workitem_id 0
		.amdhsa_next_free_vgpr 113
		.amdhsa_next_free_sgpr 29
		.amdhsa_reserve_vcc 1
		.amdhsa_float_round_mode_32 0
		.amdhsa_float_round_mode_16_64 0
		.amdhsa_float_denorm_mode_32 3
		.amdhsa_float_denorm_mode_16_64 3
		.amdhsa_dx10_clamp 1
		.amdhsa_ieee_mode 1
		.amdhsa_fp16_overflow 0
		.amdhsa_workgroup_processor_mode 1
		.amdhsa_memory_ordered 1
		.amdhsa_forward_progress 0
		.amdhsa_shared_vgpr_count 0
		.amdhsa_exception_fp_ieee_invalid_op 0
		.amdhsa_exception_fp_denorm_src 0
		.amdhsa_exception_fp_ieee_div_zero 0
		.amdhsa_exception_fp_ieee_overflow 0
		.amdhsa_exception_fp_ieee_underflow 0
		.amdhsa_exception_fp_ieee_inexact 0
		.amdhsa_exception_int_div_zero 0
	.end_amdhsa_kernel
	.section	.text._ZN4vllm4gptq33gemm_half_q_half_gptq_3bit_kernelILb1ELi5EEEvPK6__halfPKjS6_S4_PS2_iiiibPKi,"axG",@progbits,_ZN4vllm4gptq33gemm_half_q_half_gptq_3bit_kernelILb1ELi5EEEvPK6__halfPKjS6_S4_PS2_iiiibPKi,comdat
.Lfunc_end32:
	.size	_ZN4vllm4gptq33gemm_half_q_half_gptq_3bit_kernelILb1ELi5EEEvPK6__halfPKjS6_S4_PS2_iiiibPKi, .Lfunc_end32-_ZN4vllm4gptq33gemm_half_q_half_gptq_3bit_kernelILb1ELi5EEEvPK6__halfPKjS6_S4_PS2_iiiibPKi
                                        ; -- End function
	.section	.AMDGPU.csdata,"",@progbits
; Kernel info:
; codeLenInByte = 8872
; NumSgprs: 31
; NumVgprs: 113
; ScratchSize: 0
; MemoryBound: 0
; FloatMode: 240
; IeeeMode: 1
; LDSByteSize: 1280 bytes/workgroup (compile time only)
; SGPRBlocks: 3
; VGPRBlocks: 14
; NumSGPRsForWavesPerEU: 31
; NumVGPRsForWavesPerEU: 113
; Occupancy: 12
; WaveLimiterHint : 0
; COMPUTE_PGM_RSRC2:SCRATCH_EN: 0
; COMPUTE_PGM_RSRC2:USER_SGPR: 13
; COMPUTE_PGM_RSRC2:TRAP_HANDLER: 0
; COMPUTE_PGM_RSRC2:TGID_X_EN: 1
; COMPUTE_PGM_RSRC2:TGID_Y_EN: 1
; COMPUTE_PGM_RSRC2:TGID_Z_EN: 1
; COMPUTE_PGM_RSRC2:TIDIG_COMP_CNT: 0
	.section	.text._ZN4vllm4gptq33gemm_half_q_half_gptq_4bit_kernelILb1ELi5EEEvPK6__halfPKjS6_S4_PS2_iiiibPKi,"axG",@progbits,_ZN4vllm4gptq33gemm_half_q_half_gptq_4bit_kernelILb1ELi5EEEvPK6__halfPKjS6_S4_PS2_iiiibPKi,comdat
	.protected	_ZN4vllm4gptq33gemm_half_q_half_gptq_4bit_kernelILb1ELi5EEEvPK6__halfPKjS6_S4_PS2_iiiibPKi ; -- Begin function _ZN4vllm4gptq33gemm_half_q_half_gptq_4bit_kernelILb1ELi5EEEvPK6__halfPKjS6_S4_PS2_iiiibPKi
	.globl	_ZN4vllm4gptq33gemm_half_q_half_gptq_4bit_kernelILb1ELi5EEEvPK6__halfPKjS6_S4_PS2_iiiibPKi
	.p2align	8
	.type	_ZN4vllm4gptq33gemm_half_q_half_gptq_4bit_kernelILb1ELi5EEEvPK6__halfPKjS6_S4_PS2_iiiibPKi,@function
_ZN4vllm4gptq33gemm_half_q_half_gptq_4bit_kernelILb1ELi5EEEvPK6__halfPKjS6_S4_PS2_iiiibPKi: ; @_ZN4vllm4gptq33gemm_half_q_half_gptq_4bit_kernelILb1ELi5EEEvPK6__halfPKjS6_S4_PS2_iiiibPKi
; %bb.0:
	s_load_b128 s[16:19], s[0:1], 0x2c
	s_lshl_b32 s15, s15, 7
	s_load_b256 s[4:11], s[0:1], 0x8
	s_add_i32 s2, s15, 0x80
	s_mul_i32 s12, s14, 5
	v_cvt_f64_u32_e32 v[1:2], s2
	s_mov_b32 s14, exec_lo
	s_waitcnt lgkmcnt(0)
	v_cvt_f64_i32_e32 v[3:4], s17
	s_delay_alu instid0(VALU_DEP_1) | instskip(NEXT) | instid1(VALU_DEP_1)
	v_min_f64 v[1:2], v[1:2], v[3:4]
	v_cvt_i32_f64_e32 v2, v[1:2]
	v_add_nc_u32_e32 v1, s15, v0
	s_delay_alu instid0(VALU_DEP_2) | instskip(NEXT) | instid1(VALU_DEP_2)
	v_readfirstlane_b32 s20, v2
	v_cmpx_lt_u32_e64 v1, v2
	s_cbranch_execz .LBB33_12
; %bb.1:
	s_clause 0x1
	s_load_b64 s[2:3], s[0:1], 0x40
	s_load_b64 s[0:1], s[0:1], 0x0
	v_mov_b32_e32 v2, 0
	s_delay_alu instid0(VALU_DEP_1) | instskip(SKIP_2) | instid1(VALU_DEP_2)
	v_lshlrev_b64 v[3:4], 2, v[1:2]
	v_dual_mov_b32 v6, v2 :: v_dual_mov_b32 v5, v1
	s_waitcnt lgkmcnt(0)
	v_add_co_u32 v3, vcc_lo, s2, v3
	s_delay_alu instid0(VALU_DEP_3)
	v_add_co_ci_u32_e32 v4, vcc_lo, s3, v4, vcc_lo
	s_cmp_lg_u64 s[2:3], 0
	s_cselect_b32 s21, -1, 0
	s_cmp_eq_u64 s[2:3], 0
	s_cbranch_scc1 .LBB33_3
; %bb.2:
	global_load_b32 v5, v[3:4], off
	s_waitcnt vmcnt(0)
	v_ashrrev_i32_e32 v6, 31, v5
.LBB33_3:
	s_mul_i32 s2, s12, s17
	s_delay_alu instid0(VALU_DEP_1)
	v_lshlrev_b64 v[5:6], 1, v[5:6]
	s_ashr_i32 s3, s2, 31
	v_lshlrev_b32_e32 v7, 1, v0
	s_lshl_b64 s[22:23], s[2:3], 1
	v_cndmask_b32_e64 v8, 0, 1, s21
	s_add_u32 s3, s0, s22
	s_addc_u32 s22, s1, s23
	v_add_co_u32 v5, vcc_lo, s3, v5
	v_add_co_ci_u32_e32 v6, vcc_lo, s22, v6, vcc_lo
	s_and_not1_b32 vcc_lo, exec_lo, s21
	global_load_u16 v9, v[5:6], off
	v_dual_mov_b32 v6, v2 :: v_dual_mov_b32 v5, v1
	s_waitcnt vmcnt(0)
	ds_store_b16 v7, v9
	s_cbranch_vccnz .LBB33_5
; %bb.4:
	global_load_b32 v5, v[3:4], off
	s_waitcnt vmcnt(0)
	v_ashrrev_i32_e32 v6, 31, v5
.LBB33_5:
	s_add_i32 s2, s2, s17
	s_delay_alu instid0(VALU_DEP_1) | instskip(SKIP_1) | instid1(SALU_CYCLE_1)
	v_lshlrev_b64 v[5:6], 1, v[5:6]
	s_ashr_i32 s3, s2, 31
	s_lshl_b64 s[22:23], s[2:3], 1
	s_delay_alu instid0(SALU_CYCLE_1) | instskip(SKIP_1) | instid1(VALU_DEP_1)
	s_add_u32 s3, s0, s22
	s_addc_u32 s21, s1, s23
	v_add_co_u32 v5, vcc_lo, s3, v5
	v_add_co_ci_u32_e32 v6, vcc_lo, s21, v6, vcc_lo
	v_cmp_ne_u32_e32 vcc_lo, 1, v8
	global_load_u16 v9, v[5:6], off
	v_dual_mov_b32 v6, v2 :: v_dual_mov_b32 v5, v1
	s_waitcnt vmcnt(0)
	ds_store_b16 v7, v9 offset:256
	s_cbranch_vccnz .LBB33_7
; %bb.6:
	global_load_b32 v5, v[3:4], off
	s_waitcnt vmcnt(0)
	v_ashrrev_i32_e32 v6, 31, v5
.LBB33_7:
	s_add_i32 s2, s2, s17
	s_delay_alu instid0(VALU_DEP_1) | instskip(SKIP_1) | instid1(SALU_CYCLE_1)
	v_lshlrev_b64 v[5:6], 1, v[5:6]
	s_ashr_i32 s3, s2, 31
	s_lshl_b64 s[22:23], s[2:3], 1
	s_delay_alu instid0(SALU_CYCLE_1) | instskip(SKIP_1) | instid1(VALU_DEP_1)
	s_add_u32 s3, s0, s22
	s_addc_u32 s21, s1, s23
	v_add_co_u32 v5, vcc_lo, s3, v5
	v_add_co_ci_u32_e32 v6, vcc_lo, s21, v6, vcc_lo
	v_cmp_ne_u32_e32 vcc_lo, 1, v8
	global_load_u16 v9, v[5:6], off
	v_dual_mov_b32 v6, v2 :: v_dual_mov_b32 v5, v1
	s_waitcnt vmcnt(0)
	ds_store_b16 v7, v9 offset:512
	s_cbranch_vccnz .LBB33_9
; %bb.8:
	global_load_b32 v5, v[3:4], off
	s_waitcnt vmcnt(0)
	v_ashrrev_i32_e32 v6, 31, v5
.LBB33_9:
	s_add_i32 s2, s2, s17
	s_delay_alu instid0(VALU_DEP_1) | instskip(SKIP_1) | instid1(SALU_CYCLE_1)
	v_lshlrev_b64 v[5:6], 1, v[5:6]
	s_ashr_i32 s3, s2, 31
	s_lshl_b64 s[22:23], s[2:3], 1
	s_delay_alu instid0(SALU_CYCLE_1) | instskip(SKIP_1) | instid1(VALU_DEP_1)
	s_add_u32 s3, s0, s22
	s_addc_u32 s21, s1, s23
	v_add_co_u32 v5, vcc_lo, s3, v5
	v_add_co_ci_u32_e32 v6, vcc_lo, s21, v6, vcc_lo
	v_cmp_ne_u32_e32 vcc_lo, 1, v8
	global_load_u16 v5, v[5:6], off
	s_waitcnt vmcnt(0)
	ds_store_b16 v7, v5 offset:768
	s_cbranch_vccnz .LBB33_11
; %bb.10:
	global_load_b32 v1, v[3:4], off
	s_waitcnt vmcnt(0)
	v_ashrrev_i32_e32 v2, 31, v1
.LBB33_11:
	s_add_i32 s2, s2, s17
	s_delay_alu instid0(VALU_DEP_1) | instskip(SKIP_1) | instid1(SALU_CYCLE_1)
	v_lshlrev_b64 v[1:2], 1, v[1:2]
	s_ashr_i32 s3, s2, 31
	s_lshl_b64 s[2:3], s[2:3], 1
	s_delay_alu instid0(SALU_CYCLE_1) | instskip(SKIP_1) | instid1(VALU_DEP_1)
	s_add_u32 s0, s0, s2
	s_addc_u32 s1, s1, s3
	v_add_co_u32 v1, vcc_lo, s0, v1
	v_add_co_ci_u32_e32 v2, vcc_lo, s1, v2, vcc_lo
	global_load_u16 v1, v[1:2], off
	s_waitcnt vmcnt(0)
	ds_store_b16 v7, v1 offset:1024
.LBB33_12:
	s_or_b32 exec_lo, exec_lo, s14
	v_lshlrev_b32_e32 v1, 2, v0
	s_mov_b32 s0, exec_lo
	s_delay_alu instid0(VALU_DEP_1) | instskip(NEXT) | instid1(VALU_DEP_1)
	v_lshl_add_u32 v1, s13, 9, v1
	v_cmpx_gt_i32_e64 s16, v1
	s_cbranch_execz .LBB33_39
; %bb.13:
	s_abs_i32 s0, s18
	v_dual_mov_b32 v5, 0 :: v_dual_mov_b32 v6, 0
	v_cvt_f32_u32_e32 v2, s0
	v_dual_mov_b32 v7, 0 :: v_dual_mov_b32 v8, 0
	v_dual_mov_b32 v9, 0 :: v_dual_mov_b32 v10, 0
	s_delay_alu instid0(VALU_DEP_3)
	v_rcp_iflag_f32_e32 v2, v2
	v_mov_b32_e32 v15, 0
	v_dual_mov_b32 v11, 0 :: v_dual_mov_b32 v12, 0
	v_dual_mov_b32 v13, 0 :: v_dual_mov_b32 v14, 0
	;; [unrolled: 1-line block ×4, first 2 shown]
	s_waitcnt_depctr 0xfff
	v_mul_f32_e32 v2, 0x4f7ffffe, v2
	v_dual_mov_b32 v30, 0 :: v_dual_mov_b32 v31, 0
	v_dual_mov_b32 v32, 0 :: v_dual_mov_b32 v33, 0
	s_delay_alu instid0(VALU_DEP_3)
	v_cvt_u32_f32_e32 v2, v2
	v_mov_b32_e32 v34, 0
	s_cmp_ge_i32 s15, s20
	s_mov_b32 s13, 0
	s_waitcnt lgkmcnt(0)
	v_readfirstlane_b32 s1, v2
	s_barrier
	buffer_gl0_inv
	s_cbranch_scc1 .LBB33_19
; %bb.14:
	s_sub_i32 s2, 0, s0
	s_abs_i32 s3, s17
	s_mul_i32 s2, s2, s1
	s_ashr_i32 s14, s18, 31
	s_mul_hi_u32 s2, s1, s2
	v_dual_mov_b32 v10, 0 :: v_dual_lshlrev_b32 v29, 4, v0
	s_add_i32 s1, s1, s2
	s_ashr_i32 s2, s17, 31
	s_mul_hi_u32 s1, s3, s1
	s_xor_b32 s2, s2, s14
	s_mul_i32 s17, s1, s0
	s_add_i32 s14, s1, 1
	s_sub_i32 s3, s3, s17
	v_and_b32_e32 v25, 16, v29
	s_sub_i32 s17, s3, s0
	s_cmp_ge_u32 s3, s0
	v_dual_mov_b32 v9, 0 :: v_dual_mov_b32 v14, 0
	s_cselect_b32 s1, s14, s1
	s_cselect_b32 s3, s17, s3
	s_add_i32 s14, s1, 1
	s_cmp_ge_u32 s3, s0
	v_dual_mov_b32 v11, 0 :: v_dual_mov_b32 v16, 0
	s_cselect_b32 s0, s14, s1
	v_dual_mov_b32 v13, 0 :: v_dual_mov_b32 v18, 0
	s_xor_b32 s0, s0, s2
	v_dual_mov_b32 v15, 0 :: v_dual_mov_b32 v20, 0
	s_sub_i32 s14, s0, s2
	s_bitcmp1_b32 s19, 0
	v_cvt_f32_u32_e32 v2, s14
	s_cselect_b32 s1, -1, 0
	s_sub_i32 s2, 0, s14
	s_xor_b32 s3, s1, -1
	v_dual_mov_b32 v17, 0 :: v_dual_mov_b32 v22, 0
	v_rcp_iflag_f32_e32 v2, v2
	v_cndmask_b32_e64 v26, 0, 1, s3
	v_dual_mov_b32 v19, 0 :: v_dual_mov_b32 v24, 0
	v_mov_b32_e32 v0, 0
	v_mov_b32_e32 v12, 0
	s_waitcnt_depctr 0xfff
	v_mul_f32_e32 v2, 0x4f7ffffe, v2
	s_delay_alu instid0(VALU_DEP_1) | instskip(NEXT) | instid1(VALU_DEP_1)
	v_cvt_u32_f32_e32 v2, v2
	v_readfirstlane_b32 s0, v2
	v_ashrrev_i32_e32 v2, 31, v1
	s_delay_alu instid0(VALU_DEP_2) | instskip(NEXT) | instid1(VALU_DEP_1)
	s_mul_i32 s2, s2, s0
	v_lshrrev_b32_e32 v3, 29, v2
	s_mul_hi_u32 s2, s0, s2
	s_delay_alu instid0(SALU_CYCLE_1) | instskip(NEXT) | instid1(VALU_DEP_1)
	s_add_i32 s0, s0, s2
	v_add_nc_u32_e32 v3, v1, v3
	s_mul_hi_u32 s0, s15, s0
	s_delay_alu instid0(SALU_CYCLE_1) | instskip(NEXT) | instid1(SALU_CYCLE_1)
	s_mul_i32 s2, s0, s14
	s_sub_i32 s1, s15, s2
	s_add_i32 s2, s0, 1
	s_sub_i32 s17, s1, s14
	s_cmp_ge_u32 s1, s14
	v_ashrrev_i32_e32 v6, 3, v3
	s_cselect_b32 s0, s2, s0
	s_cselect_b32 s1, s17, s1
	s_add_i32 s2, s0, 1
	s_cmp_ge_u32 s1, s14
	s_cselect_b32 s18, s2, s0
	s_delay_alu instid0(SALU_CYCLE_1) | instskip(NEXT) | instid1(SALU_CYCLE_1)
	s_mul_i32 s0, s18, s16
	s_ashr_i32 s1, s0, 31
	v_add_nc_u32_e32 v3, s0, v1
	s_lshr_b32 s1, s1, 29
	s_delay_alu instid0(SALU_CYCLE_1) | instskip(NEXT) | instid1(SALU_CYCLE_1)
	s_add_i32 s0, s0, s1
	s_ashr_i32 s0, s0, 3
	s_delay_alu instid0(VALU_DEP_1) | instskip(SKIP_2) | instid1(SALU_CYCLE_1)
	v_ashrrev_i32_e32 v4, 31, v3
	v_add_nc_u32_e32 v7, s0, v6
	s_lshr_b32 s0, s15, 3
	s_mul_i32 s0, s0, s16
	s_delay_alu instid0(VALU_DEP_2) | instskip(NEXT) | instid1(VALU_DEP_2)
	v_lshlrev_b64 v[3:4], 1, v[3:4]
	v_ashrrev_i32_e32 v8, 31, v7
	s_ashr_i32 s1, s0, 31
	s_delay_alu instid0(SALU_CYCLE_1) | instskip(NEXT) | instid1(VALU_DEP_1)
	s_lshl_b64 s[0:1], s[0:1], 2
	v_lshlrev_b64 v[7:8], 2, v[7:8]
	s_delay_alu instid0(VALU_DEP_3) | instskip(SKIP_2) | instid1(VALU_DEP_3)
	v_add_co_u32 v3, vcc_lo, s8, v3
	v_add_co_ci_u32_e32 v4, vcc_lo, s9, v4, vcc_lo
	s_add_u32 s0, s4, s0
	v_add_co_u32 v7, vcc_lo, s6, v7
	s_delay_alu instid0(VALU_DEP_4)
	v_add_co_ci_u32_e32 v8, vcc_lo, s7, v8, vcc_lo
	global_load_b64 v[4:5], v[3:4], off
	global_load_b32 v27, v[7:8], off
	v_mov_b32_e32 v8, 0
	v_lshlrev_b64 v[2:3], 2, v[1:2]
	s_addc_u32 s1, s5, s1
	v_mov_b32_e32 v7, 0
	s_ashr_i32 s17, s16, 31
	s_add_i32 s4, s14, s15
	s_lshl_b64 s[2:3], s[16:17], 2
	v_add_co_u32 v2, vcc_lo, s0, v2
	v_add_co_ci_u32_e32 v3, vcc_lo, s1, v3, vcc_lo
	s_lshl_b64 s[0:1], s[16:17], 4
	s_mov_b32 s5, 0xf000f
	s_mov_b32 s17, 0xf000f0
	s_waitcnt vmcnt(1)
	v_cvt_f32_f16_e32 v28, v4
	v_lshrrev_b32_e32 v4, 16, v4
	s_waitcnt vmcnt(0)
	v_lshrrev_b32_e32 v31, v29, v27
	v_cvt_f32_f16_e32 v29, v5
	v_lshrrev_b32_e32 v5, 16, v5
	v_bfe_u32 v27, v27, v25, 4
	v_cvt_f32_f16_e32 v30, v4
	v_bfe_u32 v4, v31, 12, 4
	v_bfe_u32 v32, v31, 8, 4
	;; [unrolled: 1-line block ×3, first 2 shown]
	v_mov_b32_e32 v21, 0
	v_mov_b32_e32 v23, 0
	v_add_nc_u32_e32 v27, v27, v26
	v_cvt_f32_f16_e32 v31, v5
	v_add_nc_u32_e32 v4, v4, v26
	v_add_nc_u32_e32 v5, v32, v26
	;; [unrolled: 1-line block ×3, first 2 shown]
	v_cvt_f32_ubyte0_e32 v33, v27
	v_or_b32_e32 v27, 0xffffe400, v27
	v_cvt_f32_ubyte0_e32 v34, v4
	v_or_b32_e32 v4, 0xffffe400, v4
	v_cvt_f32_ubyte0_e32 v35, v5
	v_cvt_f32_ubyte0_e32 v36, v32
	v_or_b32_e32 v5, 0xffffe400, v5
	v_or_b32_e32 v37, 0xffffe400, v32
	v_cvt_f16_f32_e32 v38, v33
	v_perm_b32 v32, v27, v27, 0x5040100
	v_cvt_f16_f32_e32 v27, v34
	v_perm_b32 v34, v4, v4, 0x5040100
	v_cvt_f16_f32_e32 v4, v35
	v_cvt_f16_f32_e32 v35, v36
	v_perm_b32 v33, v5, v5, 0x5040100
	v_sub_f16_e32 v5, 0xd400, v38
	v_sub_f16_e32 v27, 0xd400, v27
	;; [unrolled: 1-line block ×4, first 2 shown]
	v_perm_b32 v35, v37, v37, 0x5040100
	v_pack_b32_f16 v36, v5, v5
	v_pack_b32_f16 v37, v27, v27
	;; [unrolled: 1-line block ×4, first 2 shown]
	v_mov_b32_e32 v27, 0
	s_branch .LBB33_16
.LBB33_15:                              ;   in Loop: Header=BB33_16 Depth=1
	global_load_b128 v[40:43], v[2:3], off
	s_add_i32 s19, s13, 0x400
	s_add_i32 s15, s15, 32
	s_waitcnt vmcnt(0)
	v_and_or_b32 v4, v40, s5, 0x64006400
	v_and_or_b32 v5, v40, s17, 0x64006400
	v_lshrrev_b32_e32 v40, 8, v40
	s_delay_alu instid0(VALU_DEP_3) | instskip(NEXT) | instid1(VALU_DEP_3)
	v_pk_add_f16 v45, v32, v4
	v_pk_fma_f16 v46, 0x2c00, v5, v36 op_sel_hi:[0,1,1]
	s_delay_alu instid0(VALU_DEP_3) | instskip(SKIP_3) | instid1(VALU_DEP_4)
	v_and_or_b32 v44, v40, s5, 0x64006400
	v_and_or_b32 v40, v40, s17, 0x64006400
	;; [unrolled: 1-line block ×4, first 2 shown]
	v_pk_add_f16 v44, v32, v44
	s_delay_alu instid0(VALU_DEP_4)
	v_pk_fma_f16 v47, 0x2c00, v40, v36 op_sel_hi:[0,1,1]
	v_lshrrev_b32_e32 v40, 8, v41
	v_pk_add_f16 v48, v35, v4
	v_pk_fma_f16 v49, 0x2c00, v5, v39 op_sel_hi:[0,1,1]
	v_and_or_b32 v4, v42, s5, 0x64006400
	v_and_or_b32 v5, v42, s17, 0x64006400
	;; [unrolled: 1-line block ×4, first 2 shown]
	s_delay_alu instid0(VALU_DEP_4) | instskip(NEXT) | instid1(VALU_DEP_4)
	v_pk_add_f16 v52, v33, v4
	v_pk_fma_f16 v53, 0x2c00, v5, v38 op_sel_hi:[0,1,1]
	s_delay_alu instid0(VALU_DEP_4) | instskip(NEXT) | instid1(VALU_DEP_4)
	v_pk_add_f16 v50, v35, v41
	v_pk_fma_f16 v51, 0x2c00, v40, v39 op_sel_hi:[0,1,1]
	v_lshrrev_b32_e32 v40, 8, v42
	v_and_or_b32 v4, v43, s5, 0x64006400
	v_and_or_b32 v5, v43, s17, 0x64006400
	s_delay_alu instid0(VALU_DEP_3) | instskip(SKIP_1) | instid1(VALU_DEP_3)
	v_and_or_b32 v41, v40, s5, 0x64006400
	v_and_or_b32 v40, v40, s17, 0x64006400
	v_pk_fma_f16 v56, 0x2c00, v5, v37 op_sel_hi:[0,1,1]
	s_delay_alu instid0(VALU_DEP_3) | instskip(NEXT) | instid1(VALU_DEP_3)
	v_pk_add_f16 v54, v33, v41
	v_pk_fma_f16 v55, 0x2c00, v40, v38 op_sel_hi:[0,1,1]
	v_lshrrev_b32_e32 v40, 8, v43
	v_pk_add_f16 v43, v34, v4
	s_delay_alu instid0(VALU_DEP_2) | instskip(SKIP_1) | instid1(VALU_DEP_2)
	v_and_or_b32 v41, v40, s5, 0x64006400
	v_and_or_b32 v40, v40, s17, 0x64006400
	v_pk_add_f16 v57, v34, v41
	s_delay_alu instid0(VALU_DEP_2) | instskip(SKIP_4) | instid1(VALU_DEP_1)
	v_pk_fma_f16 v58, 0x2c00, v40, v37 op_sel_hi:[0,1,1]
	v_mov_b32_e32 v40, s13
	ds_load_2addr_b32 v[4:5], v40 offset1:1
	s_waitcnt lgkmcnt(0)
	v_pk_fma_f16 v41, v45, v4, 0
	v_pk_fma_f16 v59, v46, v5, v41
	ds_load_2addr_b32 v[41:42], v40 offset0:2 offset1:3
	s_waitcnt lgkmcnt(0)
	v_pk_fma_f16 v59, v44, v41, v59
	s_delay_alu instid0(VALU_DEP_1) | instskip(NEXT) | instid1(VALU_DEP_1)
	v_pk_fma_f16 v59, v47, v42, v59
	v_cvt_f32_f16_e32 v60, v59
	v_lshrrev_b32_e32 v59, 16, v59
	s_delay_alu instid0(VALU_DEP_1) | instskip(NEXT) | instid1(VALU_DEP_1)
	v_cvt_f32_f16_e32 v59, v59
	v_add_f32_e32 v59, v60, v59
	s_delay_alu instid0(VALU_DEP_1) | instskip(SKIP_1) | instid1(VALU_DEP_1)
	v_fmac_f32_e32 v0, v59, v28
	v_pk_fma_f16 v59, v48, v4, 0
	v_pk_fma_f16 v59, v49, v5, v59
	s_delay_alu instid0(VALU_DEP_1) | instskip(NEXT) | instid1(VALU_DEP_1)
	v_pk_fma_f16 v59, v50, v41, v59
	v_pk_fma_f16 v59, v51, v42, v59
	s_delay_alu instid0(VALU_DEP_1) | instskip(SKIP_1) | instid1(VALU_DEP_1)
	v_cvt_f32_f16_e32 v60, v59
	v_lshrrev_b32_e32 v59, 16, v59
	v_cvt_f32_f16_e32 v59, v59
	s_delay_alu instid0(VALU_DEP_1) | instskip(NEXT) | instid1(VALU_DEP_1)
	v_add_f32_e32 v59, v60, v59
	v_fmac_f32_e32 v7, v59, v30
	v_pk_fma_f16 v59, v52, v4, 0
	v_pk_fma_f16 v4, v43, v4, 0
	s_delay_alu instid0(VALU_DEP_2) | instskip(NEXT) | instid1(VALU_DEP_2)
	v_pk_fma_f16 v59, v53, v5, v59
	v_pk_fma_f16 v4, v56, v5, v4
	s_delay_alu instid0(VALU_DEP_2) | instskip(NEXT) | instid1(VALU_DEP_2)
	;; [unrolled: 3-line block ×3, first 2 shown]
	v_pk_fma_f16 v59, v55, v42, v59
	v_pk_fma_f16 v4, v58, v42, v4
	s_delay_alu instid0(VALU_DEP_2) | instskip(SKIP_1) | instid1(VALU_DEP_3)
	v_cvt_f32_f16_e32 v60, v59
	v_lshrrev_b32_e32 v59, 16, v59
	v_cvt_f32_f16_e32 v5, v4
	v_lshrrev_b32_e32 v4, 16, v4
	s_delay_alu instid0(VALU_DEP_3) | instskip(NEXT) | instid1(VALU_DEP_2)
	v_cvt_f32_f16_e32 v59, v59
	v_cvt_f32_f16_e32 v4, v4
	s_delay_alu instid0(VALU_DEP_1) | instskip(NEXT) | instid1(VALU_DEP_1)
	v_dual_add_f32 v59, v60, v59 :: v_dual_add_f32 v4, v5, v4
	v_dual_fmac_f32 v8, v59, v29 :: v_dual_fmac_f32 v9, v4, v31
	ds_load_2addr_b32 v[4:5], v40 offset0:64 offset1:65
	s_waitcnt lgkmcnt(0)
	v_pk_fma_f16 v41, v45, v4, 0
	s_delay_alu instid0(VALU_DEP_1) | instskip(SKIP_3) | instid1(VALU_DEP_1)
	v_pk_fma_f16 v59, v46, v5, v41
	ds_load_2addr_b32 v[41:42], v40 offset0:66 offset1:67
	s_waitcnt lgkmcnt(0)
	v_pk_fma_f16 v59, v44, v41, v59
	v_pk_fma_f16 v59, v47, v42, v59
	s_delay_alu instid0(VALU_DEP_1) | instskip(SKIP_1) | instid1(VALU_DEP_1)
	v_cvt_f32_f16_e32 v60, v59
	v_lshrrev_b32_e32 v59, 16, v59
	v_cvt_f32_f16_e32 v59, v59
	s_delay_alu instid0(VALU_DEP_1) | instskip(NEXT) | instid1(VALU_DEP_1)
	v_add_f32_e32 v59, v60, v59
	v_fmac_f32_e32 v10, v59, v28
	v_pk_fma_f16 v59, v48, v4, 0
	s_delay_alu instid0(VALU_DEP_1) | instskip(NEXT) | instid1(VALU_DEP_1)
	v_pk_fma_f16 v59, v49, v5, v59
	v_pk_fma_f16 v59, v50, v41, v59
	s_delay_alu instid0(VALU_DEP_1) | instskip(NEXT) | instid1(VALU_DEP_1)
	v_pk_fma_f16 v59, v51, v42, v59
	v_cvt_f32_f16_e32 v60, v59
	v_lshrrev_b32_e32 v59, 16, v59
	s_delay_alu instid0(VALU_DEP_1) | instskip(NEXT) | instid1(VALU_DEP_1)
	v_cvt_f32_f16_e32 v59, v59
	v_add_f32_e32 v59, v60, v59
	s_delay_alu instid0(VALU_DEP_1) | instskip(SKIP_2) | instid1(VALU_DEP_2)
	v_fmac_f32_e32 v11, v59, v30
	v_pk_fma_f16 v59, v52, v4, 0
	v_pk_fma_f16 v4, v43, v4, 0
	;; [unrolled: 1-line block ×3, first 2 shown]
	s_delay_alu instid0(VALU_DEP_2) | instskip(NEXT) | instid1(VALU_DEP_2)
	v_pk_fma_f16 v4, v56, v5, v4
	v_pk_fma_f16 v59, v54, v41, v59
	s_delay_alu instid0(VALU_DEP_2) | instskip(NEXT) | instid1(VALU_DEP_2)
	v_pk_fma_f16 v4, v57, v41, v4
	v_pk_fma_f16 v59, v55, v42, v59
	s_delay_alu instid0(VALU_DEP_2) | instskip(NEXT) | instid1(VALU_DEP_2)
	v_pk_fma_f16 v4, v58, v42, v4
	v_cvt_f32_f16_e32 v60, v59
	v_lshrrev_b32_e32 v59, 16, v59
	s_delay_alu instid0(VALU_DEP_3) | instskip(SKIP_1) | instid1(VALU_DEP_3)
	v_cvt_f32_f16_e32 v5, v4
	v_lshrrev_b32_e32 v4, 16, v4
	v_cvt_f32_f16_e32 v59, v59
	s_delay_alu instid0(VALU_DEP_2) | instskip(NEXT) | instid1(VALU_DEP_1)
	v_cvt_f32_f16_e32 v4, v4
	v_dual_add_f32 v59, v60, v59 :: v_dual_add_f32 v4, v5, v4
	s_delay_alu instid0(VALU_DEP_1) | instskip(SKIP_3) | instid1(VALU_DEP_1)
	v_dual_fmac_f32 v12, v59, v29 :: v_dual_fmac_f32 v13, v4, v31
	ds_load_2addr_b32 v[4:5], v40 offset0:128 offset1:129
	s_waitcnt lgkmcnt(0)
	v_pk_fma_f16 v41, v45, v4, 0
	v_pk_fma_f16 v59, v46, v5, v41
	ds_load_2addr_b32 v[41:42], v40 offset0:130 offset1:131
	s_waitcnt lgkmcnt(0)
	v_pk_fma_f16 v59, v44, v41, v59
	s_delay_alu instid0(VALU_DEP_1) | instskip(NEXT) | instid1(VALU_DEP_1)
	v_pk_fma_f16 v59, v47, v42, v59
	v_cvt_f32_f16_e32 v60, v59
	v_lshrrev_b32_e32 v59, 16, v59
	s_delay_alu instid0(VALU_DEP_1) | instskip(NEXT) | instid1(VALU_DEP_1)
	v_cvt_f32_f16_e32 v59, v59
	v_add_f32_e32 v59, v60, v59
	s_delay_alu instid0(VALU_DEP_1) | instskip(SKIP_1) | instid1(VALU_DEP_1)
	v_fmac_f32_e32 v14, v59, v28
	v_pk_fma_f16 v59, v48, v4, 0
	v_pk_fma_f16 v59, v49, v5, v59
	s_delay_alu instid0(VALU_DEP_1) | instskip(NEXT) | instid1(VALU_DEP_1)
	v_pk_fma_f16 v59, v50, v41, v59
	v_pk_fma_f16 v59, v51, v42, v59
	s_delay_alu instid0(VALU_DEP_1) | instskip(SKIP_1) | instid1(VALU_DEP_1)
	v_cvt_f32_f16_e32 v60, v59
	v_lshrrev_b32_e32 v59, 16, v59
	v_cvt_f32_f16_e32 v59, v59
	s_delay_alu instid0(VALU_DEP_1) | instskip(NEXT) | instid1(VALU_DEP_1)
	v_add_f32_e32 v59, v60, v59
	v_fmac_f32_e32 v15, v59, v30
	v_pk_fma_f16 v59, v52, v4, 0
	v_pk_fma_f16 v4, v43, v4, 0
	s_delay_alu instid0(VALU_DEP_2) | instskip(NEXT) | instid1(VALU_DEP_2)
	v_pk_fma_f16 v59, v53, v5, v59
	v_pk_fma_f16 v4, v56, v5, v4
	s_delay_alu instid0(VALU_DEP_2) | instskip(NEXT) | instid1(VALU_DEP_2)
	;; [unrolled: 3-line block ×3, first 2 shown]
	v_pk_fma_f16 v59, v55, v42, v59
	v_pk_fma_f16 v4, v58, v42, v4
	s_delay_alu instid0(VALU_DEP_2) | instskip(SKIP_1) | instid1(VALU_DEP_3)
	v_cvt_f32_f16_e32 v60, v59
	v_lshrrev_b32_e32 v59, 16, v59
	v_cvt_f32_f16_e32 v5, v4
	v_lshrrev_b32_e32 v4, 16, v4
	s_delay_alu instid0(VALU_DEP_3) | instskip(NEXT) | instid1(VALU_DEP_2)
	v_cvt_f32_f16_e32 v59, v59
	v_cvt_f32_f16_e32 v4, v4
	s_delay_alu instid0(VALU_DEP_1) | instskip(NEXT) | instid1(VALU_DEP_1)
	v_dual_add_f32 v59, v60, v59 :: v_dual_add_f32 v4, v5, v4
	v_dual_fmac_f32 v16, v59, v29 :: v_dual_fmac_f32 v17, v4, v31
	ds_load_2addr_b32 v[4:5], v40 offset0:192 offset1:193
	s_waitcnt lgkmcnt(0)
	v_pk_fma_f16 v41, v45, v4, 0
	s_delay_alu instid0(VALU_DEP_1) | instskip(SKIP_3) | instid1(VALU_DEP_1)
	v_pk_fma_f16 v59, v46, v5, v41
	ds_load_2addr_b32 v[41:42], v40 offset0:194 offset1:195
	s_waitcnt lgkmcnt(0)
	v_pk_fma_f16 v59, v44, v41, v59
	v_pk_fma_f16 v59, v47, v42, v59
	s_delay_alu instid0(VALU_DEP_1) | instskip(SKIP_1) | instid1(VALU_DEP_1)
	v_cvt_f32_f16_e32 v60, v59
	v_lshrrev_b32_e32 v59, 16, v59
	v_cvt_f32_f16_e32 v59, v59
	s_delay_alu instid0(VALU_DEP_1) | instskip(NEXT) | instid1(VALU_DEP_1)
	v_add_f32_e32 v59, v60, v59
	v_fmac_f32_e32 v18, v59, v28
	v_pk_fma_f16 v59, v48, v4, 0
	s_delay_alu instid0(VALU_DEP_1) | instskip(NEXT) | instid1(VALU_DEP_1)
	v_pk_fma_f16 v59, v49, v5, v59
	v_pk_fma_f16 v59, v50, v41, v59
	s_delay_alu instid0(VALU_DEP_1) | instskip(NEXT) | instid1(VALU_DEP_1)
	v_pk_fma_f16 v59, v51, v42, v59
	v_cvt_f32_f16_e32 v60, v59
	v_lshrrev_b32_e32 v59, 16, v59
	s_delay_alu instid0(VALU_DEP_1) | instskip(NEXT) | instid1(VALU_DEP_1)
	v_cvt_f32_f16_e32 v59, v59
	v_add_f32_e32 v59, v60, v59
	s_delay_alu instid0(VALU_DEP_1) | instskip(SKIP_2) | instid1(VALU_DEP_2)
	v_fmac_f32_e32 v19, v59, v30
	v_pk_fma_f16 v59, v52, v4, 0
	v_pk_fma_f16 v4, v43, v4, 0
	;; [unrolled: 1-line block ×3, first 2 shown]
	s_delay_alu instid0(VALU_DEP_2) | instskip(NEXT) | instid1(VALU_DEP_2)
	v_pk_fma_f16 v4, v56, v5, v4
	v_pk_fma_f16 v59, v54, v41, v59
	s_delay_alu instid0(VALU_DEP_2) | instskip(NEXT) | instid1(VALU_DEP_2)
	v_pk_fma_f16 v4, v57, v41, v4
	v_pk_fma_f16 v59, v55, v42, v59
	s_delay_alu instid0(VALU_DEP_2) | instskip(NEXT) | instid1(VALU_DEP_2)
	v_pk_fma_f16 v4, v58, v42, v4
	v_cvt_f32_f16_e32 v60, v59
	s_delay_alu instid0(VALU_DEP_2) | instskip(SKIP_2) | instid1(VALU_DEP_2)
	v_cvt_f32_f16_e32 v5, v4
	v_lshrrev_b32_e32 v4, 16, v4
	v_lshrrev_b32_e32 v59, 16, v59
	v_cvt_f32_f16_e32 v4, v4
	s_delay_alu instid0(VALU_DEP_2) | instskip(NEXT) | instid1(VALU_DEP_2)
	v_cvt_f32_f16_e32 v59, v59
	v_add_f32_e32 v4, v5, v4
	s_delay_alu instid0(VALU_DEP_1) | instskip(SKIP_4) | instid1(VALU_DEP_1)
	v_dual_fmac_f32 v21, v4, v31 :: v_dual_mov_b32 v4, s19
	s_add_i32 s19, s13, 0x408
	ds_load_2addr_b32 v[4:5], v4 offset1:1
	s_waitcnt lgkmcnt(0)
	v_pk_fma_f16 v41, v45, v4, 0
	v_pk_fma_f16 v45, v46, v5, v41
	v_mov_b32_e32 v41, s19
	s_add_i32 s19, s13, 0x410
	ds_load_2addr_b32 v[41:42], v41 offset1:1
	s_waitcnt lgkmcnt(0)
	v_pk_fma_f16 v44, v44, v41, v45
	s_delay_alu instid0(VALU_DEP_1) | instskip(NEXT) | instid1(VALU_DEP_1)
	v_pk_fma_f16 v44, v47, v42, v44
	v_cvt_f32_f16_e32 v45, v44
	v_lshrrev_b32_e32 v44, 16, v44
	s_delay_alu instid0(VALU_DEP_1) | instskip(NEXT) | instid1(VALU_DEP_1)
	v_cvt_f32_f16_e32 v44, v44
	v_add_f32_e32 v44, v45, v44
	s_delay_alu instid0(VALU_DEP_1) | instskip(SKIP_1) | instid1(VALU_DEP_1)
	v_fmac_f32_e32 v22, v44, v28
	v_pk_fma_f16 v44, v48, v4, 0
	v_pk_fma_f16 v44, v49, v5, v44
	s_delay_alu instid0(VALU_DEP_1) | instskip(NEXT) | instid1(VALU_DEP_1)
	v_pk_fma_f16 v44, v50, v41, v44
	v_pk_fma_f16 v44, v51, v42, v44
	s_delay_alu instid0(VALU_DEP_1) | instskip(SKIP_1) | instid1(VALU_DEP_1)
	v_cvt_f32_f16_e32 v45, v44
	v_lshrrev_b32_e32 v44, 16, v44
	v_cvt_f32_f16_e32 v44, v44
	s_delay_alu instid0(VALU_DEP_1) | instskip(NEXT) | instid1(VALU_DEP_1)
	v_add_f32_e32 v44, v45, v44
	v_fmac_f32_e32 v23, v44, v30
	v_pk_fma_f16 v44, v52, v4, 0
	v_pk_fma_f16 v4, v43, v4, 0
	s_delay_alu instid0(VALU_DEP_2) | instskip(NEXT) | instid1(VALU_DEP_2)
	v_pk_fma_f16 v44, v53, v5, v44
	v_pk_fma_f16 v4, v56, v5, v4
	s_delay_alu instid0(VALU_DEP_2) | instskip(NEXT) | instid1(VALU_DEP_2)
	;; [unrolled: 3-line block ×4, first 2 shown]
	v_cvt_f32_f16_e32 v45, v44
	v_cvt_f32_f16_e32 v5, v4
	v_lshrrev_b32_e32 v4, 16, v4
	v_lshrrev_b32_e32 v44, 16, v44
	s_delay_alu instid0(VALU_DEP_2) | instskip(SKIP_1) | instid1(VALU_DEP_3)
	v_cvt_f32_f16_e32 v4, v4
	v_add_f32_e32 v59, v60, v59
	v_cvt_f32_f16_e32 v44, v44
	s_delay_alu instid0(VALU_DEP_3) | instskip(NEXT) | instid1(VALU_DEP_3)
	v_add_f32_e32 v4, v5, v4
	v_fmac_f32_e32 v20, v59, v29
	s_delay_alu instid0(VALU_DEP_2) | instskip(SKIP_2) | instid1(VALU_DEP_3)
	v_dual_add_f32 v44, v45, v44 :: v_dual_fmac_f32 v27, v4, v31
	v_add_co_u32 v4, vcc_lo, v2, s2
	v_add_co_ci_u32_e32 v5, vcc_lo, s3, v3, vcc_lo
	v_fmac_f32_e32 v24, v44, v29
	global_load_b128 v[48:51], v[4:5], off
	v_add_co_u32 v4, vcc_lo, v4, s2
	v_add_co_ci_u32_e32 v5, vcc_lo, s3, v5, vcc_lo
	s_waitcnt vmcnt(0)
	v_lshrrev_b32_e32 v43, 8, v48
	v_and_or_b32 v41, v48, s5, 0x64006400
	v_and_or_b32 v42, v48, s17, 0x64006400
	v_lshrrev_b32_e32 v45, 8, v49
	v_and_or_b32 v48, v50, s17, 0x64006400
	v_and_or_b32 v44, v43, s5, 0x64006400
	;; [unrolled: 1-line block ×3, first 2 shown]
	v_pk_add_f16 v56, v32, v41
	v_pk_fma_f16 v55, 0x2c00, v42, v36 op_sel_hi:[0,1,1]
	v_and_or_b32 v46, v45, s5, 0x64006400
	v_pk_add_f16 v41, v32, v44
	v_pk_fma_f16 v42, 0x2c00, v43, v36 op_sel_hi:[0,1,1]
	v_and_or_b32 v43, v49, s5, 0x64006400
	v_and_or_b32 v44, v49, s17, 0x64006400
	;; [unrolled: 1-line block ×3, first 2 shown]
	v_lshrrev_b32_e32 v49, 8, v50
	v_pk_add_f16 v45, v35, v46
	v_and_or_b32 v53, v51, s17, 0x64006400
	v_pk_add_f16 v43, v35, v43
	v_pk_fma_f16 v46, 0x2c00, v47, v39 op_sel_hi:[0,1,1]
	v_and_or_b32 v47, v50, s5, 0x64006400
	v_and_or_b32 v50, v49, s5, 0x64006400
	v_and_or_b32 v52, v49, s17, 0x64006400
	v_pk_fma_f16 v44, 0x2c00, v44, v39 op_sel_hi:[0,1,1]
	v_pk_fma_f16 v48, 0x2c00, v48, v38 op_sel_hi:[0,1,1]
	v_pk_add_f16 v47, v33, v47
	v_pk_add_f16 v49, v33, v50
	v_pk_fma_f16 v50, 0x2c00, v52, v38 op_sel_hi:[0,1,1]
	v_and_or_b32 v52, v51, s5, 0x64006400
	v_lshrrev_b32_e32 v51, 8, v51
	s_delay_alu instid0(VALU_DEP_1) | instskip(SKIP_1) | instid1(VALU_DEP_4)
	v_and_or_b32 v54, v51, s5, 0x64006400
	v_and_or_b32 v57, v51, s17, 0x64006400
	v_pk_add_f16 v51, v34, v52
	v_pk_fma_f16 v52, 0x2c00, v53, v37 op_sel_hi:[0,1,1]
	s_delay_alu instid0(VALU_DEP_4) | instskip(NEXT) | instid1(VALU_DEP_4)
	v_pk_add_f16 v53, v34, v54
	v_pk_fma_f16 v54, 0x2c00, v57, v37 op_sel_hi:[0,1,1]
	ds_load_2addr_b32 v[57:58], v40 offset0:4 offset1:5
	s_waitcnt lgkmcnt(0)
	v_pk_fma_f16 v59, v56, v57, 0
	s_delay_alu instid0(VALU_DEP_1) | instskip(SKIP_3) | instid1(VALU_DEP_1)
	v_pk_fma_f16 v61, v55, v58, v59
	ds_load_2addr_b32 v[59:60], v40 offset0:6 offset1:7
	s_waitcnt lgkmcnt(0)
	v_pk_fma_f16 v61, v41, v59, v61
	v_pk_fma_f16 v61, v42, v60, v61
	s_delay_alu instid0(VALU_DEP_1) | instskip(SKIP_1) | instid1(VALU_DEP_1)
	v_cvt_f32_f16_e32 v62, v61
	v_lshrrev_b32_e32 v61, 16, v61
	v_cvt_f32_f16_e32 v61, v61
	s_delay_alu instid0(VALU_DEP_1) | instskip(NEXT) | instid1(VALU_DEP_1)
	v_add_f32_e32 v61, v62, v61
	v_fmac_f32_e32 v0, v61, v28
	v_pk_fma_f16 v61, v43, v57, 0
	s_delay_alu instid0(VALU_DEP_1) | instskip(NEXT) | instid1(VALU_DEP_1)
	v_pk_fma_f16 v61, v44, v58, v61
	v_pk_fma_f16 v61, v45, v59, v61
	s_delay_alu instid0(VALU_DEP_1) | instskip(NEXT) | instid1(VALU_DEP_1)
	v_pk_fma_f16 v61, v46, v60, v61
	v_cvt_f32_f16_e32 v62, v61
	v_lshrrev_b32_e32 v61, 16, v61
	s_delay_alu instid0(VALU_DEP_1) | instskip(NEXT) | instid1(VALU_DEP_1)
	v_cvt_f32_f16_e32 v61, v61
	v_add_f32_e32 v61, v62, v61
	s_delay_alu instid0(VALU_DEP_1) | instskip(SKIP_2) | instid1(VALU_DEP_2)
	v_fmac_f32_e32 v7, v61, v30
	v_pk_fma_f16 v61, v47, v57, 0
	v_pk_fma_f16 v57, v51, v57, 0
	v_pk_fma_f16 v61, v48, v58, v61
	s_delay_alu instid0(VALU_DEP_2) | instskip(NEXT) | instid1(VALU_DEP_2)
	v_pk_fma_f16 v57, v52, v58, v57
	v_pk_fma_f16 v61, v49, v59, v61
	s_delay_alu instid0(VALU_DEP_2) | instskip(NEXT) | instid1(VALU_DEP_2)
	v_pk_fma_f16 v57, v53, v59, v57
	v_pk_fma_f16 v61, v50, v60, v61
	s_delay_alu instid0(VALU_DEP_2) | instskip(NEXT) | instid1(VALU_DEP_2)
	v_pk_fma_f16 v57, v54, v60, v57
	v_cvt_f32_f16_e32 v62, v61
	s_delay_alu instid0(VALU_DEP_2) | instskip(SKIP_2) | instid1(VALU_DEP_2)
	v_cvt_f32_f16_e32 v58, v57
	v_lshrrev_b32_e32 v57, 16, v57
	v_lshrrev_b32_e32 v61, 16, v61
	v_cvt_f32_f16_e32 v57, v57
	s_delay_alu instid0(VALU_DEP_2) | instskip(NEXT) | instid1(VALU_DEP_2)
	v_cvt_f32_f16_e32 v61, v61
	v_add_f32_e32 v57, v58, v57
	s_delay_alu instid0(VALU_DEP_2) | instskip(NEXT) | instid1(VALU_DEP_2)
	v_add_f32_e32 v61, v62, v61
	v_fmac_f32_e32 v9, v57, v31
	ds_load_2addr_b32 v[57:58], v40 offset0:68 offset1:69
	v_fmac_f32_e32 v8, v61, v29
	s_waitcnt lgkmcnt(0)
	v_pk_fma_f16 v59, v56, v57, 0
	s_delay_alu instid0(VALU_DEP_1) | instskip(SKIP_3) | instid1(VALU_DEP_1)
	v_pk_fma_f16 v61, v55, v58, v59
	ds_load_2addr_b32 v[59:60], v40 offset0:70 offset1:71
	s_waitcnt lgkmcnt(0)
	v_pk_fma_f16 v61, v41, v59, v61
	v_pk_fma_f16 v61, v42, v60, v61
	s_delay_alu instid0(VALU_DEP_1) | instskip(SKIP_1) | instid1(VALU_DEP_1)
	v_cvt_f32_f16_e32 v62, v61
	v_lshrrev_b32_e32 v61, 16, v61
	v_cvt_f32_f16_e32 v61, v61
	s_delay_alu instid0(VALU_DEP_1) | instskip(NEXT) | instid1(VALU_DEP_1)
	v_add_f32_e32 v61, v62, v61
	v_fmac_f32_e32 v10, v61, v28
	v_pk_fma_f16 v61, v43, v57, 0
	s_delay_alu instid0(VALU_DEP_1) | instskip(NEXT) | instid1(VALU_DEP_1)
	v_pk_fma_f16 v61, v44, v58, v61
	v_pk_fma_f16 v61, v45, v59, v61
	s_delay_alu instid0(VALU_DEP_1) | instskip(NEXT) | instid1(VALU_DEP_1)
	v_pk_fma_f16 v61, v46, v60, v61
	v_cvt_f32_f16_e32 v62, v61
	v_lshrrev_b32_e32 v61, 16, v61
	s_delay_alu instid0(VALU_DEP_1) | instskip(NEXT) | instid1(VALU_DEP_1)
	v_cvt_f32_f16_e32 v61, v61
	v_add_f32_e32 v61, v62, v61
	s_delay_alu instid0(VALU_DEP_1) | instskip(SKIP_2) | instid1(VALU_DEP_2)
	v_fmac_f32_e32 v11, v61, v30
	v_pk_fma_f16 v61, v47, v57, 0
	v_pk_fma_f16 v57, v51, v57, 0
	v_pk_fma_f16 v61, v48, v58, v61
	s_delay_alu instid0(VALU_DEP_2) | instskip(NEXT) | instid1(VALU_DEP_2)
	v_pk_fma_f16 v57, v52, v58, v57
	v_pk_fma_f16 v61, v49, v59, v61
	s_delay_alu instid0(VALU_DEP_2) | instskip(NEXT) | instid1(VALU_DEP_2)
	v_pk_fma_f16 v57, v53, v59, v57
	v_pk_fma_f16 v61, v50, v60, v61
	s_delay_alu instid0(VALU_DEP_2) | instskip(NEXT) | instid1(VALU_DEP_2)
	v_pk_fma_f16 v57, v54, v60, v57
	v_cvt_f32_f16_e32 v62, v61
	s_delay_alu instid0(VALU_DEP_2) | instskip(SKIP_2) | instid1(VALU_DEP_2)
	v_cvt_f32_f16_e32 v58, v57
	v_lshrrev_b32_e32 v57, 16, v57
	v_lshrrev_b32_e32 v61, 16, v61
	v_cvt_f32_f16_e32 v57, v57
	s_delay_alu instid0(VALU_DEP_2) | instskip(NEXT) | instid1(VALU_DEP_2)
	v_cvt_f32_f16_e32 v61, v61
	v_add_f32_e32 v57, v58, v57
	s_delay_alu instid0(VALU_DEP_2) | instskip(NEXT) | instid1(VALU_DEP_2)
	v_add_f32_e32 v61, v62, v61
	v_fmac_f32_e32 v13, v57, v31
	ds_load_2addr_b32 v[57:58], v40 offset0:132 offset1:133
	v_fmac_f32_e32 v12, v61, v29
	;; [unrolled: 53-line block ×3, first 2 shown]
	s_waitcnt lgkmcnt(0)
	v_pk_fma_f16 v59, v56, v57, 0
	s_delay_alu instid0(VALU_DEP_1) | instskip(SKIP_3) | instid1(VALU_DEP_1)
	v_pk_fma_f16 v61, v55, v58, v59
	ds_load_2addr_b32 v[59:60], v40 offset0:198 offset1:199
	s_waitcnt lgkmcnt(0)
	v_pk_fma_f16 v61, v41, v59, v61
	v_pk_fma_f16 v61, v42, v60, v61
	s_delay_alu instid0(VALU_DEP_1) | instskip(SKIP_1) | instid1(VALU_DEP_1)
	v_cvt_f32_f16_e32 v62, v61
	v_lshrrev_b32_e32 v61, 16, v61
	v_cvt_f32_f16_e32 v61, v61
	s_delay_alu instid0(VALU_DEP_1) | instskip(NEXT) | instid1(VALU_DEP_1)
	v_add_f32_e32 v61, v62, v61
	v_fmac_f32_e32 v18, v61, v28
	v_pk_fma_f16 v61, v43, v57, 0
	s_delay_alu instid0(VALU_DEP_1) | instskip(NEXT) | instid1(VALU_DEP_1)
	v_pk_fma_f16 v61, v44, v58, v61
	v_pk_fma_f16 v61, v45, v59, v61
	s_delay_alu instid0(VALU_DEP_1) | instskip(NEXT) | instid1(VALU_DEP_1)
	v_pk_fma_f16 v61, v46, v60, v61
	v_cvt_f32_f16_e32 v62, v61
	v_lshrrev_b32_e32 v61, 16, v61
	s_delay_alu instid0(VALU_DEP_1) | instskip(NEXT) | instid1(VALU_DEP_1)
	v_cvt_f32_f16_e32 v61, v61
	v_add_f32_e32 v61, v62, v61
	s_delay_alu instid0(VALU_DEP_1) | instskip(SKIP_2) | instid1(VALU_DEP_2)
	v_fmac_f32_e32 v19, v61, v30
	v_pk_fma_f16 v61, v47, v57, 0
	v_pk_fma_f16 v57, v51, v57, 0
	;; [unrolled: 1-line block ×3, first 2 shown]
	s_delay_alu instid0(VALU_DEP_2) | instskip(NEXT) | instid1(VALU_DEP_2)
	v_pk_fma_f16 v57, v52, v58, v57
	v_pk_fma_f16 v61, v49, v59, v61
	s_delay_alu instid0(VALU_DEP_2) | instskip(NEXT) | instid1(VALU_DEP_2)
	v_pk_fma_f16 v57, v53, v59, v57
	v_pk_fma_f16 v61, v50, v60, v61
	s_delay_alu instid0(VALU_DEP_2) | instskip(NEXT) | instid1(VALU_DEP_2)
	v_pk_fma_f16 v57, v54, v60, v57
	v_cvt_f32_f16_e32 v62, v61
	s_delay_alu instid0(VALU_DEP_2) | instskip(SKIP_2) | instid1(VALU_DEP_2)
	v_cvt_f32_f16_e32 v58, v57
	v_lshrrev_b32_e32 v57, 16, v57
	v_lshrrev_b32_e32 v61, 16, v61
	v_cvt_f32_f16_e32 v57, v57
	s_delay_alu instid0(VALU_DEP_2) | instskip(NEXT) | instid1(VALU_DEP_2)
	v_cvt_f32_f16_e32 v61, v61
	v_add_f32_e32 v57, v58, v57
	s_delay_alu instid0(VALU_DEP_2) | instskip(NEXT) | instid1(VALU_DEP_2)
	v_add_f32_e32 v61, v62, v61
	v_fmac_f32_e32 v21, v57, v31
	v_mov_b32_e32 v57, s19
	s_add_i32 s19, s13, 0x418
	ds_load_2addr_b32 v[57:58], v57 offset1:1
	s_waitcnt lgkmcnt(0)
	v_pk_fma_f16 v56, v56, v57, 0
	s_delay_alu instid0(VALU_DEP_1)
	v_pk_fma_f16 v59, v55, v58, v56
	v_mov_b32_e32 v55, s19
	s_add_i32 s19, s13, 0x420
	v_fmac_f32_e32 v20, v61, v29
	ds_load_2addr_b32 v[55:56], v55 offset1:1
	s_waitcnt lgkmcnt(0)
	v_pk_fma_f16 v41, v41, v55, v59
	s_delay_alu instid0(VALU_DEP_1) | instskip(NEXT) | instid1(VALU_DEP_1)
	v_pk_fma_f16 v41, v42, v56, v41
	v_cvt_f32_f16_e32 v42, v41
	v_lshrrev_b32_e32 v41, 16, v41
	s_delay_alu instid0(VALU_DEP_1) | instskip(NEXT) | instid1(VALU_DEP_1)
	v_cvt_f32_f16_e32 v41, v41
	v_add_f32_e32 v41, v42, v41
	s_delay_alu instid0(VALU_DEP_1) | instskip(SKIP_1) | instid1(VALU_DEP_1)
	v_fmac_f32_e32 v22, v41, v28
	v_pk_fma_f16 v41, v43, v57, 0
	v_pk_fma_f16 v41, v44, v58, v41
	s_delay_alu instid0(VALU_DEP_1) | instskip(NEXT) | instid1(VALU_DEP_1)
	v_pk_fma_f16 v41, v45, v55, v41
	v_pk_fma_f16 v41, v46, v56, v41
	s_delay_alu instid0(VALU_DEP_1) | instskip(SKIP_1) | instid1(VALU_DEP_1)
	v_cvt_f32_f16_e32 v42, v41
	v_lshrrev_b32_e32 v41, 16, v41
	v_cvt_f32_f16_e32 v41, v41
	s_delay_alu instid0(VALU_DEP_1) | instskip(NEXT) | instid1(VALU_DEP_1)
	v_add_f32_e32 v41, v42, v41
	v_fmac_f32_e32 v23, v41, v30
	v_pk_fma_f16 v41, v47, v57, 0
	s_delay_alu instid0(VALU_DEP_1) | instskip(NEXT) | instid1(VALU_DEP_1)
	v_pk_fma_f16 v41, v48, v58, v41
	v_pk_fma_f16 v41, v49, v55, v41
	s_delay_alu instid0(VALU_DEP_1) | instskip(NEXT) | instid1(VALU_DEP_1)
	v_pk_fma_f16 v41, v50, v56, v41
	v_cvt_f32_f16_e32 v42, v41
	v_lshrrev_b32_e32 v41, 16, v41
	s_delay_alu instid0(VALU_DEP_1) | instskip(NEXT) | instid1(VALU_DEP_1)
	v_cvt_f32_f16_e32 v41, v41
	v_add_f32_e32 v41, v42, v41
	s_delay_alu instid0(VALU_DEP_1) | instskip(SKIP_1) | instid1(VALU_DEP_1)
	v_fmac_f32_e32 v24, v41, v29
	v_pk_fma_f16 v41, v51, v57, 0
	v_pk_fma_f16 v41, v52, v58, v41
	s_delay_alu instid0(VALU_DEP_1) | instskip(NEXT) | instid1(VALU_DEP_1)
	v_pk_fma_f16 v41, v53, v55, v41
	v_pk_fma_f16 v41, v54, v56, v41
	s_delay_alu instid0(VALU_DEP_1) | instskip(SKIP_1) | instid1(VALU_DEP_1)
	v_cvt_f32_f16_e32 v42, v41
	v_lshrrev_b32_e32 v41, 16, v41
	v_cvt_f32_f16_e32 v41, v41
	s_delay_alu instid0(VALU_DEP_1) | instskip(NEXT) | instid1(VALU_DEP_1)
	v_add_f32_e32 v41, v42, v41
	v_fmac_f32_e32 v27, v41, v31
	global_load_b128 v[41:44], v[4:5], off
	v_add_co_u32 v4, vcc_lo, v4, s2
	v_add_co_ci_u32_e32 v5, vcc_lo, s3, v5, vcc_lo
	v_add_co_u32 v2, vcc_lo, v2, s0
	v_add_co_ci_u32_e32 v3, vcc_lo, s1, v3, vcc_lo
	s_waitcnt vmcnt(0)
	v_and_or_b32 v45, v41, s5, 0x64006400
	v_and_or_b32 v46, v41, s17, 0x64006400
	v_lshrrev_b32_e32 v41, 8, v41
	v_and_or_b32 v49, v42, s17, 0x64006400
	s_delay_alu instid0(VALU_DEP_4) | instskip(NEXT) | instid1(VALU_DEP_4)
	v_pk_add_f16 v45, v32, v45
	v_pk_fma_f16 v46, 0x2c00, v46, v36 op_sel_hi:[0,1,1]
	s_delay_alu instid0(VALU_DEP_4) | instskip(SKIP_2) | instid1(VALU_DEP_3)
	v_and_or_b32 v47, v41, s5, 0x64006400
	v_and_or_b32 v41, v41, s17, 0x64006400
	v_pk_fma_f16 v49, 0x2c00, v49, v39 op_sel_hi:[0,1,1]
	v_pk_add_f16 v47, v32, v47
	s_delay_alu instid0(VALU_DEP_3) | instskip(SKIP_2) | instid1(VALU_DEP_2)
	v_pk_fma_f16 v48, 0x2c00, v41, v36 op_sel_hi:[0,1,1]
	v_and_or_b32 v41, v42, s5, 0x64006400
	v_lshrrev_b32_e32 v42, 8, v42
	v_pk_add_f16 v51, v35, v41
	s_delay_alu instid0(VALU_DEP_2) | instskip(SKIP_2) | instid1(VALU_DEP_3)
	v_and_or_b32 v50, v42, s5, 0x64006400
	v_and_or_b32 v42, v42, s17, 0x64006400
	;; [unrolled: 1-line block ×3, first 2 shown]
	v_pk_add_f16 v50, v35, v50
	s_delay_alu instid0(VALU_DEP_3) | instskip(SKIP_1) | instid1(VALU_DEP_4)
	v_pk_fma_f16 v52, 0x2c00, v42, v39 op_sel_hi:[0,1,1]
	v_and_or_b32 v42, v43, s17, 0x64006400
	v_pk_add_f16 v54, v33, v41
	v_and_or_b32 v41, v44, s5, 0x64006400
	v_lshrrev_b32_e32 v43, 8, v43
	s_delay_alu instid0(VALU_DEP_4) | instskip(SKIP_1) | instid1(VALU_DEP_4)
	v_pk_fma_f16 v55, 0x2c00, v42, v38 op_sel_hi:[0,1,1]
	v_and_or_b32 v42, v44, s17, 0x64006400
	v_pk_add_f16 v57, v34, v41
	s_delay_alu instid0(VALU_DEP_4) | instskip(SKIP_1) | instid1(VALU_DEP_4)
	v_and_or_b32 v53, v43, s5, 0x64006400
	v_and_or_b32 v43, v43, s17, 0x64006400
	v_pk_fma_f16 v58, 0x2c00, v42, v37 op_sel_hi:[0,1,1]
	ds_load_2addr_b32 v[41:42], v40 offset0:8 offset1:9
	v_pk_add_f16 v53, v33, v53
	v_pk_fma_f16 v56, 0x2c00, v43, v38 op_sel_hi:[0,1,1]
	v_lshrrev_b32_e32 v43, 8, v44
	s_delay_alu instid0(VALU_DEP_1) | instskip(SKIP_1) | instid1(VALU_DEP_2)
	v_and_or_b32 v44, v43, s5, 0x64006400
	v_and_or_b32 v43, v43, s17, 0x64006400
	v_pk_add_f16 v59, v34, v44
	s_delay_alu instid0(VALU_DEP_2) | instskip(SKIP_2) | instid1(VALU_DEP_1)
	v_pk_fma_f16 v60, 0x2c00, v43, v37 op_sel_hi:[0,1,1]
	s_waitcnt lgkmcnt(0)
	v_pk_fma_f16 v43, v45, v41, 0
	v_pk_fma_f16 v61, v46, v42, v43
	ds_load_2addr_b32 v[43:44], v40 offset0:10 offset1:11
	s_waitcnt lgkmcnt(0)
	v_pk_fma_f16 v61, v47, v43, v61
	s_delay_alu instid0(VALU_DEP_1) | instskip(NEXT) | instid1(VALU_DEP_1)
	v_pk_fma_f16 v61, v48, v44, v61
	v_cvt_f32_f16_e32 v62, v61
	v_lshrrev_b32_e32 v61, 16, v61
	s_delay_alu instid0(VALU_DEP_1) | instskip(NEXT) | instid1(VALU_DEP_1)
	v_cvt_f32_f16_e32 v61, v61
	v_add_f32_e32 v61, v62, v61
	s_delay_alu instid0(VALU_DEP_1) | instskip(SKIP_1) | instid1(VALU_DEP_1)
	v_fmac_f32_e32 v0, v61, v28
	v_pk_fma_f16 v61, v51, v41, 0
	v_pk_fma_f16 v61, v49, v42, v61
	s_delay_alu instid0(VALU_DEP_1) | instskip(NEXT) | instid1(VALU_DEP_1)
	v_pk_fma_f16 v61, v50, v43, v61
	v_pk_fma_f16 v61, v52, v44, v61
	s_delay_alu instid0(VALU_DEP_1) | instskip(SKIP_1) | instid1(VALU_DEP_1)
	v_cvt_f32_f16_e32 v62, v61
	v_lshrrev_b32_e32 v61, 16, v61
	v_cvt_f32_f16_e32 v61, v61
	s_delay_alu instid0(VALU_DEP_1) | instskip(NEXT) | instid1(VALU_DEP_1)
	v_add_f32_e32 v61, v62, v61
	v_fmac_f32_e32 v7, v61, v30
	v_pk_fma_f16 v61, v54, v41, 0
	v_pk_fma_f16 v41, v57, v41, 0
	s_delay_alu instid0(VALU_DEP_2) | instskip(NEXT) | instid1(VALU_DEP_2)
	v_pk_fma_f16 v61, v55, v42, v61
	v_pk_fma_f16 v41, v58, v42, v41
	s_delay_alu instid0(VALU_DEP_2) | instskip(NEXT) | instid1(VALU_DEP_2)
	v_pk_fma_f16 v61, v53, v43, v61
	v_pk_fma_f16 v41, v59, v43, v41
	s_delay_alu instid0(VALU_DEP_2) | instskip(NEXT) | instid1(VALU_DEP_2)
	v_pk_fma_f16 v61, v56, v44, v61
	v_pk_fma_f16 v41, v60, v44, v41
	s_delay_alu instid0(VALU_DEP_2) | instskip(NEXT) | instid1(VALU_DEP_2)
	v_cvt_f32_f16_e32 v62, v61
	v_cvt_f32_f16_e32 v42, v41
	v_lshrrev_b32_e32 v41, 16, v41
	v_lshrrev_b32_e32 v61, 16, v61
	s_delay_alu instid0(VALU_DEP_2) | instskip(NEXT) | instid1(VALU_DEP_2)
	v_cvt_f32_f16_e32 v41, v41
	v_cvt_f32_f16_e32 v61, v61
	s_delay_alu instid0(VALU_DEP_2) | instskip(NEXT) | instid1(VALU_DEP_2)
	v_add_f32_e32 v41, v42, v41
	v_add_f32_e32 v61, v62, v61
	s_delay_alu instid0(VALU_DEP_2) | instskip(SKIP_4) | instid1(VALU_DEP_1)
	v_fmac_f32_e32 v9, v41, v31
	ds_load_2addr_b32 v[41:42], v40 offset0:72 offset1:73
	v_fmac_f32_e32 v8, v61, v29
	s_waitcnt lgkmcnt(0)
	v_pk_fma_f16 v43, v45, v41, 0
	v_pk_fma_f16 v61, v46, v42, v43
	ds_load_2addr_b32 v[43:44], v40 offset0:74 offset1:75
	s_waitcnt lgkmcnt(0)
	v_pk_fma_f16 v61, v47, v43, v61
	s_delay_alu instid0(VALU_DEP_1) | instskip(NEXT) | instid1(VALU_DEP_1)
	v_pk_fma_f16 v61, v48, v44, v61
	v_cvt_f32_f16_e32 v62, v61
	v_lshrrev_b32_e32 v61, 16, v61
	s_delay_alu instid0(VALU_DEP_1) | instskip(NEXT) | instid1(VALU_DEP_1)
	v_cvt_f32_f16_e32 v61, v61
	v_add_f32_e32 v61, v62, v61
	s_delay_alu instid0(VALU_DEP_1) | instskip(SKIP_1) | instid1(VALU_DEP_1)
	v_fmac_f32_e32 v10, v61, v28
	v_pk_fma_f16 v61, v51, v41, 0
	v_pk_fma_f16 v61, v49, v42, v61
	s_delay_alu instid0(VALU_DEP_1) | instskip(NEXT) | instid1(VALU_DEP_1)
	v_pk_fma_f16 v61, v50, v43, v61
	v_pk_fma_f16 v61, v52, v44, v61
	s_delay_alu instid0(VALU_DEP_1) | instskip(SKIP_1) | instid1(VALU_DEP_1)
	v_cvt_f32_f16_e32 v62, v61
	v_lshrrev_b32_e32 v61, 16, v61
	v_cvt_f32_f16_e32 v61, v61
	s_delay_alu instid0(VALU_DEP_1) | instskip(NEXT) | instid1(VALU_DEP_1)
	v_add_f32_e32 v61, v62, v61
	v_fmac_f32_e32 v11, v61, v30
	v_pk_fma_f16 v61, v54, v41, 0
	v_pk_fma_f16 v41, v57, v41, 0
	s_delay_alu instid0(VALU_DEP_2) | instskip(NEXT) | instid1(VALU_DEP_2)
	v_pk_fma_f16 v61, v55, v42, v61
	v_pk_fma_f16 v41, v58, v42, v41
	s_delay_alu instid0(VALU_DEP_2) | instskip(NEXT) | instid1(VALU_DEP_2)
	v_pk_fma_f16 v61, v53, v43, v61
	v_pk_fma_f16 v41, v59, v43, v41
	s_delay_alu instid0(VALU_DEP_2) | instskip(NEXT) | instid1(VALU_DEP_2)
	v_pk_fma_f16 v61, v56, v44, v61
	v_pk_fma_f16 v41, v60, v44, v41
	s_delay_alu instid0(VALU_DEP_2) | instskip(NEXT) | instid1(VALU_DEP_2)
	v_cvt_f32_f16_e32 v62, v61
	v_cvt_f32_f16_e32 v42, v41
	v_lshrrev_b32_e32 v41, 16, v41
	v_lshrrev_b32_e32 v61, 16, v61
	s_delay_alu instid0(VALU_DEP_2) | instskip(NEXT) | instid1(VALU_DEP_2)
	v_cvt_f32_f16_e32 v41, v41
	v_cvt_f32_f16_e32 v61, v61
	s_delay_alu instid0(VALU_DEP_2) | instskip(NEXT) | instid1(VALU_DEP_2)
	v_add_f32_e32 v41, v42, v41
	v_add_f32_e32 v61, v62, v61
	s_delay_alu instid0(VALU_DEP_2) | instskip(SKIP_4) | instid1(VALU_DEP_1)
	v_fmac_f32_e32 v13, v41, v31
	ds_load_2addr_b32 v[41:42], v40 offset0:136 offset1:137
	v_fmac_f32_e32 v12, v61, v29
	;; [unrolled: 53-line block ×3, first 2 shown]
	s_waitcnt lgkmcnt(0)
	v_pk_fma_f16 v43, v45, v41, 0
	v_pk_fma_f16 v61, v46, v42, v43
	ds_load_2addr_b32 v[43:44], v40 offset0:202 offset1:203
	s_waitcnt lgkmcnt(0)
	v_pk_fma_f16 v61, v47, v43, v61
	s_delay_alu instid0(VALU_DEP_1) | instskip(NEXT) | instid1(VALU_DEP_1)
	v_pk_fma_f16 v61, v48, v44, v61
	v_cvt_f32_f16_e32 v62, v61
	v_lshrrev_b32_e32 v61, 16, v61
	s_delay_alu instid0(VALU_DEP_1) | instskip(NEXT) | instid1(VALU_DEP_1)
	v_cvt_f32_f16_e32 v61, v61
	v_add_f32_e32 v61, v62, v61
	s_delay_alu instid0(VALU_DEP_1) | instskip(SKIP_1) | instid1(VALU_DEP_1)
	v_fmac_f32_e32 v18, v61, v28
	v_pk_fma_f16 v61, v51, v41, 0
	v_pk_fma_f16 v61, v49, v42, v61
	s_delay_alu instid0(VALU_DEP_1) | instskip(NEXT) | instid1(VALU_DEP_1)
	v_pk_fma_f16 v61, v50, v43, v61
	v_pk_fma_f16 v61, v52, v44, v61
	s_delay_alu instid0(VALU_DEP_1) | instskip(SKIP_1) | instid1(VALU_DEP_1)
	v_cvt_f32_f16_e32 v62, v61
	v_lshrrev_b32_e32 v61, 16, v61
	v_cvt_f32_f16_e32 v61, v61
	s_delay_alu instid0(VALU_DEP_1) | instskip(NEXT) | instid1(VALU_DEP_1)
	v_add_f32_e32 v61, v62, v61
	v_fmac_f32_e32 v19, v61, v30
	v_pk_fma_f16 v61, v54, v41, 0
	v_pk_fma_f16 v41, v57, v41, 0
	s_delay_alu instid0(VALU_DEP_2) | instskip(NEXT) | instid1(VALU_DEP_2)
	v_pk_fma_f16 v61, v55, v42, v61
	v_pk_fma_f16 v41, v58, v42, v41
	s_delay_alu instid0(VALU_DEP_2) | instskip(NEXT) | instid1(VALU_DEP_2)
	;; [unrolled: 3-line block ×4, first 2 shown]
	v_cvt_f32_f16_e32 v62, v61
	v_cvt_f32_f16_e32 v42, v41
	v_lshrrev_b32_e32 v41, 16, v41
	v_lshrrev_b32_e32 v61, 16, v61
	s_delay_alu instid0(VALU_DEP_2) | instskip(NEXT) | instid1(VALU_DEP_2)
	v_cvt_f32_f16_e32 v41, v41
	v_cvt_f32_f16_e32 v61, v61
	s_delay_alu instid0(VALU_DEP_2) | instskip(NEXT) | instid1(VALU_DEP_2)
	v_add_f32_e32 v41, v42, v41
	v_add_f32_e32 v61, v62, v61
	s_delay_alu instid0(VALU_DEP_2)
	v_fmac_f32_e32 v21, v41, v31
	v_mov_b32_e32 v41, s19
	s_add_i32 s19, s13, 0x428
	ds_load_2addr_b32 v[41:42], v41 offset1:1
	s_waitcnt lgkmcnt(0)
	v_pk_fma_f16 v43, v45, v41, 0
	s_delay_alu instid0(VALU_DEP_1)
	v_pk_fma_f16 v45, v46, v42, v43
	v_mov_b32_e32 v43, s19
	s_add_i32 s19, s13, 0x430
	ds_load_2addr_b32 v[43:44], v43 offset1:1
	s_waitcnt lgkmcnt(0)
	v_pk_fma_f16 v45, v47, v43, v45
	s_delay_alu instid0(VALU_DEP_1) | instskip(NEXT) | instid1(VALU_DEP_1)
	v_pk_fma_f16 v45, v48, v44, v45
	v_cvt_f32_f16_e32 v46, v45
	v_lshrrev_b32_e32 v45, 16, v45
	s_delay_alu instid0(VALU_DEP_1) | instskip(NEXT) | instid1(VALU_DEP_1)
	v_cvt_f32_f16_e32 v45, v45
	v_add_f32_e32 v45, v46, v45
	s_delay_alu instid0(VALU_DEP_1) | instskip(SKIP_1) | instid1(VALU_DEP_1)
	v_fmac_f32_e32 v22, v45, v28
	v_pk_fma_f16 v45, v51, v41, 0
	v_pk_fma_f16 v45, v49, v42, v45
	s_delay_alu instid0(VALU_DEP_1) | instskip(NEXT) | instid1(VALU_DEP_1)
	v_pk_fma_f16 v45, v50, v43, v45
	v_pk_fma_f16 v45, v52, v44, v45
	s_delay_alu instid0(VALU_DEP_1) | instskip(SKIP_1) | instid1(VALU_DEP_1)
	v_cvt_f32_f16_e32 v46, v45
	v_lshrrev_b32_e32 v45, 16, v45
	v_cvt_f32_f16_e32 v45, v45
	s_delay_alu instid0(VALU_DEP_1) | instskip(NEXT) | instid1(VALU_DEP_1)
	v_add_f32_e32 v45, v46, v45
	v_fmac_f32_e32 v23, v45, v30
	v_pk_fma_f16 v45, v54, v41, 0
	v_pk_fma_f16 v41, v57, v41, 0
	s_delay_alu instid0(VALU_DEP_2) | instskip(NEXT) | instid1(VALU_DEP_2)
	v_pk_fma_f16 v45, v55, v42, v45
	v_pk_fma_f16 v41, v58, v42, v41
	s_delay_alu instid0(VALU_DEP_2) | instskip(NEXT) | instid1(VALU_DEP_2)
	v_pk_fma_f16 v45, v53, v43, v45
	v_pk_fma_f16 v41, v59, v43, v41
	s_delay_alu instid0(VALU_DEP_2) | instskip(SKIP_4) | instid1(VALU_DEP_3)
	v_pk_fma_f16 v45, v56, v44, v45
	global_load_b128 v[54:57], v[4:5], off
	v_pk_fma_f16 v41, v60, v44, v41
	v_cvt_f32_f16_e32 v46, v45
	v_lshrrev_b32_e32 v45, 16, v45
	v_cvt_f32_f16_e32 v42, v41
	v_lshrrev_b32_e32 v41, 16, v41
	s_delay_alu instid0(VALU_DEP_3) | instskip(NEXT) | instid1(VALU_DEP_2)
	v_cvt_f32_f16_e32 v45, v45
	v_cvt_f32_f16_e32 v41, v41
	s_delay_alu instid0(VALU_DEP_2) | instskip(NEXT) | instid1(VALU_DEP_2)
	v_add_f32_e32 v45, v46, v45
	v_add_f32_e32 v41, v42, v41
	s_delay_alu instid0(VALU_DEP_2) | instskip(NEXT) | instid1(VALU_DEP_2)
	v_fmac_f32_e32 v24, v45, v29
	v_fmac_f32_e32 v27, v41, v31
	s_waitcnt vmcnt(0)
	v_lshrrev_b32_e32 v41, 8, v54
	v_and_or_b32 v4, v54, s5, 0x64006400
	v_and_or_b32 v5, v54, s17, 0x64006400
	s_delay_alu instid0(VALU_DEP_3) | instskip(SKIP_1) | instid1(VALU_DEP_4)
	v_and_or_b32 v42, v41, s5, 0x64006400
	v_and_or_b32 v41, v41, s17, 0x64006400
	v_pk_add_f16 v54, v32, v4
	s_delay_alu instid0(VALU_DEP_4)
	v_pk_fma_f16 v53, 0x2c00, v5, v36 op_sel_hi:[0,1,1]
	v_and_or_b32 v4, v55, s5, 0x64006400
	v_pk_add_f16 v51, v32, v42
	v_pk_fma_f16 v52, 0x2c00, v41, v36 op_sel_hi:[0,1,1]
	v_lshrrev_b32_e32 v41, 8, v55
	v_and_or_b32 v5, v55, s17, 0x64006400
	v_pk_add_f16 v47, v35, v4
	v_and_or_b32 v4, v56, s5, 0x64006400
	s_delay_alu instid0(VALU_DEP_4)
	v_and_or_b32 v42, v41, s5, 0x64006400
	v_and_or_b32 v41, v41, s17, 0x64006400
	v_pk_fma_f16 v48, 0x2c00, v5, v39 op_sel_hi:[0,1,1]
	v_and_or_b32 v5, v56, s17, 0x64006400
	v_pk_add_f16 v43, v33, v4
	v_pk_add_f16 v49, v35, v42
	v_pk_fma_f16 v50, 0x2c00, v41, v39 op_sel_hi:[0,1,1]
	v_lshrrev_b32_e32 v41, 8, v56
	v_pk_fma_f16 v44, 0x2c00, v5, v38 op_sel_hi:[0,1,1]
	v_and_or_b32 v4, v57, s5, 0x64006400
	v_and_or_b32 v5, v57, s17, 0x64006400
	s_delay_alu instid0(VALU_DEP_4) | instskip(SKIP_1) | instid1(VALU_DEP_2)
	v_and_or_b32 v42, v41, s5, 0x64006400
	v_and_or_b32 v41, v41, s17, 0x64006400
	v_pk_add_f16 v45, v33, v42
	s_delay_alu instid0(VALU_DEP_2) | instskip(SKIP_2) | instid1(VALU_DEP_2)
	v_pk_fma_f16 v46, 0x2c00, v41, v38 op_sel_hi:[0,1,1]
	v_lshrrev_b32_e32 v41, 8, v57
	v_pk_add_f16 v42, v34, v4
	v_and_or_b32 v55, v41, s5, 0x64006400
	v_and_or_b32 v56, v41, s17, 0x64006400
	v_pk_fma_f16 v41, 0x2c00, v5, v37 op_sel_hi:[0,1,1]
	s_delay_alu instid0(VALU_DEP_3) | instskip(NEXT) | instid1(VALU_DEP_3)
	v_pk_add_f16 v5, v34, v55
	v_pk_fma_f16 v4, 0x2c00, v56, v37 op_sel_hi:[0,1,1]
	ds_load_2addr_b32 v[55:56], v40 offset0:12 offset1:13
	s_waitcnt lgkmcnt(0)
	v_pk_fma_f16 v57, v54, v55, 0
	s_delay_alu instid0(VALU_DEP_1) | instskip(SKIP_3) | instid1(VALU_DEP_1)
	v_pk_fma_f16 v59, v53, v56, v57
	ds_load_2addr_b32 v[57:58], v40 offset0:14 offset1:15
	s_waitcnt lgkmcnt(0)
	v_pk_fma_f16 v59, v51, v57, v59
	v_pk_fma_f16 v59, v52, v58, v59
	s_delay_alu instid0(VALU_DEP_1) | instskip(SKIP_1) | instid1(VALU_DEP_1)
	v_cvt_f32_f16_e32 v60, v59
	v_lshrrev_b32_e32 v59, 16, v59
	v_cvt_f32_f16_e32 v59, v59
	s_delay_alu instid0(VALU_DEP_1) | instskip(NEXT) | instid1(VALU_DEP_1)
	v_add_f32_e32 v59, v60, v59
	v_fmac_f32_e32 v0, v59, v28
	v_pk_fma_f16 v59, v47, v55, 0
	s_delay_alu instid0(VALU_DEP_1) | instskip(NEXT) | instid1(VALU_DEP_1)
	v_pk_fma_f16 v59, v48, v56, v59
	v_pk_fma_f16 v59, v49, v57, v59
	s_delay_alu instid0(VALU_DEP_1) | instskip(NEXT) | instid1(VALU_DEP_1)
	v_pk_fma_f16 v59, v50, v58, v59
	v_cvt_f32_f16_e32 v60, v59
	v_lshrrev_b32_e32 v59, 16, v59
	s_delay_alu instid0(VALU_DEP_1) | instskip(NEXT) | instid1(VALU_DEP_1)
	v_cvt_f32_f16_e32 v59, v59
	v_add_f32_e32 v59, v60, v59
	s_delay_alu instid0(VALU_DEP_1) | instskip(SKIP_2) | instid1(VALU_DEP_2)
	v_fmac_f32_e32 v7, v59, v30
	v_pk_fma_f16 v59, v43, v55, 0
	v_pk_fma_f16 v55, v42, v55, 0
	;; [unrolled: 1-line block ×3, first 2 shown]
	s_delay_alu instid0(VALU_DEP_2) | instskip(NEXT) | instid1(VALU_DEP_2)
	v_pk_fma_f16 v55, v41, v56, v55
	v_pk_fma_f16 v59, v45, v57, v59
	s_delay_alu instid0(VALU_DEP_2) | instskip(NEXT) | instid1(VALU_DEP_2)
	v_pk_fma_f16 v55, v5, v57, v55
	v_pk_fma_f16 v59, v46, v58, v59
	s_delay_alu instid0(VALU_DEP_2) | instskip(NEXT) | instid1(VALU_DEP_2)
	v_pk_fma_f16 v55, v4, v58, v55
	v_cvt_f32_f16_e32 v60, v59
	s_delay_alu instid0(VALU_DEP_2) | instskip(SKIP_2) | instid1(VALU_DEP_2)
	v_cvt_f32_f16_e32 v56, v55
	v_lshrrev_b32_e32 v55, 16, v55
	v_lshrrev_b32_e32 v59, 16, v59
	v_cvt_f32_f16_e32 v55, v55
	s_delay_alu instid0(VALU_DEP_2) | instskip(NEXT) | instid1(VALU_DEP_2)
	v_cvt_f32_f16_e32 v59, v59
	v_dual_fmac_f32 v20, v61, v29 :: v_dual_add_f32 v55, v56, v55
	s_delay_alu instid0(VALU_DEP_2) | instskip(NEXT) | instid1(VALU_DEP_2)
	v_add_f32_e32 v59, v60, v59
	v_fmac_f32_e32 v9, v55, v31
	ds_load_2addr_b32 v[55:56], v40 offset0:76 offset1:77
	v_fmac_f32_e32 v8, v59, v29
	s_waitcnt lgkmcnt(0)
	v_pk_fma_f16 v57, v54, v55, 0
	s_delay_alu instid0(VALU_DEP_1) | instskip(SKIP_3) | instid1(VALU_DEP_1)
	v_pk_fma_f16 v59, v53, v56, v57
	ds_load_2addr_b32 v[57:58], v40 offset0:78 offset1:79
	s_waitcnt lgkmcnt(0)
	v_pk_fma_f16 v59, v51, v57, v59
	v_pk_fma_f16 v59, v52, v58, v59
	s_delay_alu instid0(VALU_DEP_1) | instskip(SKIP_1) | instid1(VALU_DEP_1)
	v_cvt_f32_f16_e32 v60, v59
	v_lshrrev_b32_e32 v59, 16, v59
	v_cvt_f32_f16_e32 v59, v59
	s_delay_alu instid0(VALU_DEP_1) | instskip(NEXT) | instid1(VALU_DEP_1)
	v_add_f32_e32 v59, v60, v59
	v_fmac_f32_e32 v10, v59, v28
	v_pk_fma_f16 v59, v47, v55, 0
	s_delay_alu instid0(VALU_DEP_1) | instskip(NEXT) | instid1(VALU_DEP_1)
	v_pk_fma_f16 v59, v48, v56, v59
	v_pk_fma_f16 v59, v49, v57, v59
	s_delay_alu instid0(VALU_DEP_1) | instskip(NEXT) | instid1(VALU_DEP_1)
	v_pk_fma_f16 v59, v50, v58, v59
	v_cvt_f32_f16_e32 v60, v59
	v_lshrrev_b32_e32 v59, 16, v59
	s_delay_alu instid0(VALU_DEP_1) | instskip(NEXT) | instid1(VALU_DEP_1)
	v_cvt_f32_f16_e32 v59, v59
	v_add_f32_e32 v59, v60, v59
	s_delay_alu instid0(VALU_DEP_1) | instskip(SKIP_2) | instid1(VALU_DEP_2)
	v_fmac_f32_e32 v11, v59, v30
	v_pk_fma_f16 v59, v43, v55, 0
	v_pk_fma_f16 v55, v42, v55, 0
	;; [unrolled: 1-line block ×3, first 2 shown]
	s_delay_alu instid0(VALU_DEP_2) | instskip(NEXT) | instid1(VALU_DEP_2)
	v_pk_fma_f16 v55, v41, v56, v55
	v_pk_fma_f16 v59, v45, v57, v59
	s_delay_alu instid0(VALU_DEP_2) | instskip(NEXT) | instid1(VALU_DEP_2)
	v_pk_fma_f16 v55, v5, v57, v55
	v_pk_fma_f16 v59, v46, v58, v59
	s_delay_alu instid0(VALU_DEP_2) | instskip(NEXT) | instid1(VALU_DEP_2)
	v_pk_fma_f16 v55, v4, v58, v55
	v_cvt_f32_f16_e32 v60, v59
	s_delay_alu instid0(VALU_DEP_2) | instskip(SKIP_2) | instid1(VALU_DEP_2)
	v_cvt_f32_f16_e32 v56, v55
	v_lshrrev_b32_e32 v55, 16, v55
	v_lshrrev_b32_e32 v59, 16, v59
	v_cvt_f32_f16_e32 v55, v55
	s_delay_alu instid0(VALU_DEP_2) | instskip(NEXT) | instid1(VALU_DEP_2)
	v_cvt_f32_f16_e32 v59, v59
	v_add_f32_e32 v55, v56, v55
	s_delay_alu instid0(VALU_DEP_2) | instskip(NEXT) | instid1(VALU_DEP_2)
	v_add_f32_e32 v59, v60, v59
	v_fmac_f32_e32 v13, v55, v31
	ds_load_2addr_b32 v[55:56], v40 offset0:140 offset1:141
	v_fmac_f32_e32 v12, v59, v29
	s_waitcnt lgkmcnt(0)
	v_pk_fma_f16 v57, v54, v55, 0
	s_delay_alu instid0(VALU_DEP_1) | instskip(SKIP_3) | instid1(VALU_DEP_1)
	v_pk_fma_f16 v59, v53, v56, v57
	ds_load_2addr_b32 v[57:58], v40 offset0:142 offset1:143
	s_waitcnt lgkmcnt(0)
	v_pk_fma_f16 v59, v51, v57, v59
	v_pk_fma_f16 v59, v52, v58, v59
	s_delay_alu instid0(VALU_DEP_1) | instskip(SKIP_1) | instid1(VALU_DEP_1)
	v_cvt_f32_f16_e32 v60, v59
	v_lshrrev_b32_e32 v59, 16, v59
	v_cvt_f32_f16_e32 v59, v59
	s_delay_alu instid0(VALU_DEP_1) | instskip(NEXT) | instid1(VALU_DEP_1)
	v_add_f32_e32 v59, v60, v59
	v_fmac_f32_e32 v14, v59, v28
	v_pk_fma_f16 v59, v47, v55, 0
	s_delay_alu instid0(VALU_DEP_1) | instskip(NEXT) | instid1(VALU_DEP_1)
	v_pk_fma_f16 v59, v48, v56, v59
	v_pk_fma_f16 v59, v49, v57, v59
	s_delay_alu instid0(VALU_DEP_1) | instskip(NEXT) | instid1(VALU_DEP_1)
	v_pk_fma_f16 v59, v50, v58, v59
	v_cvt_f32_f16_e32 v60, v59
	v_lshrrev_b32_e32 v59, 16, v59
	s_delay_alu instid0(VALU_DEP_1) | instskip(NEXT) | instid1(VALU_DEP_1)
	v_cvt_f32_f16_e32 v59, v59
	v_add_f32_e32 v59, v60, v59
	s_delay_alu instid0(VALU_DEP_1) | instskip(SKIP_2) | instid1(VALU_DEP_2)
	v_fmac_f32_e32 v15, v59, v30
	v_pk_fma_f16 v59, v43, v55, 0
	v_pk_fma_f16 v55, v42, v55, 0
	;; [unrolled: 1-line block ×3, first 2 shown]
	s_delay_alu instid0(VALU_DEP_2) | instskip(NEXT) | instid1(VALU_DEP_2)
	v_pk_fma_f16 v55, v41, v56, v55
	v_pk_fma_f16 v59, v45, v57, v59
	s_delay_alu instid0(VALU_DEP_2) | instskip(NEXT) | instid1(VALU_DEP_2)
	v_pk_fma_f16 v55, v5, v57, v55
	v_pk_fma_f16 v59, v46, v58, v59
	s_delay_alu instid0(VALU_DEP_2) | instskip(NEXT) | instid1(VALU_DEP_2)
	v_pk_fma_f16 v55, v4, v58, v55
	v_cvt_f32_f16_e32 v60, v59
	s_delay_alu instid0(VALU_DEP_2) | instskip(SKIP_2) | instid1(VALU_DEP_2)
	v_cvt_f32_f16_e32 v56, v55
	v_lshrrev_b32_e32 v55, 16, v55
	v_lshrrev_b32_e32 v59, 16, v59
	v_cvt_f32_f16_e32 v55, v55
	s_delay_alu instid0(VALU_DEP_2) | instskip(NEXT) | instid1(VALU_DEP_2)
	v_cvt_f32_f16_e32 v59, v59
	v_add_f32_e32 v55, v56, v55
	s_delay_alu instid0(VALU_DEP_2) | instskip(NEXT) | instid1(VALU_DEP_2)
	v_add_f32_e32 v59, v60, v59
	v_fmac_f32_e32 v17, v55, v31
	ds_load_2addr_b32 v[55:56], v40 offset0:204 offset1:205
	v_fmac_f32_e32 v16, v59, v29
	s_waitcnt lgkmcnt(0)
	v_pk_fma_f16 v57, v54, v55, 0
	s_delay_alu instid0(VALU_DEP_1) | instskip(SKIP_3) | instid1(VALU_DEP_1)
	v_pk_fma_f16 v59, v53, v56, v57
	ds_load_2addr_b32 v[57:58], v40 offset0:206 offset1:207
	s_waitcnt lgkmcnt(0)
	v_pk_fma_f16 v40, v51, v57, v59
	v_pk_fma_f16 v40, v52, v58, v40
	s_delay_alu instid0(VALU_DEP_1) | instskip(SKIP_1) | instid1(VALU_DEP_1)
	v_cvt_f32_f16_e32 v59, v40
	v_lshrrev_b32_e32 v40, 16, v40
	v_cvt_f32_f16_e32 v40, v40
	s_delay_alu instid0(VALU_DEP_1) | instskip(NEXT) | instid1(VALU_DEP_1)
	v_add_f32_e32 v40, v59, v40
	v_fmac_f32_e32 v18, v40, v28
	v_pk_fma_f16 v40, v47, v55, 0
	s_delay_alu instid0(VALU_DEP_1) | instskip(NEXT) | instid1(VALU_DEP_1)
	v_pk_fma_f16 v40, v48, v56, v40
	v_pk_fma_f16 v40, v49, v57, v40
	s_delay_alu instid0(VALU_DEP_1) | instskip(NEXT) | instid1(VALU_DEP_1)
	v_pk_fma_f16 v40, v50, v58, v40
	v_cvt_f32_f16_e32 v59, v40
	v_lshrrev_b32_e32 v40, 16, v40
	s_delay_alu instid0(VALU_DEP_1) | instskip(NEXT) | instid1(VALU_DEP_1)
	v_cvt_f32_f16_e32 v40, v40
	v_add_f32_e32 v40, v59, v40
	s_delay_alu instid0(VALU_DEP_1) | instskip(SKIP_1) | instid1(VALU_DEP_1)
	v_fmac_f32_e32 v19, v40, v30
	v_pk_fma_f16 v40, v43, v55, 0
	v_pk_fma_f16 v40, v44, v56, v40
	s_delay_alu instid0(VALU_DEP_1) | instskip(NEXT) | instid1(VALU_DEP_1)
	v_pk_fma_f16 v40, v45, v57, v40
	v_pk_fma_f16 v40, v46, v58, v40
	s_delay_alu instid0(VALU_DEP_1) | instskip(SKIP_1) | instid1(VALU_DEP_1)
	v_cvt_f32_f16_e32 v59, v40
	v_lshrrev_b32_e32 v40, 16, v40
	v_cvt_f32_f16_e32 v40, v40
	s_delay_alu instid0(VALU_DEP_1) | instskip(NEXT) | instid1(VALU_DEP_1)
	v_add_f32_e32 v40, v59, v40
	v_fmac_f32_e32 v20, v40, v29
	v_pk_fma_f16 v40, v42, v55, 0
	s_delay_alu instid0(VALU_DEP_1) | instskip(NEXT) | instid1(VALU_DEP_1)
	v_pk_fma_f16 v40, v41, v56, v40
	v_pk_fma_f16 v40, v5, v57, v40
	s_delay_alu instid0(VALU_DEP_1) | instskip(NEXT) | instid1(VALU_DEP_1)
	v_pk_fma_f16 v40, v4, v58, v40
	v_cvt_f32_f16_e32 v55, v40
	v_lshrrev_b32_e32 v40, 16, v40
	s_delay_alu instid0(VALU_DEP_1) | instskip(NEXT) | instid1(VALU_DEP_1)
	v_cvt_f32_f16_e32 v40, v40
	v_add_f32_e32 v40, v55, v40
	s_delay_alu instid0(VALU_DEP_1)
	v_dual_fmac_f32 v21, v40, v31 :: v_dual_mov_b32 v40, s19
	s_add_i32 s19, s13, 0x438
	s_add_i32 s13, s13, 64
	s_cmp_ge_i32 s15, s20
	ds_load_2addr_b32 v[55:56], v40 offset1:1
	s_waitcnt lgkmcnt(0)
	v_pk_fma_f16 v40, v54, v55, 0
	s_delay_alu instid0(VALU_DEP_1) | instskip(SKIP_4) | instid1(VALU_DEP_1)
	v_pk_fma_f16 v40, v53, v56, v40
	v_mov_b32_e32 v53, s19
	ds_load_2addr_b32 v[53:54], v53 offset1:1
	s_waitcnt lgkmcnt(0)
	v_pk_fma_f16 v40, v51, v53, v40
	v_pk_fma_f16 v40, v52, v54, v40
	s_delay_alu instid0(VALU_DEP_1) | instskip(SKIP_1) | instid1(VALU_DEP_1)
	v_cvt_f32_f16_e32 v51, v40
	v_lshrrev_b32_e32 v40, 16, v40
	v_cvt_f32_f16_e32 v40, v40
	s_delay_alu instid0(VALU_DEP_1) | instskip(NEXT) | instid1(VALU_DEP_1)
	v_add_f32_e32 v40, v51, v40
	v_fmac_f32_e32 v22, v40, v28
	v_pk_fma_f16 v40, v47, v55, 0
	s_delay_alu instid0(VALU_DEP_1) | instskip(NEXT) | instid1(VALU_DEP_1)
	v_pk_fma_f16 v40, v48, v56, v40
	v_pk_fma_f16 v40, v49, v53, v40
	s_delay_alu instid0(VALU_DEP_1) | instskip(NEXT) | instid1(VALU_DEP_1)
	v_pk_fma_f16 v40, v50, v54, v40
	v_cvt_f32_f16_e32 v47, v40
	v_lshrrev_b32_e32 v40, 16, v40
	s_delay_alu instid0(VALU_DEP_1) | instskip(NEXT) | instid1(VALU_DEP_1)
	v_cvt_f32_f16_e32 v40, v40
	v_add_f32_e32 v40, v47, v40
	s_delay_alu instid0(VALU_DEP_1) | instskip(SKIP_1) | instid1(VALU_DEP_1)
	v_fmac_f32_e32 v23, v40, v30
	v_pk_fma_f16 v40, v43, v55, 0
	v_pk_fma_f16 v40, v44, v56, v40
	s_delay_alu instid0(VALU_DEP_1) | instskip(NEXT) | instid1(VALU_DEP_1)
	v_pk_fma_f16 v40, v45, v53, v40
	v_pk_fma_f16 v40, v46, v54, v40
	s_delay_alu instid0(VALU_DEP_1) | instskip(SKIP_1) | instid1(VALU_DEP_1)
	v_cvt_f32_f16_e32 v43, v40
	v_lshrrev_b32_e32 v40, 16, v40
	v_cvt_f32_f16_e32 v40, v40
	s_delay_alu instid0(VALU_DEP_1) | instskip(NEXT) | instid1(VALU_DEP_1)
	v_add_f32_e32 v40, v43, v40
	v_fmac_f32_e32 v24, v40, v29
	v_pk_fma_f16 v40, v42, v55, 0
	s_delay_alu instid0(VALU_DEP_1) | instskip(NEXT) | instid1(VALU_DEP_1)
	v_pk_fma_f16 v40, v41, v56, v40
	v_pk_fma_f16 v5, v5, v53, v40
	s_delay_alu instid0(VALU_DEP_1) | instskip(NEXT) | instid1(VALU_DEP_1)
	v_pk_fma_f16 v4, v4, v54, v5
	v_cvt_f32_f16_e32 v5, v4
	v_lshrrev_b32_e32 v4, 16, v4
	s_delay_alu instid0(VALU_DEP_1) | instskip(NEXT) | instid1(VALU_DEP_1)
	v_cvt_f32_f16_e32 v4, v4
	v_add_f32_e32 v4, v5, v4
	s_delay_alu instid0(VALU_DEP_1)
	v_fmac_f32_e32 v27, v4, v31
	s_cbranch_scc1 .LBB33_18
.LBB33_16:                              ; =>This Inner Loop Header: Depth=1
	s_cmp_lg_u32 s15, s4
	s_cbranch_scc1 .LBB33_15
; %bb.17:                               ;   in Loop: Header=BB33_16 Depth=1
	s_add_i32 s18, s18, 1
	s_add_i32 s4, s4, s14
	s_mul_i32 s19, s18, s16
	s_delay_alu instid0(SALU_CYCLE_1) | instskip(SKIP_2) | instid1(SALU_CYCLE_1)
	s_ashr_i32 s21, s19, 31
	v_add_nc_u32_e32 v4, s19, v1
	s_lshr_b32 s21, s21, 29
	s_add_i32 s19, s19, s21
	s_delay_alu instid0(VALU_DEP_1) | instskip(SKIP_1) | instid1(SALU_CYCLE_1)
	v_ashrrev_i32_e32 v5, 31, v4
	s_ashr_i32 s19, s19, 3
	v_add_nc_u32_e32 v28, s19, v6
	s_delay_alu instid0(VALU_DEP_2) | instskip(NEXT) | instid1(VALU_DEP_2)
	v_lshlrev_b64 v[4:5], 1, v[4:5]
	v_ashrrev_i32_e32 v29, 31, v28
	s_delay_alu instid0(VALU_DEP_2) | instskip(NEXT) | instid1(VALU_DEP_2)
	v_add_co_u32 v4, vcc_lo, s8, v4
	v_lshlrev_b64 v[28:29], 2, v[28:29]
	s_delay_alu instid0(VALU_DEP_4) | instskip(NEXT) | instid1(VALU_DEP_2)
	v_add_co_ci_u32_e32 v5, vcc_lo, s9, v5, vcc_lo
	v_add_co_u32 v28, vcc_lo, s6, v28
	s_delay_alu instid0(VALU_DEP_3)
	v_add_co_ci_u32_e32 v29, vcc_lo, s7, v29, vcc_lo
	global_load_b64 v[4:5], v[4:5], off
	global_load_b32 v29, v[28:29], off
	s_waitcnt vmcnt(1)
	v_cvt_f32_f16_e32 v28, v4
	v_lshrrev_b32_e32 v4, 16, v4
	s_waitcnt vmcnt(0)
	v_bfe_u32 v31, v29, v25, 4
	v_lshrrev_b32_e32 v32, 16, v5
	v_lshrrev_b32_e32 v33, v25, v29
	v_cvt_f32_f16_e32 v29, v5
	v_cvt_f32_f16_e32 v30, v4
	v_add_nc_u32_e32 v4, v31, v26
	v_cvt_f32_f16_e32 v31, v32
	v_bfe_u32 v5, v33, 4, 4
	v_bfe_u32 v32, v33, 8, 4
	;; [unrolled: 1-line block ×3, first 2 shown]
	v_cvt_f32_ubyte0_e32 v34, v4
	v_or_b32_e32 v4, 0xffffe400, v4
	v_add_nc_u32_e32 v5, v5, v26
	v_add_nc_u32_e32 v35, v32, v26
	;; [unrolled: 1-line block ×3, first 2 shown]
	v_cvt_f16_f32_e32 v34, v34
	v_perm_b32 v32, v4, v4, 0x5040100
	v_or_b32_e32 v4, 0xffffe400, v5
	v_cvt_f32_ubyte0_e32 v5, v5
	v_or_b32_e32 v36, 0xffffe400, v35
	v_cvt_f32_ubyte0_e32 v35, v35
	v_cvt_f32_ubyte0_e32 v37, v33
	v_sub_f16_e32 v39, 0xd400, v34
	v_cvt_f16_f32_e32 v5, v5
	v_or_b32_e32 v38, 0xffffe400, v33
	v_cvt_f16_f32_e32 v34, v35
	v_cvt_f16_f32_e32 v37, v37
	v_perm_b32 v35, v4, v4, 0x5040100
	v_sub_f16_e32 v4, 0xd400, v5
	v_perm_b32 v33, v36, v36, 0x5040100
	v_sub_f16_e32 v5, 0xd400, v34
	v_sub_f16_e32 v37, 0xd400, v37
	v_perm_b32 v34, v38, v38, 0x5040100
	v_pack_b32_f16 v36, v39, v39
	v_pack_b32_f16 v39, v4, v4
	;; [unrolled: 1-line block ×4, first 2 shown]
	s_branch .LBB33_15
.LBB33_18:
	v_cvt_f16_f32_e32 v34, v0
	v_cvt_f16_f32_e32 v33, v7
	;; [unrolled: 1-line block ×20, first 2 shown]
.LBB33_19:
	v_mad_u64_u32 v[2:3], null, s12, s16, v[1:2]
	v_perm_b32 v16, v33, v34, 0x5040100
	s_mov_b32 s0, 0
	s_delay_alu instid0(VALU_DEP_2) | instskip(NEXT) | instid1(VALU_DEP_1)
	v_ashrrev_i32_e32 v3, 31, v2
	v_lshlrev_b64 v[0:1], 1, v[2:3]
	s_delay_alu instid0(VALU_DEP_1) | instskip(NEXT) | instid1(VALU_DEP_2)
	v_add_co_u32 v0, vcc_lo, s10, v0
	v_add_co_ci_u32_e32 v1, vcc_lo, s11, v1, vcc_lo
	global_load_b32 v4, v[0:1], off
.LBB33_20:                              ; =>This Inner Loop Header: Depth=1
	s_waitcnt vmcnt(0)
	v_pk_add_f16 v3, v16, v4
	global_atomic_cmpswap_b32 v3, v[0:1], v[3:4], off glc
	s_waitcnt vmcnt(0)
	v_cmp_eq_u32_e32 vcc_lo, v4, v3
	v_mov_b32_e32 v4, v3
	s_or_b32 s0, vcc_lo, s0
	s_delay_alu instid0(SALU_CYCLE_1)
	s_and_not1_b32 exec_lo, exec_lo, s0
	s_cbranch_execnz .LBB33_20
; %bb.21:
	s_or_b32 exec_lo, exec_lo, s0
	global_load_b32 v4, v[0:1], off offset:4
	v_perm_b32 v16, v31, v32, 0x5040100
	s_mov_b32 s0, 0
.LBB33_22:                              ; =>This Inner Loop Header: Depth=1
	s_waitcnt vmcnt(0)
	s_delay_alu instid0(VALU_DEP_1)
	v_pk_add_f16 v3, v16, v4
	global_atomic_cmpswap_b32 v3, v[0:1], v[3:4], off offset:4 glc
	s_waitcnt vmcnt(0)
	v_cmp_eq_u32_e32 vcc_lo, v4, v3
	v_mov_b32_e32 v4, v3
	s_or_b32 s0, vcc_lo, s0
	s_delay_alu instid0(SALU_CYCLE_1)
	s_and_not1_b32 exec_lo, exec_lo, s0
	s_cbranch_execnz .LBB33_22
; %bb.23:
	s_or_b32 exec_lo, exec_lo, s0
	v_add_nc_u32_e32 v0, s16, v2
	v_perm_b32 v16, v29, v30, 0x5040100
	s_mov_b32 s0, 0
	s_delay_alu instid0(VALU_DEP_2) | instskip(NEXT) | instid1(VALU_DEP_1)
	v_ashrrev_i32_e32 v1, 31, v0
	v_lshlrev_b64 v[1:2], 1, v[0:1]
	s_delay_alu instid0(VALU_DEP_1) | instskip(NEXT) | instid1(VALU_DEP_2)
	v_add_co_u32 v1, vcc_lo, s10, v1
	v_add_co_ci_u32_e32 v2, vcc_lo, s11, v2, vcc_lo
	global_load_b32 v4, v[1:2], off
.LBB33_24:                              ; =>This Inner Loop Header: Depth=1
	s_waitcnt vmcnt(0)
	v_pk_add_f16 v3, v16, v4
	global_atomic_cmpswap_b32 v3, v[1:2], v[3:4], off glc
	s_waitcnt vmcnt(0)
	v_cmp_eq_u32_e32 vcc_lo, v4, v3
	v_mov_b32_e32 v4, v3
	s_or_b32 s0, vcc_lo, s0
	s_delay_alu instid0(SALU_CYCLE_1)
	s_and_not1_b32 exec_lo, exec_lo, s0
	s_cbranch_execnz .LBB33_24
; %bb.25:
	s_or_b32 exec_lo, exec_lo, s0
	global_load_b32 v4, v[1:2], off offset:4
	v_perm_b32 v16, v26, v28, 0x5040100
	s_mov_b32 s0, 0
.LBB33_26:                              ; =>This Inner Loop Header: Depth=1
	s_waitcnt vmcnt(0)
	s_delay_alu instid0(VALU_DEP_1)
	v_pk_add_f16 v3, v16, v4
	global_atomic_cmpswap_b32 v3, v[1:2], v[3:4], off offset:4 glc
	s_waitcnt vmcnt(0)
	v_cmp_eq_u32_e32 vcc_lo, v4, v3
	v_mov_b32_e32 v4, v3
	s_or_b32 s0, vcc_lo, s0
	s_delay_alu instid0(SALU_CYCLE_1)
	s_and_not1_b32 exec_lo, exec_lo, s0
	s_cbranch_execnz .LBB33_26
; %bb.27:
	s_or_b32 exec_lo, exec_lo, s0
	v_add_nc_u32_e32 v0, s16, v0
	;; [unrolled: 40-line block ×4, first 2 shown]
	v_perm_b32 v4, v7, v8, 0x5040100
	s_mov_b32 s0, 0
	s_delay_alu instid0(VALU_DEP_2) | instskip(NEXT) | instid1(VALU_DEP_1)
	v_ashrrev_i32_e32 v1, 31, v0
	v_lshlrev_b64 v[0:1], 1, v[0:1]
	s_delay_alu instid0(VALU_DEP_1) | instskip(NEXT) | instid1(VALU_DEP_2)
	v_add_co_u32 v0, vcc_lo, s10, v0
	v_add_co_ci_u32_e32 v1, vcc_lo, s11, v1, vcc_lo
	global_load_b32 v3, v[0:1], off
.LBB33_36:                              ; =>This Inner Loop Header: Depth=1
	s_waitcnt vmcnt(0)
	v_pk_add_f16 v2, v4, v3
	global_atomic_cmpswap_b32 v2, v[0:1], v[2:3], off glc
	s_waitcnt vmcnt(0)
	v_cmp_eq_u32_e32 vcc_lo, v3, v2
	v_mov_b32_e32 v3, v2
	s_or_b32 s0, vcc_lo, s0
	s_delay_alu instid0(SALU_CYCLE_1)
	s_and_not1_b32 exec_lo, exec_lo, s0
	s_cbranch_execnz .LBB33_36
; %bb.37:
	s_or_b32 exec_lo, exec_lo, s0
	global_load_b32 v3, v[0:1], off offset:4
	v_perm_b32 v4, v5, v6, 0x5040100
	s_mov_b32 s0, 0
.LBB33_38:                              ; =>This Inner Loop Header: Depth=1
	s_waitcnt vmcnt(0)
	s_delay_alu instid0(VALU_DEP_1)
	v_pk_add_f16 v2, v4, v3
	global_atomic_cmpswap_b32 v2, v[0:1], v[2:3], off offset:4 glc
	s_waitcnt vmcnt(0)
	v_cmp_eq_u32_e32 vcc_lo, v3, v2
	v_mov_b32_e32 v3, v2
	s_or_b32 s0, vcc_lo, s0
	s_delay_alu instid0(SALU_CYCLE_1)
	s_and_not1_b32 exec_lo, exec_lo, s0
	s_cbranch_execnz .LBB33_38
.LBB33_39:
	s_endpgm
	.section	.rodata,"a",@progbits
	.p2align	6, 0x0
	.amdhsa_kernel _ZN4vllm4gptq33gemm_half_q_half_gptq_4bit_kernelILb1ELi5EEEvPK6__halfPKjS6_S4_PS2_iiiibPKi
		.amdhsa_group_segment_fixed_size 1280
		.amdhsa_private_segment_fixed_size 0
		.amdhsa_kernarg_size 72
		.amdhsa_user_sgpr_count 13
		.amdhsa_user_sgpr_dispatch_ptr 0
		.amdhsa_user_sgpr_queue_ptr 0
		.amdhsa_user_sgpr_kernarg_segment_ptr 1
		.amdhsa_user_sgpr_dispatch_id 0
		.amdhsa_user_sgpr_private_segment_size 0
		.amdhsa_wavefront_size32 1
		.amdhsa_uses_dynamic_stack 0
		.amdhsa_enable_private_segment 0
		.amdhsa_system_sgpr_workgroup_id_x 1
		.amdhsa_system_sgpr_workgroup_id_y 1
		.amdhsa_system_sgpr_workgroup_id_z 1
		.amdhsa_system_sgpr_workgroup_info 0
		.amdhsa_system_vgpr_workitem_id 0
		.amdhsa_next_free_vgpr 63
		.amdhsa_next_free_sgpr 24
		.amdhsa_reserve_vcc 1
		.amdhsa_float_round_mode_32 0
		.amdhsa_float_round_mode_16_64 0
		.amdhsa_float_denorm_mode_32 3
		.amdhsa_float_denorm_mode_16_64 3
		.amdhsa_dx10_clamp 1
		.amdhsa_ieee_mode 1
		.amdhsa_fp16_overflow 0
		.amdhsa_workgroup_processor_mode 1
		.amdhsa_memory_ordered 1
		.amdhsa_forward_progress 0
		.amdhsa_shared_vgpr_count 0
		.amdhsa_exception_fp_ieee_invalid_op 0
		.amdhsa_exception_fp_denorm_src 0
		.amdhsa_exception_fp_ieee_div_zero 0
		.amdhsa_exception_fp_ieee_overflow 0
		.amdhsa_exception_fp_ieee_underflow 0
		.amdhsa_exception_fp_ieee_inexact 0
		.amdhsa_exception_int_div_zero 0
	.end_amdhsa_kernel
	.section	.text._ZN4vllm4gptq33gemm_half_q_half_gptq_4bit_kernelILb1ELi5EEEvPK6__halfPKjS6_S4_PS2_iiiibPKi,"axG",@progbits,_ZN4vllm4gptq33gemm_half_q_half_gptq_4bit_kernelILb1ELi5EEEvPK6__halfPKjS6_S4_PS2_iiiibPKi,comdat
.Lfunc_end33:
	.size	_ZN4vllm4gptq33gemm_half_q_half_gptq_4bit_kernelILb1ELi5EEEvPK6__halfPKjS6_S4_PS2_iiiibPKi, .Lfunc_end33-_ZN4vllm4gptq33gemm_half_q_half_gptq_4bit_kernelILb1ELi5EEEvPK6__halfPKjS6_S4_PS2_iiiibPKi
                                        ; -- End function
	.section	.AMDGPU.csdata,"",@progbits
; Kernel info:
; codeLenInByte = 10520
; NumSgprs: 26
; NumVgprs: 63
; ScratchSize: 0
; MemoryBound: 0
; FloatMode: 240
; IeeeMode: 1
; LDSByteSize: 1280 bytes/workgroup (compile time only)
; SGPRBlocks: 3
; VGPRBlocks: 7
; NumSGPRsForWavesPerEU: 26
; NumVGPRsForWavesPerEU: 63
; Occupancy: 16
; WaveLimiterHint : 0
; COMPUTE_PGM_RSRC2:SCRATCH_EN: 0
; COMPUTE_PGM_RSRC2:USER_SGPR: 13
; COMPUTE_PGM_RSRC2:TRAP_HANDLER: 0
; COMPUTE_PGM_RSRC2:TGID_X_EN: 1
; COMPUTE_PGM_RSRC2:TGID_Y_EN: 1
; COMPUTE_PGM_RSRC2:TGID_Z_EN: 1
; COMPUTE_PGM_RSRC2:TIDIG_COMP_CNT: 0
	.section	.text._ZN4vllm4gptq33gemm_half_q_half_gptq_8bit_kernelILb1ELi5EEEvPK6__halfPKjS6_S4_PS2_iiiibPKi,"axG",@progbits,_ZN4vllm4gptq33gemm_half_q_half_gptq_8bit_kernelILb1ELi5EEEvPK6__halfPKjS6_S4_PS2_iiiibPKi,comdat
	.protected	_ZN4vllm4gptq33gemm_half_q_half_gptq_8bit_kernelILb1ELi5EEEvPK6__halfPKjS6_S4_PS2_iiiibPKi ; -- Begin function _ZN4vllm4gptq33gemm_half_q_half_gptq_8bit_kernelILb1ELi5EEEvPK6__halfPKjS6_S4_PS2_iiiibPKi
	.globl	_ZN4vllm4gptq33gemm_half_q_half_gptq_8bit_kernelILb1ELi5EEEvPK6__halfPKjS6_S4_PS2_iiiibPKi
	.p2align	8
	.type	_ZN4vllm4gptq33gemm_half_q_half_gptq_8bit_kernelILb1ELi5EEEvPK6__halfPKjS6_S4_PS2_iiiibPKi,@function
_ZN4vllm4gptq33gemm_half_q_half_gptq_8bit_kernelILb1ELi5EEEvPK6__halfPKjS6_S4_PS2_iiiibPKi: ; @_ZN4vllm4gptq33gemm_half_q_half_gptq_8bit_kernelILb1ELi5EEEvPK6__halfPKjS6_S4_PS2_iiiibPKi
; %bb.0:
	s_load_b128 s[16:19], s[0:1], 0x2c
	s_lshl_b32 s15, s15, 7
	s_load_b256 s[4:11], s[0:1], 0x8
	s_add_i32 s2, s15, 0x80
	s_mul_i32 s12, s14, 5
	v_cvt_f64_u32_e32 v[1:2], s2
	s_mov_b32 s14, exec_lo
	s_waitcnt lgkmcnt(0)
	v_cvt_f64_i32_e32 v[3:4], s17
	s_delay_alu instid0(VALU_DEP_1) | instskip(NEXT) | instid1(VALU_DEP_1)
	v_min_f64 v[1:2], v[1:2], v[3:4]
	v_cvt_i32_f64_e32 v2, v[1:2]
	v_add_nc_u32_e32 v1, s15, v0
	s_delay_alu instid0(VALU_DEP_2) | instskip(NEXT) | instid1(VALU_DEP_2)
	v_readfirstlane_b32 s20, v2
	v_cmpx_lt_u32_e64 v1, v2
	s_cbranch_execz .LBB34_12
; %bb.1:
	s_clause 0x1
	s_load_b64 s[2:3], s[0:1], 0x40
	s_load_b64 s[0:1], s[0:1], 0x0
	v_mov_b32_e32 v2, 0
	s_delay_alu instid0(VALU_DEP_1) | instskip(SKIP_2) | instid1(VALU_DEP_2)
	v_lshlrev_b64 v[3:4], 2, v[1:2]
	v_dual_mov_b32 v6, v2 :: v_dual_mov_b32 v5, v1
	s_waitcnt lgkmcnt(0)
	v_add_co_u32 v3, vcc_lo, s2, v3
	s_delay_alu instid0(VALU_DEP_3)
	v_add_co_ci_u32_e32 v4, vcc_lo, s3, v4, vcc_lo
	s_cmp_lg_u64 s[2:3], 0
	s_cselect_b32 s21, -1, 0
	s_cmp_eq_u64 s[2:3], 0
	s_cbranch_scc1 .LBB34_3
; %bb.2:
	global_load_b32 v5, v[3:4], off
	s_waitcnt vmcnt(0)
	v_ashrrev_i32_e32 v6, 31, v5
.LBB34_3:
	s_mul_i32 s2, s12, s17
	s_delay_alu instid0(VALU_DEP_1)
	v_lshlrev_b64 v[5:6], 1, v[5:6]
	s_ashr_i32 s3, s2, 31
	v_lshlrev_b32_e32 v7, 1, v0
	s_lshl_b64 s[22:23], s[2:3], 1
	v_cndmask_b32_e64 v8, 0, 1, s21
	s_add_u32 s3, s0, s22
	s_addc_u32 s22, s1, s23
	v_add_co_u32 v5, vcc_lo, s3, v5
	v_add_co_ci_u32_e32 v6, vcc_lo, s22, v6, vcc_lo
	s_and_not1_b32 vcc_lo, exec_lo, s21
	global_load_u16 v9, v[5:6], off
	v_dual_mov_b32 v6, v2 :: v_dual_mov_b32 v5, v1
	s_waitcnt vmcnt(0)
	ds_store_b16 v7, v9
	s_cbranch_vccnz .LBB34_5
; %bb.4:
	global_load_b32 v5, v[3:4], off
	s_waitcnt vmcnt(0)
	v_ashrrev_i32_e32 v6, 31, v5
.LBB34_5:
	s_add_i32 s2, s2, s17
	s_delay_alu instid0(VALU_DEP_1) | instskip(SKIP_1) | instid1(SALU_CYCLE_1)
	v_lshlrev_b64 v[5:6], 1, v[5:6]
	s_ashr_i32 s3, s2, 31
	s_lshl_b64 s[22:23], s[2:3], 1
	s_delay_alu instid0(SALU_CYCLE_1) | instskip(SKIP_1) | instid1(VALU_DEP_1)
	s_add_u32 s3, s0, s22
	s_addc_u32 s21, s1, s23
	v_add_co_u32 v5, vcc_lo, s3, v5
	v_add_co_ci_u32_e32 v6, vcc_lo, s21, v6, vcc_lo
	v_cmp_ne_u32_e32 vcc_lo, 1, v8
	global_load_u16 v9, v[5:6], off
	v_dual_mov_b32 v6, v2 :: v_dual_mov_b32 v5, v1
	s_waitcnt vmcnt(0)
	ds_store_b16 v7, v9 offset:256
	s_cbranch_vccnz .LBB34_7
; %bb.6:
	global_load_b32 v5, v[3:4], off
	s_waitcnt vmcnt(0)
	v_ashrrev_i32_e32 v6, 31, v5
.LBB34_7:
	s_add_i32 s2, s2, s17
	s_delay_alu instid0(VALU_DEP_1) | instskip(SKIP_1) | instid1(SALU_CYCLE_1)
	v_lshlrev_b64 v[5:6], 1, v[5:6]
	s_ashr_i32 s3, s2, 31
	s_lshl_b64 s[22:23], s[2:3], 1
	s_delay_alu instid0(SALU_CYCLE_1) | instskip(SKIP_1) | instid1(VALU_DEP_1)
	s_add_u32 s3, s0, s22
	s_addc_u32 s21, s1, s23
	v_add_co_u32 v5, vcc_lo, s3, v5
	v_add_co_ci_u32_e32 v6, vcc_lo, s21, v6, vcc_lo
	v_cmp_ne_u32_e32 vcc_lo, 1, v8
	global_load_u16 v9, v[5:6], off
	v_dual_mov_b32 v6, v2 :: v_dual_mov_b32 v5, v1
	s_waitcnt vmcnt(0)
	ds_store_b16 v7, v9 offset:512
	s_cbranch_vccnz .LBB34_9
; %bb.8:
	global_load_b32 v5, v[3:4], off
	s_waitcnt vmcnt(0)
	v_ashrrev_i32_e32 v6, 31, v5
.LBB34_9:
	s_add_i32 s2, s2, s17
	s_delay_alu instid0(VALU_DEP_1) | instskip(SKIP_1) | instid1(SALU_CYCLE_1)
	v_lshlrev_b64 v[5:6], 1, v[5:6]
	s_ashr_i32 s3, s2, 31
	s_lshl_b64 s[22:23], s[2:3], 1
	s_delay_alu instid0(SALU_CYCLE_1) | instskip(SKIP_1) | instid1(VALU_DEP_1)
	s_add_u32 s3, s0, s22
	s_addc_u32 s21, s1, s23
	v_add_co_u32 v5, vcc_lo, s3, v5
	v_add_co_ci_u32_e32 v6, vcc_lo, s21, v6, vcc_lo
	v_cmp_ne_u32_e32 vcc_lo, 1, v8
	global_load_u16 v5, v[5:6], off
	s_waitcnt vmcnt(0)
	ds_store_b16 v7, v5 offset:768
	s_cbranch_vccnz .LBB34_11
; %bb.10:
	global_load_b32 v1, v[3:4], off
	s_waitcnt vmcnt(0)
	v_ashrrev_i32_e32 v2, 31, v1
.LBB34_11:
	s_add_i32 s2, s2, s17
	s_delay_alu instid0(VALU_DEP_1) | instskip(SKIP_1) | instid1(SALU_CYCLE_1)
	v_lshlrev_b64 v[1:2], 1, v[1:2]
	s_ashr_i32 s3, s2, 31
	s_lshl_b64 s[2:3], s[2:3], 1
	s_delay_alu instid0(SALU_CYCLE_1) | instskip(SKIP_1) | instid1(VALU_DEP_1)
	s_add_u32 s0, s0, s2
	s_addc_u32 s1, s1, s3
	v_add_co_u32 v1, vcc_lo, s0, v1
	v_add_co_ci_u32_e32 v2, vcc_lo, s1, v2, vcc_lo
	global_load_u16 v1, v[1:2], off
	s_waitcnt vmcnt(0)
	ds_store_b16 v7, v1 offset:1024
.LBB34_12:
	s_or_b32 exec_lo, exec_lo, s14
	v_lshlrev_b32_e32 v0, 2, v0
	s_mov_b32 s0, exec_lo
	s_delay_alu instid0(VALU_DEP_1) | instskip(NEXT) | instid1(VALU_DEP_1)
	v_lshl_add_u32 v12, s13, 9, v0
	v_cmpx_gt_i32_e64 s16, v12
	s_cbranch_execz .LBB34_38
; %bb.13:
	s_abs_i32 s0, s18
	v_dual_mov_b32 v51, 0 :: v_dual_mov_b32 v48, 0
	v_cvt_f32_u32_e32 v0, s0
	v_dual_mov_b32 v50, 0 :: v_dual_mov_b32 v49, 0
	v_dual_mov_b32 v44, 0 :: v_dual_mov_b32 v45, 0
	s_delay_alu instid0(VALU_DEP_3)
	v_rcp_iflag_f32_e32 v0, v0
	v_dual_mov_b32 v46, 0 :: v_dual_mov_b32 v47, 0
	v_dual_mov_b32 v40, 0 :: v_dual_mov_b32 v41, 0
	v_dual_mov_b32 v42, 0 :: v_dual_mov_b32 v43, 0
	v_dual_mov_b32 v36, 0 :: v_dual_mov_b32 v39, 0
	s_waitcnt_depctr 0xfff
	v_dual_mov_b32 v37, 0 :: v_dual_mul_f32 v0, 0x4f7ffffe, v0
	v_dual_mov_b32 v38, 0 :: v_dual_mov_b32 v33, 0
	v_dual_mov_b32 v32, 0 :: v_dual_mov_b32 v35, 0
	s_delay_alu instid0(VALU_DEP_3)
	v_cvt_u32_f32_e32 v0, v0
	v_mov_b32_e32 v34, 0
	s_cmp_ge_i32 s15, s20
	s_mov_b32 s13, 0
	s_waitcnt lgkmcnt(0)
	v_readfirstlane_b32 s1, v0
	s_barrier
	buffer_gl0_inv
	s_cbranch_scc1 .LBB34_18
; %bb.14:
	s_sub_i32 s2, 0, s0
	s_abs_i32 s3, s17
	s_mul_i32 s2, s2, s1
	s_ashr_i32 s14, s18, 31
	s_mul_hi_u32 s2, s1, s2
	v_ashrrev_i32_e32 v20, 2, v12
	s_add_i32 s1, s1, s2
	s_ashr_i32 s2, s17, 31
	s_mul_hi_u32 s1, s3, s1
	s_xor_b32 s2, s2, s14
	s_mul_i32 s17, s1, s0
	s_add_i32 s14, s1, 1
	s_sub_i32 s3, s3, s17
	v_ashrrev_i32_e32 v13, 31, v12
	s_sub_i32 s17, s3, s0
	s_cmp_ge_u32 s3, s0
	v_dual_mov_b32 v34, 0 :: v_dual_mov_b32 v37, 0
	s_cselect_b32 s1, s14, s1
	s_cselect_b32 s3, s17, s3
	s_add_i32 s14, s1, 1
	s_cmp_ge_u32 s3, s0
	v_dual_mov_b32 v32, 0 :: v_dual_mov_b32 v43, 0
	s_cselect_b32 s0, s14, s1
	v_dual_mov_b32 v38, 0 :: v_dual_mov_b32 v41, 0
	s_xor_b32 s0, s0, s2
	v_dual_mov_b32 v36, 0 :: v_dual_mov_b32 v47, 0
	s_sub_i32 s14, s0, s2
	s_bitcmp1_b32 s19, 0
	v_cvt_f32_u32_e32 v0, s14
	s_cselect_b32 s1, -1, 0
	s_sub_i32 s2, 0, s14
	s_xor_b32 s3, s1, -1
	v_dual_mov_b32 v42, 0 :: v_dual_mov_b32 v45, 0
	v_rcp_iflag_f32_e32 v0, v0
	v_dual_mov_b32 v40, 0 :: v_dual_mov_b32 v49, 0
	v_dual_mov_b32 v46, 0 :: v_dual_mov_b32 v51, 0
	;; [unrolled: 1-line block ×3, first 2 shown]
	v_mov_b32_e32 v50, 0
	v_dual_mov_b32 v48, 0 :: v_dual_mov_b32 v33, 0
	s_waitcnt_depctr 0xfff
	v_dual_mul_f32 v0, 0x4f7ffffe, v0 :: v_dual_mov_b32 v39, 0
	s_delay_alu instid0(VALU_DEP_1) | instskip(NEXT) | instid1(VALU_DEP_1)
	v_cvt_u32_f32_e32 v0, v0
	v_readfirstlane_b32 s0, v0
	s_delay_alu instid0(VALU_DEP_1) | instskip(NEXT) | instid1(SALU_CYCLE_1)
	s_mul_i32 s2, s2, s0
	s_mul_hi_u32 s2, s0, s2
	s_delay_alu instid0(SALU_CYCLE_1) | instskip(NEXT) | instid1(SALU_CYCLE_1)
	s_add_i32 s0, s0, s2
	s_mul_hi_u32 s0, s15, s0
	s_delay_alu instid0(SALU_CYCLE_1) | instskip(NEXT) | instid1(SALU_CYCLE_1)
	s_mul_i32 s2, s0, s14
	s_sub_i32 s1, s15, s2
	s_add_i32 s2, s0, 1
	s_sub_i32 s17, s1, s14
	s_cmp_ge_u32 s1, s14
	s_cselect_b32 s0, s2, s0
	s_cselect_b32 s1, s17, s1
	s_add_i32 s2, s0, 1
	s_cmp_ge_u32 s1, s14
	s_cselect_b32 s18, s2, s0
	s_delay_alu instid0(SALU_CYCLE_1) | instskip(NEXT) | instid1(SALU_CYCLE_1)
	s_mul_i32 s0, s18, s16
	s_ashr_i32 s1, s0, 31
	v_add_nc_u32_e32 v0, s0, v12
	s_lshr_b32 s1, s1, 30
	s_delay_alu instid0(SALU_CYCLE_1) | instskip(NEXT) | instid1(SALU_CYCLE_1)
	s_add_i32 s0, s0, s1
	s_ashr_i32 s0, s0, 2
	s_delay_alu instid0(VALU_DEP_1) | instskip(SKIP_2) | instid1(SALU_CYCLE_1)
	v_ashrrev_i32_e32 v1, 31, v0
	v_add_nc_u32_e32 v2, s0, v20
	s_lshr_b32 s0, s15, 2
	s_mul_i32 s0, s0, s16
	s_delay_alu instid0(VALU_DEP_2) | instskip(NEXT) | instid1(VALU_DEP_2)
	v_lshlrev_b64 v[0:1], 1, v[0:1]
	v_ashrrev_i32_e32 v3, 31, v2
	s_ashr_i32 s1, s0, 31
	s_delay_alu instid0(SALU_CYCLE_1) | instskip(NEXT) | instid1(VALU_DEP_1)
	s_lshl_b64 s[0:1], s[0:1], 2
	v_lshlrev_b64 v[2:3], 2, v[2:3]
	s_delay_alu instid0(VALU_DEP_3) | instskip(SKIP_2) | instid1(VALU_DEP_3)
	v_add_co_u32 v0, vcc_lo, s8, v0
	v_add_co_ci_u32_e32 v1, vcc_lo, s9, v1, vcc_lo
	s_add_u32 s0, s4, s0
	v_add_co_u32 v2, vcc_lo, s6, v2
	s_delay_alu instid0(VALU_DEP_4)
	v_add_co_ci_u32_e32 v3, vcc_lo, s7, v3, vcc_lo
	global_load_b64 v[14:15], v[0:1], off
	global_load_b32 v2, v[2:3], off
	v_lshlrev_b64 v[0:1], 2, v[12:13]
	s_addc_u32 s1, s5, s1
	v_cndmask_b32_e64 v13, 0, 1, s3
	s_ashr_i32 s17, s16, 31
	s_add_i32 s4, s14, s15
	s_lshl_b64 s[2:3], s[16:17], 2
	v_add_co_u32 v16, vcc_lo, s0, v0
	v_add_co_ci_u32_e32 v17, vcc_lo, s1, v1, vcc_lo
	s_lshl_b64 s[0:1], s[16:17], 5
	s_waitcnt vmcnt(1)
	v_lshrrev_b32_e32 v24, 16, v15
	v_lshrrev_b32_e32 v21, 16, v14
	s_waitcnt vmcnt(0)
	v_and_b32_e32 v22, 0xff, v2
	v_bfe_u32 v23, v2, 8, 8
	v_bfe_u32 v25, v2, 16, 8
	v_lshrrev_b32_e32 v26, 24, v2
	s_branch .LBB34_16
.LBB34_15:                              ;   in Loop: Header=BB34_16 Depth=1
	global_load_b128 v[0:3], v[16:17], off
	v_add_co_u32 v18, vcc_lo, v16, s2
	v_add_co_ci_u32_e32 v19, vcc_lo, s3, v17, vcc_lo
	v_add_nc_u32_e32 v31, v22, v13
	v_dual_mov_b32 v27, s13 :: v_dual_add_nc_u32 v30, v23, v13
	global_load_b128 v[4:7], v[18:19], off
	v_add_nc_u32_e32 v29, v25, v13
	v_add_nc_u32_e32 v28, v26, v13
	v_add_co_u32 v18, vcc_lo, v18, s2
	v_add_co_ci_u32_e32 v19, vcc_lo, s3, v19, vcc_lo
	s_add_i32 s15, s15, 32
	s_add_i32 s13, s13, 64
	s_cmp_ge_i32 s15, s20
	s_waitcnt vmcnt(1)
	v_and_b32_e32 v8, 0xff, v0
	s_delay_alu instid0(VALU_DEP_1) | instskip(NEXT) | instid1(VALU_DEP_1)
	v_sub_nc_u32_e32 v8, v8, v31
	v_cvt_f32_i32_e32 v8, v8
	s_delay_alu instid0(VALU_DEP_1) | instskip(SKIP_1) | instid1(VALU_DEP_1)
	v_cvt_f16_f32_e32 v52, v8
	v_bfe_u32 v8, v0, 8, 8
	v_sub_nc_u32_e32 v8, v8, v31
	s_delay_alu instid0(VALU_DEP_1) | instskip(NEXT) | instid1(VALU_DEP_1)
	v_cvt_f32_i32_e32 v8, v8
	v_cvt_f16_f32_e32 v53, v8
	v_bfe_u32 v8, v0, 16, 8
	v_lshrrev_b32_e32 v0, 24, v0
	s_delay_alu instid0(VALU_DEP_2) | instskip(NEXT) | instid1(VALU_DEP_2)
	v_sub_nc_u32_e32 v8, v8, v31
	v_sub_nc_u32_e32 v0, v0, v31
	s_delay_alu instid0(VALU_DEP_2) | instskip(NEXT) | instid1(VALU_DEP_2)
	v_cvt_f32_i32_e32 v8, v8
	v_cvt_f32_i32_e32 v0, v0
	s_delay_alu instid0(VALU_DEP_2) | instskip(NEXT) | instid1(VALU_DEP_2)
	v_cvt_f16_f32_e32 v54, v8
	v_cvt_f16_f32_e32 v55, v0
	s_waitcnt vmcnt(0)
	v_and_b32_e32 v0, 0xff, v4
	s_delay_alu instid0(VALU_DEP_1) | instskip(NEXT) | instid1(VALU_DEP_1)
	v_sub_nc_u32_e32 v0, v0, v31
	v_cvt_f32_i32_e32 v0, v0
	s_delay_alu instid0(VALU_DEP_1) | instskip(SKIP_1) | instid1(VALU_DEP_1)
	v_cvt_f16_f32_e32 v56, v0
	v_bfe_u32 v0, v4, 8, 8
	v_sub_nc_u32_e32 v0, v0, v31
	s_delay_alu instid0(VALU_DEP_1) | instskip(NEXT) | instid1(VALU_DEP_1)
	v_cvt_f32_i32_e32 v0, v0
	v_cvt_f16_f32_e32 v57, v0
	v_bfe_u32 v0, v4, 16, 8
	s_delay_alu instid0(VALU_DEP_1) | instskip(NEXT) | instid1(VALU_DEP_1)
	v_sub_nc_u32_e32 v0, v0, v31
	v_cvt_f32_i32_e32 v0, v0
	s_delay_alu instid0(VALU_DEP_1) | instskip(SKIP_1) | instid1(VALU_DEP_1)
	v_cvt_f16_f32_e32 v58, v0
	v_lshrrev_b32_e32 v0, 24, v4
	v_sub_nc_u32_e32 v0, v0, v31
	s_delay_alu instid0(VALU_DEP_1) | instskip(NEXT) | instid1(VALU_DEP_1)
	v_cvt_f32_i32_e32 v0, v0
	v_cvt_f16_f32_e32 v59, v0
	v_and_b32_e32 v0, 0xff, v1
	s_delay_alu instid0(VALU_DEP_1) | instskip(NEXT) | instid1(VALU_DEP_1)
	v_sub_nc_u32_e32 v0, v0, v30
	v_cvt_f32_i32_e32 v0, v0
	s_delay_alu instid0(VALU_DEP_1) | instskip(SKIP_1) | instid1(VALU_DEP_1)
	v_cvt_f16_f32_e32 v61, v0
	v_bfe_u32 v0, v1, 8, 8
	v_sub_nc_u32_e32 v0, v0, v30
	s_delay_alu instid0(VALU_DEP_1) | instskip(NEXT) | instid1(VALU_DEP_1)
	v_cvt_f32_i32_e32 v0, v0
	v_cvt_f16_f32_e32 v62, v0
	v_bfe_u32 v0, v1, 16, 8
	s_delay_alu instid0(VALU_DEP_1) | instskip(NEXT) | instid1(VALU_DEP_1)
	v_sub_nc_u32_e32 v0, v0, v30
	v_cvt_f32_i32_e32 v0, v0
	s_delay_alu instid0(VALU_DEP_1) | instskip(SKIP_1) | instid1(VALU_DEP_1)
	v_cvt_f16_f32_e32 v63, v0
	v_lshrrev_b32_e32 v0, 24, v1
	v_sub_nc_u32_e32 v0, v0, v30
	s_delay_alu instid0(VALU_DEP_1) | instskip(NEXT) | instid1(VALU_DEP_1)
	v_cvt_f32_i32_e32 v0, v0
	v_cvt_f16_f32_e32 v64, v0
	;; [unrolled: 22-line block ×7, first 2 shown]
	ds_load_b128 v[83:86], v27
	ds_load_b128 v[8:11], v27 offset:16
	ds_load_b128 v[4:7], v27 offset:32
	ds_load_b128 v[0:3], v27 offset:48
	s_waitcnt lgkmcnt(3)
	v_fma_mix_f32 v60, v52, v83, 0 op_sel_hi:[1,1,0]
	s_delay_alu instid0(VALU_DEP_1) | instskip(NEXT) | instid1(VALU_DEP_1)
	v_fma_mix_f32 v60, v53, v83, v60 op_sel:[0,1,0] op_sel_hi:[1,1,0]
	v_fma_mix_f32 v60, v54, v84, v60 op_sel_hi:[1,1,0]
	s_delay_alu instid0(VALU_DEP_1) | instskip(NEXT) | instid1(VALU_DEP_1)
	v_fma_mix_f32 v60, v55, v84, v60 op_sel:[0,1,0] op_sel_hi:[1,1,0]
	;; [unrolled: 3-line block ×4, first 2 shown]
	v_fma_mixlo_f16 v60, v60, v14, 0 op_sel_hi:[0,1,0]
	s_delay_alu instid0(VALU_DEP_1) | instskip(SKIP_1) | instid1(VALU_DEP_1)
	v_add_f16_e32 v34, v34, v60
	v_fma_mix_f32 v60, v61, v83, 0 op_sel_hi:[1,1,0]
	v_fma_mix_f32 v60, v62, v83, v60 op_sel:[0,1,0] op_sel_hi:[1,1,0]
	s_delay_alu instid0(VALU_DEP_1) | instskip(NEXT) | instid1(VALU_DEP_1)
	v_fma_mix_f32 v60, v63, v84, v60 op_sel_hi:[1,1,0]
	v_fma_mix_f32 v60, v64, v84, v60 op_sel:[0,1,0] op_sel_hi:[1,1,0]
	s_delay_alu instid0(VALU_DEP_1) | instskip(NEXT) | instid1(VALU_DEP_1)
	;; [unrolled: 3-line block ×4, first 2 shown]
	v_fma_mixlo_f16 v60, v60, v21, 0 op_sel_hi:[0,1,0]
	v_add_f16_e32 v92, v35, v60
	v_fma_mix_f32 v35, v69, v83, 0 op_sel_hi:[1,1,0]
	s_delay_alu instid0(VALU_DEP_1) | instskip(NEXT) | instid1(VALU_DEP_1)
	v_fma_mix_f32 v35, v70, v83, v35 op_sel:[0,1,0] op_sel_hi:[1,1,0]
	v_fma_mix_f32 v35, v71, v84, v35 op_sel_hi:[1,1,0]
	s_delay_alu instid0(VALU_DEP_1) | instskip(NEXT) | instid1(VALU_DEP_1)
	v_fma_mix_f32 v35, v72, v84, v35 op_sel:[0,1,0] op_sel_hi:[1,1,0]
	;; [unrolled: 3-line block ×4, first 2 shown]
	v_fma_mixlo_f16 v35, v35, v15, 0 op_sel_hi:[0,1,0]
	s_delay_alu instid0(VALU_DEP_1) | instskip(SKIP_1) | instid1(VALU_DEP_1)
	v_add_f16_e32 v93, v33, v35
	v_fma_mix_f32 v33, v77, v83, 0 op_sel_hi:[1,1,0]
	v_fma_mix_f32 v33, v78, v83, v33 op_sel:[0,1,0] op_sel_hi:[1,1,0]
	s_delay_alu instid0(VALU_DEP_1) | instskip(NEXT) | instid1(VALU_DEP_1)
	v_fma_mix_f32 v33, v79, v84, v33 op_sel_hi:[1,1,0]
	v_fma_mix_f32 v33, v80, v84, v33 op_sel:[0,1,0] op_sel_hi:[1,1,0]
	s_delay_alu instid0(VALU_DEP_1) | instskip(NEXT) | instid1(VALU_DEP_1)
	;; [unrolled: 3-line block ×3, first 2 shown]
	v_fma_mix_f32 v33, v90, v86, v33 op_sel_hi:[1,1,0]
	v_fma_mix_f32 v33, v91, v86, v33 op_sel:[0,1,0] op_sel_hi:[1,1,0]
	ds_load_b128 v[85:88], v27 offset:256
	v_fma_mixlo_f16 v33, v33, v24, 0 op_sel_hi:[0,1,0]
	s_delay_alu instid0(VALU_DEP_1) | instskip(SKIP_2) | instid1(VALU_DEP_1)
	v_add_f16_e32 v94, v32, v33
	s_waitcnt lgkmcnt(0)
	v_fma_mix_f32 v32, v52, v85, 0 op_sel_hi:[1,1,0]
	v_fma_mix_f32 v32, v53, v85, v32 op_sel:[0,1,0] op_sel_hi:[1,1,0]
	s_delay_alu instid0(VALU_DEP_1) | instskip(NEXT) | instid1(VALU_DEP_1)
	v_fma_mix_f32 v32, v54, v86, v32 op_sel_hi:[1,1,0]
	v_fma_mix_f32 v32, v55, v86, v32 op_sel:[0,1,0] op_sel_hi:[1,1,0]
	s_delay_alu instid0(VALU_DEP_1) | instskip(NEXT) | instid1(VALU_DEP_1)
	;; [unrolled: 3-line block ×4, first 2 shown]
	v_fma_mixlo_f16 v32, v32, v14, 0 op_sel_hi:[0,1,0]
	v_add_f16_e32 v35, v39, v32
	v_fma_mix_f32 v32, v61, v85, 0 op_sel_hi:[1,1,0]
	s_delay_alu instid0(VALU_DEP_1) | instskip(NEXT) | instid1(VALU_DEP_1)
	v_fma_mix_f32 v32, v62, v85, v32 op_sel:[0,1,0] op_sel_hi:[1,1,0]
	v_fma_mix_f32 v32, v63, v86, v32 op_sel_hi:[1,1,0]
	s_delay_alu instid0(VALU_DEP_1) | instskip(NEXT) | instid1(VALU_DEP_1)
	v_fma_mix_f32 v32, v64, v86, v32 op_sel:[0,1,0] op_sel_hi:[1,1,0]
	;; [unrolled: 3-line block ×4, first 2 shown]
	v_fma_mixlo_f16 v32, v32, v21, 0 op_sel_hi:[0,1,0]
	s_delay_alu instid0(VALU_DEP_1) | instskip(SKIP_1) | instid1(VALU_DEP_1)
	v_add_f16_e32 v84, v38, v32
	v_fma_mix_f32 v32, v69, v85, 0 op_sel_hi:[1,1,0]
	v_fma_mix_f32 v32, v70, v85, v32 op_sel:[0,1,0] op_sel_hi:[1,1,0]
	s_delay_alu instid0(VALU_DEP_1) | instskip(NEXT) | instid1(VALU_DEP_1)
	v_fma_mix_f32 v32, v71, v86, v32 op_sel_hi:[1,1,0]
	v_fma_mix_f32 v32, v72, v86, v32 op_sel:[0,1,0] op_sel_hi:[1,1,0]
	s_delay_alu instid0(VALU_DEP_1) | instskip(NEXT) | instid1(VALU_DEP_1)
	;; [unrolled: 3-line block ×4, first 2 shown]
	v_fma_mixlo_f16 v32, v32, v15, 0 op_sel_hi:[0,1,0]
	v_add_f16_e32 v37, v37, v32
	v_fma_mix_f32 v32, v77, v85, 0 op_sel_hi:[1,1,0]
	s_delay_alu instid0(VALU_DEP_1) | instskip(NEXT) | instid1(VALU_DEP_1)
	v_fma_mix_f32 v32, v78, v85, v32 op_sel:[0,1,0] op_sel_hi:[1,1,0]
	v_fma_mix_f32 v32, v79, v86, v32 op_sel_hi:[1,1,0]
	s_delay_alu instid0(VALU_DEP_1) | instskip(NEXT) | instid1(VALU_DEP_1)
	v_fma_mix_f32 v32, v80, v86, v32 op_sel:[0,1,0] op_sel_hi:[1,1,0]
	;; [unrolled: 3-line block ×3, first 2 shown]
	v_fma_mix_f32 v32, v90, v88, v32 op_sel_hi:[1,1,0]
	s_delay_alu instid0(VALU_DEP_1) | instskip(SKIP_2) | instid1(VALU_DEP_1)
	v_fma_mix_f32 v32, v91, v88, v32 op_sel:[0,1,0] op_sel_hi:[1,1,0]
	ds_load_b128 v[86:89], v27 offset:512
	v_fma_mixlo_f16 v32, v32, v24, 0 op_sel_hi:[0,1,0]
	v_add_f16_e32 v85, v36, v32
	s_waitcnt lgkmcnt(0)
	v_fma_mix_f32 v32, v52, v86, 0 op_sel_hi:[1,1,0]
	s_delay_alu instid0(VALU_DEP_1) | instskip(NEXT) | instid1(VALU_DEP_1)
	v_fma_mix_f32 v32, v53, v86, v32 op_sel:[0,1,0] op_sel_hi:[1,1,0]
	v_fma_mix_f32 v32, v54, v87, v32 op_sel_hi:[1,1,0]
	s_delay_alu instid0(VALU_DEP_1) | instskip(NEXT) | instid1(VALU_DEP_1)
	v_fma_mix_f32 v32, v55, v87, v32 op_sel:[0,1,0] op_sel_hi:[1,1,0]
	v_fma_mix_f32 v32, v56, v88, v32 op_sel_hi:[1,1,0]
	s_delay_alu instid0(VALU_DEP_1) | instskip(NEXT) | instid1(VALU_DEP_1)
	v_fma_mix_f32 v32, v57, v88, v32 op_sel:[0,1,0] op_sel_hi:[1,1,0]
	v_fma_mix_f32 v32, v58, v89, v32 op_sel_hi:[1,1,0]
	s_delay_alu instid0(VALU_DEP_1) | instskip(NEXT) | instid1(VALU_DEP_1)
	v_fma_mix_f32 v32, v59, v89, v32 op_sel:[0,1,0] op_sel_hi:[1,1,0]
	v_fma_mixlo_f16 v32, v32, v14, 0 op_sel_hi:[0,1,0]
	s_delay_alu instid0(VALU_DEP_1) | instskip(SKIP_1) | instid1(VALU_DEP_1)
	v_add_f16_e32 v38, v43, v32
	v_fma_mix_f32 v32, v61, v86, 0 op_sel_hi:[1,1,0]
	v_fma_mix_f32 v32, v62, v86, v32 op_sel:[0,1,0] op_sel_hi:[1,1,0]
	s_delay_alu instid0(VALU_DEP_1) | instskip(NEXT) | instid1(VALU_DEP_1)
	v_fma_mix_f32 v32, v63, v87, v32 op_sel_hi:[1,1,0]
	v_fma_mix_f32 v32, v64, v87, v32 op_sel:[0,1,0] op_sel_hi:[1,1,0]
	s_delay_alu instid0(VALU_DEP_1) | instskip(NEXT) | instid1(VALU_DEP_1)
	;; [unrolled: 3-line block ×4, first 2 shown]
	v_fma_mixlo_f16 v32, v32, v21, 0 op_sel_hi:[0,1,0]
	v_add_f16_e32 v39, v42, v32
	v_fma_mix_f32 v32, v69, v86, 0 op_sel_hi:[1,1,0]
	s_delay_alu instid0(VALU_DEP_1) | instskip(NEXT) | instid1(VALU_DEP_1)
	v_fma_mix_f32 v32, v70, v86, v32 op_sel:[0,1,0] op_sel_hi:[1,1,0]
	v_fma_mix_f32 v32, v71, v87, v32 op_sel_hi:[1,1,0]
	s_delay_alu instid0(VALU_DEP_1) | instskip(NEXT) | instid1(VALU_DEP_1)
	v_fma_mix_f32 v32, v72, v87, v32 op_sel:[0,1,0] op_sel_hi:[1,1,0]
	v_fma_mix_f32 v32, v73, v88, v32 op_sel_hi:[1,1,0]
	s_delay_alu instid0(VALU_DEP_1) | instskip(NEXT) | instid1(VALU_DEP_1)
	v_fma_mix_f32 v32, v74, v88, v32 op_sel:[0,1,0] op_sel_hi:[1,1,0]
	v_fma_mix_f32 v32, v75, v89, v32 op_sel_hi:[1,1,0]
	s_delay_alu instid0(VALU_DEP_1) | instskip(NEXT) | instid1(VALU_DEP_1)
	v_fma_mix_f32 v32, v76, v89, v32 op_sel:[0,1,0] op_sel_hi:[1,1,0]
	v_fma_mixlo_f16 v32, v32, v15, 0 op_sel_hi:[0,1,0]
	s_delay_alu instid0(VALU_DEP_1) | instskip(SKIP_1) | instid1(VALU_DEP_1)
	v_add_f16_e32 v41, v41, v32
	v_fma_mix_f32 v32, v77, v86, 0 op_sel_hi:[1,1,0]
	v_fma_mix_f32 v32, v78, v86, v32 op_sel:[0,1,0] op_sel_hi:[1,1,0]
	s_delay_alu instid0(VALU_DEP_1) | instskip(NEXT) | instid1(VALU_DEP_1)
	v_fma_mix_f32 v32, v79, v87, v32 op_sel_hi:[1,1,0]
	v_fma_mix_f32 v32, v80, v87, v32 op_sel:[0,1,0] op_sel_hi:[1,1,0]
	s_delay_alu instid0(VALU_DEP_1) | instskip(NEXT) | instid1(VALU_DEP_1)
	;; [unrolled: 3-line block ×3, first 2 shown]
	v_fma_mix_f32 v32, v90, v89, v32 op_sel_hi:[1,1,0]
	v_fma_mix_f32 v32, v91, v89, v32 op_sel:[0,1,0] op_sel_hi:[1,1,0]
	ds_load_b128 v[86:89], v27 offset:768
	v_fma_mixlo_f16 v32, v32, v24, 0 op_sel_hi:[0,1,0]
	s_delay_alu instid0(VALU_DEP_1) | instskip(SKIP_2) | instid1(VALU_DEP_1)
	v_add_f16_e32 v83, v40, v32
	s_waitcnt lgkmcnt(0)
	v_fma_mix_f32 v32, v52, v86, 0 op_sel_hi:[1,1,0]
	v_fma_mix_f32 v32, v53, v86, v32 op_sel:[0,1,0] op_sel_hi:[1,1,0]
	s_delay_alu instid0(VALU_DEP_1) | instskip(NEXT) | instid1(VALU_DEP_1)
	v_fma_mix_f32 v32, v54, v87, v32 op_sel_hi:[1,1,0]
	v_fma_mix_f32 v32, v55, v87, v32 op_sel:[0,1,0] op_sel_hi:[1,1,0]
	s_delay_alu instid0(VALU_DEP_1) | instskip(NEXT) | instid1(VALU_DEP_1)
	;; [unrolled: 3-line block ×4, first 2 shown]
	v_fma_mixlo_f16 v32, v32, v14, 0 op_sel_hi:[0,1,0]
	v_add_f16_e32 v42, v47, v32
	v_fma_mix_f32 v32, v61, v86, 0 op_sel_hi:[1,1,0]
	s_delay_alu instid0(VALU_DEP_1) | instskip(NEXT) | instid1(VALU_DEP_1)
	v_fma_mix_f32 v32, v62, v86, v32 op_sel:[0,1,0] op_sel_hi:[1,1,0]
	v_fma_mix_f32 v32, v63, v87, v32 op_sel_hi:[1,1,0]
	s_delay_alu instid0(VALU_DEP_1) | instskip(NEXT) | instid1(VALU_DEP_1)
	v_fma_mix_f32 v32, v64, v87, v32 op_sel:[0,1,0] op_sel_hi:[1,1,0]
	v_fma_mix_f32 v32, v65, v88, v32 op_sel_hi:[1,1,0]
	s_delay_alu instid0(VALU_DEP_1) | instskip(NEXT) | instid1(VALU_DEP_1)
	v_fma_mix_f32 v32, v66, v88, v32 op_sel:[0,1,0] op_sel_hi:[1,1,0]
	v_fma_mix_f32 v32, v67, v89, v32 op_sel_hi:[1,1,0]
	s_delay_alu instid0(VALU_DEP_1) | instskip(NEXT) | instid1(VALU_DEP_1)
	v_fma_mix_f32 v32, v68, v89, v32 op_sel:[0,1,0] op_sel_hi:[1,1,0]
	v_fma_mixlo_f16 v32, v32, v21, 0 op_sel_hi:[0,1,0]
	s_delay_alu instid0(VALU_DEP_1) | instskip(SKIP_1) | instid1(VALU_DEP_1)
	v_add_f16_e32 v43, v46, v32
	v_fma_mix_f32 v32, v69, v86, 0 op_sel_hi:[1,1,0]
	v_fma_mix_f32 v32, v70, v86, v32 op_sel:[0,1,0] op_sel_hi:[1,1,0]
	s_delay_alu instid0(VALU_DEP_1) | instskip(NEXT) | instid1(VALU_DEP_1)
	v_fma_mix_f32 v32, v71, v87, v32 op_sel_hi:[1,1,0]
	v_fma_mix_f32 v32, v72, v87, v32 op_sel:[0,1,0] op_sel_hi:[1,1,0]
	s_delay_alu instid0(VALU_DEP_1) | instskip(NEXT) | instid1(VALU_DEP_1)
	v_fma_mix_f32 v32, v73, v88, v32 op_sel_hi:[1,1,0]
	v_fma_mix_f32 v32, v74, v88, v32 op_sel:[0,1,0] op_sel_hi:[1,1,0]
	s_delay_alu instid0(VALU_DEP_1) | instskip(NEXT) | instid1(VALU_DEP_1)
	v_fma_mix_f32 v32, v75, v89, v32 op_sel_hi:[1,1,0]
	v_fma_mix_f32 v32, v76, v89, v32 op_sel:[0,1,0] op_sel_hi:[1,1,0]
	s_delay_alu instid0(VALU_DEP_1) | instskip(NEXT) | instid1(VALU_DEP_1)
	v_fma_mixlo_f16 v32, v32, v15, 0 op_sel_hi:[0,1,0]
	v_add_f16_e32 v45, v45, v32
	v_fma_mix_f32 v32, v77, v86, 0 op_sel_hi:[1,1,0]
	s_delay_alu instid0(VALU_DEP_1) | instskip(NEXT) | instid1(VALU_DEP_1)
	v_fma_mix_f32 v32, v78, v86, v32 op_sel:[0,1,0] op_sel_hi:[1,1,0]
	v_fma_mix_f32 v32, v79, v87, v32 op_sel_hi:[1,1,0]
	s_delay_alu instid0(VALU_DEP_1) | instskip(NEXT) | instid1(VALU_DEP_1)
	v_fma_mix_f32 v32, v80, v87, v32 op_sel:[0,1,0] op_sel_hi:[1,1,0]
	;; [unrolled: 3-line block ×3, first 2 shown]
	v_fma_mix_f32 v32, v90, v89, v32 op_sel_hi:[1,1,0]
	s_delay_alu instid0(VALU_DEP_1) | instskip(SKIP_2) | instid1(VALU_DEP_1)
	v_fma_mix_f32 v32, v91, v89, v32 op_sel:[0,1,0] op_sel_hi:[1,1,0]
	ds_load_b128 v[86:89], v27 offset:1024
	v_fma_mixlo_f16 v32, v32, v24, 0 op_sel_hi:[0,1,0]
	v_add_f16_e32 v60, v44, v32
	s_waitcnt lgkmcnt(0)
	v_fma_mix_f32 v32, v52, v86, 0 op_sel_hi:[1,1,0]
	s_delay_alu instid0(VALU_DEP_1) | instskip(NEXT) | instid1(VALU_DEP_1)
	v_fma_mix_f32 v32, v53, v86, v32 op_sel:[0,1,0] op_sel_hi:[1,1,0]
	v_fma_mix_f32 v32, v54, v87, v32 op_sel_hi:[1,1,0]
	s_delay_alu instid0(VALU_DEP_1) | instskip(NEXT) | instid1(VALU_DEP_1)
	v_fma_mix_f32 v32, v55, v87, v32 op_sel:[0,1,0] op_sel_hi:[1,1,0]
	;; [unrolled: 3-line block ×4, first 2 shown]
	v_fma_mixlo_f16 v32, v32, v14, 0 op_sel_hi:[0,1,0]
	s_delay_alu instid0(VALU_DEP_1) | instskip(SKIP_1) | instid1(VALU_DEP_1)
	v_add_f16_e32 v46, v49, v32
	v_fma_mix_f32 v32, v61, v86, 0 op_sel_hi:[1,1,0]
	v_fma_mix_f32 v32, v62, v86, v32 op_sel:[0,1,0] op_sel_hi:[1,1,0]
	s_delay_alu instid0(VALU_DEP_1) | instskip(NEXT) | instid1(VALU_DEP_1)
	v_fma_mix_f32 v32, v63, v87, v32 op_sel_hi:[1,1,0]
	v_fma_mix_f32 v32, v64, v87, v32 op_sel:[0,1,0] op_sel_hi:[1,1,0]
	s_delay_alu instid0(VALU_DEP_1) | instskip(NEXT) | instid1(VALU_DEP_1)
	;; [unrolled: 3-line block ×4, first 2 shown]
	v_fma_mixlo_f16 v32, v32, v21, 0 op_sel_hi:[0,1,0]
	v_add_f16_e32 v47, v50, v32
	v_fma_mix_f32 v32, v69, v86, 0 op_sel_hi:[1,1,0]
	s_delay_alu instid0(VALU_DEP_1) | instskip(NEXT) | instid1(VALU_DEP_1)
	v_fma_mix_f32 v32, v70, v86, v32 op_sel:[0,1,0] op_sel_hi:[1,1,0]
	v_fma_mix_f32 v32, v71, v87, v32 op_sel_hi:[1,1,0]
	s_delay_alu instid0(VALU_DEP_1) | instskip(NEXT) | instid1(VALU_DEP_1)
	v_fma_mix_f32 v32, v72, v87, v32 op_sel:[0,1,0] op_sel_hi:[1,1,0]
	;; [unrolled: 3-line block ×4, first 2 shown]
	v_fma_mixlo_f16 v32, v32, v15, 0 op_sel_hi:[0,1,0]
	s_delay_alu instid0(VALU_DEP_1) | instskip(SKIP_1) | instid1(VALU_DEP_1)
	v_add_f16_e32 v48, v48, v32
	v_fma_mix_f32 v32, v77, v86, 0 op_sel_hi:[1,1,0]
	v_fma_mix_f32 v32, v78, v86, v32 op_sel:[0,1,0] op_sel_hi:[1,1,0]
	global_load_b128 v[75:78], v[18:19], off
	v_add_co_u32 v18, vcc_lo, v18, s2
	v_add_co_ci_u32_e32 v19, vcc_lo, s3, v19, vcc_lo
	v_fma_mix_f32 v32, v79, v87, v32 op_sel_hi:[1,1,0]
	s_delay_alu instid0(VALU_DEP_1) | instskip(NEXT) | instid1(VALU_DEP_1)
	v_fma_mix_f32 v32, v80, v87, v32 op_sel:[0,1,0] op_sel_hi:[1,1,0]
	v_fma_mix_f32 v32, v81, v88, v32 op_sel_hi:[1,1,0]
	s_delay_alu instid0(VALU_DEP_1) | instskip(SKIP_2) | instid1(VALU_DEP_1)
	v_fma_mix_f32 v32, v82, v88, v32 op_sel:[0,1,0] op_sel_hi:[1,1,0]
	global_load_b128 v[79:82], v[18:19], off
	v_fma_mix_f32 v32, v90, v89, v32 op_sel_hi:[1,1,0]
	v_fma_mix_f32 v32, v91, v89, v32 op_sel:[0,1,0] op_sel_hi:[1,1,0]
	ds_load_b128 v[86:89], v27 offset:272
	v_fma_mixlo_f16 v32, v32, v24, 0 op_sel_hi:[0,1,0]
	s_delay_alu instid0(VALU_DEP_1) | instskip(SKIP_2) | instid1(VALU_DEP_1)
	v_add_f16_e32 v49, v51, v32
	s_waitcnt vmcnt(1)
	v_and_b32_e32 v32, 0xff, v75
	v_sub_nc_u32_e32 v32, v32, v31
	s_delay_alu instid0(VALU_DEP_1) | instskip(NEXT) | instid1(VALU_DEP_1)
	v_cvt_f32_i32_e32 v32, v32
	v_cvt_f16_f32_e32 v50, v32
	v_bfe_u32 v32, v75, 8, 8
	s_delay_alu instid0(VALU_DEP_1) | instskip(NEXT) | instid1(VALU_DEP_1)
	v_sub_nc_u32_e32 v32, v32, v31
	v_cvt_f32_i32_e32 v32, v32
	s_delay_alu instid0(VALU_DEP_1) | instskip(SKIP_1) | instid1(VALU_DEP_1)
	v_cvt_f16_f32_e32 v51, v32
	v_bfe_u32 v32, v75, 16, 8
	v_sub_nc_u32_e32 v32, v32, v31
	s_delay_alu instid0(VALU_DEP_1) | instskip(NEXT) | instid1(VALU_DEP_1)
	v_cvt_f32_i32_e32 v32, v32
	v_cvt_f16_f32_e32 v52, v32
	v_lshrrev_b32_e32 v32, 24, v75
	s_delay_alu instid0(VALU_DEP_1) | instskip(NEXT) | instid1(VALU_DEP_1)
	v_sub_nc_u32_e32 v32, v32, v31
	v_cvt_f32_i32_e32 v32, v32
	s_delay_alu instid0(VALU_DEP_1) | instskip(SKIP_2) | instid1(VALU_DEP_1)
	v_cvt_f16_f32_e32 v53, v32
	s_waitcnt vmcnt(0)
	v_and_b32_e32 v32, 0xff, v79
	v_sub_nc_u32_e32 v32, v32, v31
	s_delay_alu instid0(VALU_DEP_1) | instskip(NEXT) | instid1(VALU_DEP_1)
	v_cvt_f32_i32_e32 v32, v32
	v_cvt_f16_f32_e32 v54, v32
	v_bfe_u32 v32, v79, 8, 8
	s_delay_alu instid0(VALU_DEP_1) | instskip(NEXT) | instid1(VALU_DEP_1)
	v_sub_nc_u32_e32 v32, v32, v31
	v_cvt_f32_i32_e32 v32, v32
	s_delay_alu instid0(VALU_DEP_1) | instskip(SKIP_1) | instid1(VALU_DEP_1)
	v_cvt_f16_f32_e32 v55, v32
	v_bfe_u32 v32, v79, 16, 8
	v_sub_nc_u32_e32 v32, v32, v31
	s_delay_alu instid0(VALU_DEP_1) | instskip(NEXT) | instid1(VALU_DEP_1)
	v_cvt_f32_i32_e32 v32, v32
	v_cvt_f16_f32_e32 v56, v32
	v_lshrrev_b32_e32 v32, 24, v79
	s_delay_alu instid0(VALU_DEP_1) | instskip(NEXT) | instid1(VALU_DEP_1)
	v_sub_nc_u32_e32 v32, v32, v31
	v_cvt_f32_i32_e32 v32, v32
	s_delay_alu instid0(VALU_DEP_1) | instskip(SKIP_1) | instid1(VALU_DEP_1)
	v_cvt_f16_f32_e32 v57, v32
	v_and_b32_e32 v32, 0xff, v76
	v_sub_nc_u32_e32 v32, v32, v30
	s_delay_alu instid0(VALU_DEP_1) | instskip(NEXT) | instid1(VALU_DEP_1)
	v_cvt_f32_i32_e32 v32, v32
	v_cvt_f16_f32_e32 v58, v32
	v_bfe_u32 v32, v76, 8, 8
	s_delay_alu instid0(VALU_DEP_1) | instskip(NEXT) | instid1(VALU_DEP_1)
	v_sub_nc_u32_e32 v32, v32, v30
	v_cvt_f32_i32_e32 v32, v32
	s_delay_alu instid0(VALU_DEP_1) | instskip(SKIP_1) | instid1(VALU_DEP_1)
	v_cvt_f16_f32_e32 v59, v32
	v_bfe_u32 v32, v76, 16, 8
	v_sub_nc_u32_e32 v32, v32, v30
	s_delay_alu instid0(VALU_DEP_1) | instskip(NEXT) | instid1(VALU_DEP_1)
	v_cvt_f32_i32_e32 v32, v32
	v_cvt_f16_f32_e32 v61, v32
	v_lshrrev_b32_e32 v32, 24, v76
	s_delay_alu instid0(VALU_DEP_1) | instskip(NEXT) | instid1(VALU_DEP_1)
	v_sub_nc_u32_e32 v32, v32, v30
	v_cvt_f32_i32_e32 v32, v32
	s_delay_alu instid0(VALU_DEP_1) | instskip(SKIP_1) | instid1(VALU_DEP_1)
	v_cvt_f16_f32_e32 v62, v32
	;; [unrolled: 22-line block ×5, first 2 shown]
	v_and_b32_e32 v32, 0xff, v78
	v_sub_nc_u32_e32 v32, v32, v28
	s_delay_alu instid0(VALU_DEP_1) | instskip(NEXT) | instid1(VALU_DEP_1)
	v_cvt_f32_i32_e32 v32, v32
	v_cvt_f16_f32_e32 v75, v32
	v_bfe_u32 v32, v78, 8, 8
	s_delay_alu instid0(VALU_DEP_2) | instskip(NEXT) | instid1(VALU_DEP_2)
	v_fma_mix_f32 v36, v75, v8, 0 op_sel_hi:[1,1,0]
	v_sub_nc_u32_e32 v32, v32, v28
	s_delay_alu instid0(VALU_DEP_1) | instskip(NEXT) | instid1(VALU_DEP_1)
	v_cvt_f32_i32_e32 v32, v32
	v_cvt_f16_f32_e32 v76, v32
	v_bfe_u32 v32, v78, 16, 8
	s_delay_alu instid0(VALU_DEP_1) | instskip(NEXT) | instid1(VALU_DEP_1)
	v_sub_nc_u32_e32 v32, v32, v28
	v_cvt_f32_i32_e32 v32, v32
	s_delay_alu instid0(VALU_DEP_1) | instskip(SKIP_1) | instid1(VALU_DEP_1)
	v_cvt_f16_f32_e32 v77, v32
	v_lshrrev_b32_e32 v32, 24, v78
	v_sub_nc_u32_e32 v32, v32, v28
	s_delay_alu instid0(VALU_DEP_1) | instskip(NEXT) | instid1(VALU_DEP_1)
	v_cvt_f32_i32_e32 v32, v32
	v_cvt_f16_f32_e32 v78, v32
	v_and_b32_e32 v32, 0xff, v82
	s_delay_alu instid0(VALU_DEP_1) | instskip(NEXT) | instid1(VALU_DEP_1)
	v_sub_nc_u32_e32 v32, v32, v28
	v_cvt_f32_i32_e32 v32, v32
	s_delay_alu instid0(VALU_DEP_1) | instskip(SKIP_1) | instid1(VALU_DEP_1)
	v_cvt_f16_f32_e32 v79, v32
	v_bfe_u32 v32, v82, 8, 8
	v_sub_nc_u32_e32 v32, v32, v28
	s_delay_alu instid0(VALU_DEP_1) | instskip(NEXT) | instid1(VALU_DEP_1)
	v_cvt_f32_i32_e32 v32, v32
	v_cvt_f16_f32_e32 v80, v32
	v_bfe_u32 v32, v82, 16, 8
	s_delay_alu instid0(VALU_DEP_1) | instskip(NEXT) | instid1(VALU_DEP_1)
	v_sub_nc_u32_e32 v32, v32, v28
	v_cvt_f32_i32_e32 v32, v32
	s_delay_alu instid0(VALU_DEP_1) | instskip(SKIP_1) | instid1(VALU_DEP_1)
	v_cvt_f16_f32_e32 v81, v32
	v_lshrrev_b32_e32 v32, 24, v82
	v_sub_nc_u32_e32 v32, v32, v28
	s_delay_alu instid0(VALU_DEP_1) | instskip(NEXT) | instid1(VALU_DEP_1)
	v_cvt_f32_i32_e32 v32, v32
	v_cvt_f16_f32_e32 v82, v32
	v_fma_mix_f32 v32, v50, v8, 0 op_sel_hi:[1,1,0]
	s_delay_alu instid0(VALU_DEP_1) | instskip(NEXT) | instid1(VALU_DEP_1)
	v_fma_mix_f32 v32, v51, v8, v32 op_sel:[0,1,0] op_sel_hi:[1,1,0]
	v_fma_mix_f32 v32, v52, v9, v32 op_sel_hi:[1,1,0]
	s_delay_alu instid0(VALU_DEP_1) | instskip(NEXT) | instid1(VALU_DEP_1)
	v_fma_mix_f32 v32, v53, v9, v32 op_sel:[0,1,0] op_sel_hi:[1,1,0]
	;; [unrolled: 3-line block ×4, first 2 shown]
	v_fma_mixlo_f16 v32, v32, v14, 0 op_sel_hi:[0,1,0]
	s_delay_alu instid0(VALU_DEP_1) | instskip(SKIP_1) | instid1(VALU_DEP_1)
	v_add_f16_e32 v34, v34, v32
	v_fma_mix_f32 v32, v58, v8, 0 op_sel_hi:[1,1,0]
	v_fma_mix_f32 v32, v59, v8, v32 op_sel:[0,1,0] op_sel_hi:[1,1,0]
	s_delay_alu instid0(VALU_DEP_1) | instskip(NEXT) | instid1(VALU_DEP_1)
	v_fma_mix_f32 v32, v61, v9, v32 op_sel_hi:[1,1,0]
	v_fma_mix_f32 v32, v62, v9, v32 op_sel:[0,1,0] op_sel_hi:[1,1,0]
	s_delay_alu instid0(VALU_DEP_1) | instskip(NEXT) | instid1(VALU_DEP_1)
	;; [unrolled: 3-line block ×4, first 2 shown]
	v_fma_mixlo_f16 v32, v32, v21, 0 op_sel_hi:[0,1,0]
	v_add_f16_e32 v33, v92, v32
	v_fma_mix_f32 v32, v67, v8, 0 op_sel_hi:[1,1,0]
	s_delay_alu instid0(VALU_DEP_1) | instskip(SKIP_1) | instid1(VALU_DEP_2)
	v_fma_mix_f32 v32, v68, v8, v32 op_sel:[0,1,0] op_sel_hi:[1,1,0]
	v_fma_mix_f32 v8, v76, v8, v36 op_sel:[0,1,0] op_sel_hi:[1,1,0]
	v_fma_mix_f32 v32, v69, v9, v32 op_sel_hi:[1,1,0]
	s_delay_alu instid0(VALU_DEP_2) | instskip(NEXT) | instid1(VALU_DEP_2)
	v_fma_mix_f32 v8, v77, v9, v8 op_sel_hi:[1,1,0]
	v_fma_mix_f32 v32, v70, v9, v32 op_sel:[0,1,0] op_sel_hi:[1,1,0]
	s_delay_alu instid0(VALU_DEP_2) | instskip(NEXT) | instid1(VALU_DEP_2)
	v_fma_mix_f32 v8, v78, v9, v8 op_sel:[0,1,0] op_sel_hi:[1,1,0]
	v_fma_mix_f32 v32, v71, v10, v32 op_sel_hi:[1,1,0]
	s_delay_alu instid0(VALU_DEP_2) | instskip(NEXT) | instid1(VALU_DEP_2)
	v_fma_mix_f32 v8, v79, v10, v8 op_sel_hi:[1,1,0]
	v_fma_mix_f32 v32, v72, v10, v32 op_sel:[0,1,0] op_sel_hi:[1,1,0]
	s_delay_alu instid0(VALU_DEP_2) | instskip(NEXT) | instid1(VALU_DEP_2)
	;; [unrolled: 6-line block ×3, first 2 shown]
	v_fma_mix_f32 v8, v82, v11, v8 op_sel:[0,1,0] op_sel_hi:[1,1,0]
	v_fma_mixlo_f16 v32, v32, v15, 0 op_sel_hi:[0,1,0]
	s_delay_alu instid0(VALU_DEP_2) | instskip(NEXT) | instid1(VALU_DEP_2)
	v_fma_mixlo_f16 v8, v8, v24, 0 op_sel_hi:[0,1,0]
	v_add_f16_e32 v32, v93, v32
	s_delay_alu instid0(VALU_DEP_2) | instskip(SKIP_2) | instid1(VALU_DEP_1)
	v_add_f16_e32 v10, v94, v8
	s_waitcnt lgkmcnt(0)
	v_fma_mix_f32 v8, v50, v86, 0 op_sel_hi:[1,1,0]
	v_fma_mix_f32 v8, v51, v86, v8 op_sel:[0,1,0] op_sel_hi:[1,1,0]
	s_delay_alu instid0(VALU_DEP_1) | instskip(NEXT) | instid1(VALU_DEP_1)
	v_fma_mix_f32 v8, v52, v87, v8 op_sel_hi:[1,1,0]
	v_fma_mix_f32 v8, v53, v87, v8 op_sel:[0,1,0] op_sel_hi:[1,1,0]
	s_delay_alu instid0(VALU_DEP_1) | instskip(NEXT) | instid1(VALU_DEP_1)
	;; [unrolled: 3-line block ×4, first 2 shown]
	v_fma_mixlo_f16 v8, v8, v14, 0 op_sel_hi:[0,1,0]
	v_add_f16_e32 v11, v35, v8
	v_fma_mix_f32 v8, v58, v86, 0 op_sel_hi:[1,1,0]
	s_delay_alu instid0(VALU_DEP_1) | instskip(NEXT) | instid1(VALU_DEP_1)
	v_fma_mix_f32 v8, v59, v86, v8 op_sel:[0,1,0] op_sel_hi:[1,1,0]
	v_fma_mix_f32 v8, v61, v87, v8 op_sel_hi:[1,1,0]
	s_delay_alu instid0(VALU_DEP_1) | instskip(NEXT) | instid1(VALU_DEP_1)
	v_fma_mix_f32 v8, v62, v87, v8 op_sel:[0,1,0] op_sel_hi:[1,1,0]
	;; [unrolled: 3-line block ×4, first 2 shown]
	v_fma_mixlo_f16 v8, v8, v21, 0 op_sel_hi:[0,1,0]
	s_delay_alu instid0(VALU_DEP_1) | instskip(SKIP_1) | instid1(VALU_DEP_1)
	v_add_f16_e32 v35, v84, v8
	v_fma_mix_f32 v8, v67, v86, 0 op_sel_hi:[1,1,0]
	v_fma_mix_f32 v8, v68, v86, v8 op_sel:[0,1,0] op_sel_hi:[1,1,0]
	s_delay_alu instid0(VALU_DEP_1) | instskip(NEXT) | instid1(VALU_DEP_1)
	v_fma_mix_f32 v8, v69, v87, v8 op_sel_hi:[1,1,0]
	v_fma_mix_f32 v8, v70, v87, v8 op_sel:[0,1,0] op_sel_hi:[1,1,0]
	s_delay_alu instid0(VALU_DEP_1) | instskip(NEXT) | instid1(VALU_DEP_1)
	;; [unrolled: 3-line block ×4, first 2 shown]
	v_fma_mixlo_f16 v8, v8, v15, 0 op_sel_hi:[0,1,0]
	v_add_f16_e32 v36, v37, v8
	v_fma_mix_f32 v8, v75, v86, 0 op_sel_hi:[1,1,0]
	s_delay_alu instid0(VALU_DEP_1) | instskip(NEXT) | instid1(VALU_DEP_1)
	v_fma_mix_f32 v8, v76, v86, v8 op_sel:[0,1,0] op_sel_hi:[1,1,0]
	v_fma_mix_f32 v8, v77, v87, v8 op_sel_hi:[1,1,0]
	s_delay_alu instid0(VALU_DEP_1) | instskip(NEXT) | instid1(VALU_DEP_1)
	v_fma_mix_f32 v8, v78, v87, v8 op_sel:[0,1,0] op_sel_hi:[1,1,0]
	;; [unrolled: 3-line block ×4, first 2 shown]
	v_fma_mixlo_f16 v8, v8, v24, 0 op_sel_hi:[0,1,0]
	s_delay_alu instid0(VALU_DEP_1) | instskip(SKIP_3) | instid1(VALU_DEP_1)
	v_add_f16_e32 v37, v85, v8
	ds_load_b128 v[84:87], v27 offset:528
	s_waitcnt lgkmcnt(0)
	v_fma_mix_f32 v8, v50, v84, 0 op_sel_hi:[1,1,0]
	v_fma_mix_f32 v8, v51, v84, v8 op_sel:[0,1,0] op_sel_hi:[1,1,0]
	s_delay_alu instid0(VALU_DEP_1) | instskip(NEXT) | instid1(VALU_DEP_1)
	v_fma_mix_f32 v8, v52, v85, v8 op_sel_hi:[1,1,0]
	v_fma_mix_f32 v8, v53, v85, v8 op_sel:[0,1,0] op_sel_hi:[1,1,0]
	s_delay_alu instid0(VALU_DEP_1) | instskip(NEXT) | instid1(VALU_DEP_1)
	;; [unrolled: 3-line block ×4, first 2 shown]
	v_fma_mixlo_f16 v8, v8, v14, 0 op_sel_hi:[0,1,0]
	v_add_f16_e32 v38, v38, v8
	v_fma_mix_f32 v8, v58, v84, 0 op_sel_hi:[1,1,0]
	s_delay_alu instid0(VALU_DEP_1) | instskip(NEXT) | instid1(VALU_DEP_1)
	v_fma_mix_f32 v8, v59, v84, v8 op_sel:[0,1,0] op_sel_hi:[1,1,0]
	v_fma_mix_f32 v8, v61, v85, v8 op_sel_hi:[1,1,0]
	s_delay_alu instid0(VALU_DEP_1) | instskip(NEXT) | instid1(VALU_DEP_1)
	v_fma_mix_f32 v8, v62, v85, v8 op_sel:[0,1,0] op_sel_hi:[1,1,0]
	;; [unrolled: 3-line block ×4, first 2 shown]
	v_fma_mixlo_f16 v8, v8, v21, 0 op_sel_hi:[0,1,0]
	s_delay_alu instid0(VALU_DEP_1) | instskip(SKIP_1) | instid1(VALU_DEP_1)
	v_add_f16_e32 v39, v39, v8
	v_fma_mix_f32 v8, v67, v84, 0 op_sel_hi:[1,1,0]
	v_fma_mix_f32 v8, v68, v84, v8 op_sel:[0,1,0] op_sel_hi:[1,1,0]
	s_delay_alu instid0(VALU_DEP_1) | instskip(NEXT) | instid1(VALU_DEP_1)
	v_fma_mix_f32 v8, v69, v85, v8 op_sel_hi:[1,1,0]
	v_fma_mix_f32 v8, v70, v85, v8 op_sel:[0,1,0] op_sel_hi:[1,1,0]
	s_delay_alu instid0(VALU_DEP_1) | instskip(NEXT) | instid1(VALU_DEP_1)
	;; [unrolled: 3-line block ×4, first 2 shown]
	v_fma_mixlo_f16 v8, v8, v15, 0 op_sel_hi:[0,1,0]
	v_add_f16_e32 v40, v41, v8
	v_fma_mix_f32 v8, v75, v84, 0 op_sel_hi:[1,1,0]
	s_delay_alu instid0(VALU_DEP_1) | instskip(NEXT) | instid1(VALU_DEP_1)
	v_fma_mix_f32 v8, v76, v84, v8 op_sel:[0,1,0] op_sel_hi:[1,1,0]
	v_fma_mix_f32 v8, v77, v85, v8 op_sel_hi:[1,1,0]
	s_delay_alu instid0(VALU_DEP_1) | instskip(NEXT) | instid1(VALU_DEP_1)
	v_fma_mix_f32 v8, v78, v85, v8 op_sel:[0,1,0] op_sel_hi:[1,1,0]
	v_fma_mix_f32 v8, v79, v86, v8 op_sel_hi:[1,1,0]
	s_delay_alu instid0(VALU_DEP_1) | instskip(NEXT) | instid1(VALU_DEP_1)
	v_fma_mix_f32 v8, v80, v86, v8 op_sel:[0,1,0] op_sel_hi:[1,1,0]
	v_fma_mix_f32 v8, v81, v87, v8 op_sel_hi:[1,1,0]
	s_delay_alu instid0(VALU_DEP_1) | instskip(NEXT) | instid1(VALU_DEP_1)
	v_fma_mix_f32 v8, v82, v87, v8 op_sel:[0,1,0] op_sel_hi:[1,1,0]
	v_fma_mixlo_f16 v8, v8, v24, 0 op_sel_hi:[0,1,0]
	s_delay_alu instid0(VALU_DEP_1) | instskip(SKIP_3) | instid1(VALU_DEP_1)
	v_add_f16_e32 v41, v83, v8
	ds_load_b128 v[83:86], v27 offset:784
	s_waitcnt lgkmcnt(0)
	v_fma_mix_f32 v8, v50, v83, 0 op_sel_hi:[1,1,0]
	v_fma_mix_f32 v8, v51, v83, v8 op_sel:[0,1,0] op_sel_hi:[1,1,0]
	s_delay_alu instid0(VALU_DEP_1) | instskip(NEXT) | instid1(VALU_DEP_1)
	v_fma_mix_f32 v8, v52, v84, v8 op_sel_hi:[1,1,0]
	v_fma_mix_f32 v8, v53, v84, v8 op_sel:[0,1,0] op_sel_hi:[1,1,0]
	s_delay_alu instid0(VALU_DEP_1) | instskip(NEXT) | instid1(VALU_DEP_1)
	;; [unrolled: 3-line block ×4, first 2 shown]
	v_fma_mixlo_f16 v8, v8, v14, 0 op_sel_hi:[0,1,0]
	v_add_f16_e32 v42, v42, v8
	v_fma_mix_f32 v8, v58, v83, 0 op_sel_hi:[1,1,0]
	s_delay_alu instid0(VALU_DEP_1) | instskip(NEXT) | instid1(VALU_DEP_1)
	v_fma_mix_f32 v8, v59, v83, v8 op_sel:[0,1,0] op_sel_hi:[1,1,0]
	v_fma_mix_f32 v8, v61, v84, v8 op_sel_hi:[1,1,0]
	s_delay_alu instid0(VALU_DEP_1) | instskip(NEXT) | instid1(VALU_DEP_1)
	v_fma_mix_f32 v8, v62, v84, v8 op_sel:[0,1,0] op_sel_hi:[1,1,0]
	v_fma_mix_f32 v8, v63, v85, v8 op_sel_hi:[1,1,0]
	s_delay_alu instid0(VALU_DEP_1) | instskip(NEXT) | instid1(VALU_DEP_1)
	v_fma_mix_f32 v8, v64, v85, v8 op_sel:[0,1,0] op_sel_hi:[1,1,0]
	v_fma_mix_f32 v8, v65, v86, v8 op_sel_hi:[1,1,0]
	s_delay_alu instid0(VALU_DEP_1) | instskip(NEXT) | instid1(VALU_DEP_1)
	v_fma_mix_f32 v8, v66, v86, v8 op_sel:[0,1,0] op_sel_hi:[1,1,0]
	v_fma_mixlo_f16 v8, v8, v21, 0 op_sel_hi:[0,1,0]
	s_delay_alu instid0(VALU_DEP_1) | instskip(SKIP_1) | instid1(VALU_DEP_1)
	v_add_f16_e32 v43, v43, v8
	v_fma_mix_f32 v8, v67, v83, 0 op_sel_hi:[1,1,0]
	v_fma_mix_f32 v8, v68, v83, v8 op_sel:[0,1,0] op_sel_hi:[1,1,0]
	s_delay_alu instid0(VALU_DEP_1) | instskip(NEXT) | instid1(VALU_DEP_1)
	v_fma_mix_f32 v8, v69, v84, v8 op_sel_hi:[1,1,0]
	v_fma_mix_f32 v8, v70, v84, v8 op_sel:[0,1,0] op_sel_hi:[1,1,0]
	s_delay_alu instid0(VALU_DEP_1) | instskip(NEXT) | instid1(VALU_DEP_1)
	v_fma_mix_f32 v8, v71, v85, v8 op_sel_hi:[1,1,0]
	v_fma_mix_f32 v8, v72, v85, v8 op_sel:[0,1,0] op_sel_hi:[1,1,0]
	s_delay_alu instid0(VALU_DEP_1) | instskip(NEXT) | instid1(VALU_DEP_1)
	v_fma_mix_f32 v8, v73, v86, v8 op_sel_hi:[1,1,0]
	v_fma_mix_f32 v8, v74, v86, v8 op_sel:[0,1,0] op_sel_hi:[1,1,0]
	s_delay_alu instid0(VALU_DEP_1) | instskip(NEXT) | instid1(VALU_DEP_1)
	v_fma_mixlo_f16 v8, v8, v15, 0 op_sel_hi:[0,1,0]
	v_add_f16_e32 v44, v45, v8
	v_fma_mix_f32 v8, v75, v83, 0 op_sel_hi:[1,1,0]
	s_delay_alu instid0(VALU_DEP_1) | instskip(NEXT) | instid1(VALU_DEP_1)
	v_fma_mix_f32 v8, v76, v83, v8 op_sel:[0,1,0] op_sel_hi:[1,1,0]
	v_fma_mix_f32 v8, v77, v84, v8 op_sel_hi:[1,1,0]
	s_delay_alu instid0(VALU_DEP_1) | instskip(NEXT) | instid1(VALU_DEP_1)
	v_fma_mix_f32 v8, v78, v84, v8 op_sel:[0,1,0] op_sel_hi:[1,1,0]
	;; [unrolled: 3-line block ×3, first 2 shown]
	v_fma_mix_f32 v8, v81, v86, v8 op_sel_hi:[1,1,0]
	s_delay_alu instid0(VALU_DEP_1) | instskip(SKIP_2) | instid1(VALU_DEP_1)
	v_fma_mix_f32 v8, v82, v86, v8 op_sel:[0,1,0] op_sel_hi:[1,1,0]
	ds_load_b128 v[83:86], v27 offset:1040
	v_fma_mixlo_f16 v8, v8, v24, 0 op_sel_hi:[0,1,0]
	v_add_f16_e32 v45, v60, v8
	s_waitcnt lgkmcnt(0)
	v_fma_mix_f32 v8, v50, v83, 0 op_sel_hi:[1,1,0]
	s_delay_alu instid0(VALU_DEP_1) | instskip(NEXT) | instid1(VALU_DEP_1)
	v_fma_mix_f32 v8, v51, v83, v8 op_sel:[0,1,0] op_sel_hi:[1,1,0]
	v_fma_mix_f32 v8, v52, v84, v8 op_sel_hi:[1,1,0]
	s_delay_alu instid0(VALU_DEP_1) | instskip(NEXT) | instid1(VALU_DEP_1)
	v_fma_mix_f32 v8, v53, v84, v8 op_sel:[0,1,0] op_sel_hi:[1,1,0]
	;; [unrolled: 3-line block ×4, first 2 shown]
	v_fma_mixlo_f16 v8, v8, v14, 0 op_sel_hi:[0,1,0]
	s_delay_alu instid0(VALU_DEP_1) | instskip(SKIP_1) | instid1(VALU_DEP_1)
	v_add_f16_e32 v46, v46, v8
	v_fma_mix_f32 v8, v58, v83, 0 op_sel_hi:[1,1,0]
	v_fma_mix_f32 v8, v59, v83, v8 op_sel:[0,1,0] op_sel_hi:[1,1,0]
	s_delay_alu instid0(VALU_DEP_1) | instskip(NEXT) | instid1(VALU_DEP_1)
	v_fma_mix_f32 v8, v61, v84, v8 op_sel_hi:[1,1,0]
	v_fma_mix_f32 v8, v62, v84, v8 op_sel:[0,1,0] op_sel_hi:[1,1,0]
	s_delay_alu instid0(VALU_DEP_1) | instskip(NEXT) | instid1(VALU_DEP_1)
	;; [unrolled: 3-line block ×4, first 2 shown]
	v_fma_mixlo_f16 v8, v8, v21, 0 op_sel_hi:[0,1,0]
	v_add_f16_e32 v47, v47, v8
	v_fma_mix_f32 v8, v67, v83, 0 op_sel_hi:[1,1,0]
	s_delay_alu instid0(VALU_DEP_1) | instskip(NEXT) | instid1(VALU_DEP_1)
	v_fma_mix_f32 v8, v68, v83, v8 op_sel:[0,1,0] op_sel_hi:[1,1,0]
	v_fma_mix_f32 v8, v69, v84, v8 op_sel_hi:[1,1,0]
	s_delay_alu instid0(VALU_DEP_1) | instskip(NEXT) | instid1(VALU_DEP_1)
	v_fma_mix_f32 v8, v70, v84, v8 op_sel:[0,1,0] op_sel_hi:[1,1,0]
	;; [unrolled: 3-line block ×4, first 2 shown]
	v_fma_mixlo_f16 v8, v8, v15, 0 op_sel_hi:[0,1,0]
	s_delay_alu instid0(VALU_DEP_1) | instskip(SKIP_1) | instid1(VALU_DEP_1)
	v_add_f16_e32 v48, v48, v8
	v_fma_mix_f32 v8, v75, v83, 0 op_sel_hi:[1,1,0]
	v_fma_mix_f32 v8, v76, v83, v8 op_sel:[0,1,0] op_sel_hi:[1,1,0]
	s_delay_alu instid0(VALU_DEP_1) | instskip(NEXT) | instid1(VALU_DEP_1)
	v_fma_mix_f32 v8, v77, v84, v8 op_sel_hi:[1,1,0]
	v_fma_mix_f32 v8, v78, v84, v8 op_sel:[0,1,0] op_sel_hi:[1,1,0]
	s_delay_alu instid0(VALU_DEP_1) | instskip(NEXT) | instid1(VALU_DEP_1)
	;; [unrolled: 3-line block ×4, first 2 shown]
	v_fma_mixlo_f16 v8, v8, v24, 0 op_sel_hi:[0,1,0]
	v_add_f16_e32 v49, v49, v8
	v_add_co_u32 v8, vcc_lo, v18, s2
	v_add_co_ci_u32_e32 v9, vcc_lo, s3, v19, vcc_lo
	global_load_b128 v[61:64], v[8:9], off
	v_add_co_u32 v8, vcc_lo, v8, s2
	v_add_co_ci_u32_e32 v9, vcc_lo, s3, v9, vcc_lo
	global_load_b128 v[65:68], v[8:9], off
	v_add_co_u32 v8, vcc_lo, v8, s2
	v_add_co_ci_u32_e32 v9, vcc_lo, s3, v9, vcc_lo
	s_waitcnt vmcnt(1)
	v_and_b32_e32 v18, 0xff, v61
	v_bfe_u32 v19, v61, 8, 8
	v_bfe_u32 v50, v61, 16, 8
	v_lshrrev_b32_e32 v51, 24, v61
	v_and_b32_e32 v56, 0xff, v62
	v_sub_nc_u32_e32 v18, v18, v31
	v_sub_nc_u32_e32 v19, v19, v31
	;; [unrolled: 1-line block ×3, first 2 shown]
	s_waitcnt vmcnt(0)
	v_and_b32_e32 v52, 0xff, v65
	v_bfe_u32 v53, v65, 8, 8
	v_bfe_u32 v54, v65, 16, 8
	v_lshrrev_b32_e32 v55, 24, v65
	v_lshrrev_b32_e32 v65, 24, v66
	v_cvt_f32_i32_e32 v18, v18
	v_cvt_f32_i32_e32 v19, v19
	;; [unrolled: 1-line block ×3, first 2 shown]
	v_sub_nc_u32_e32 v51, v51, v31
	v_sub_nc_u32_e32 v65, v65, v30
	v_cvt_f16_f32_e32 v18, v18
	v_cvt_f16_f32_e32 v19, v19
	v_cvt_f16_f32_e32 v50, v50
	v_cvt_f32_i32_e32 v51, v51
	v_cvt_f32_i32_e32 v65, v65
	v_sub_nc_u32_e32 v52, v52, v31
	v_sub_nc_u32_e32 v53, v53, v31
	;; [unrolled: 1-line block ×3, first 2 shown]
	v_cvt_f16_f32_e32 v51, v51
	v_cvt_f16_f32_e32 v69, v65
	v_and_b32_e32 v65, 0xff, v63
	v_cvt_f32_i32_e32 v52, v52
	v_cvt_f32_i32_e32 v53, v53
	;; [unrolled: 1-line block ×3, first 2 shown]
	v_sub_nc_u32_e32 v55, v55, v31
	v_sub_nc_u32_e32 v65, v65, v29
	v_cvt_f16_f32_e32 v52, v52
	v_cvt_f16_f32_e32 v53, v53
	v_cvt_f16_f32_e32 v54, v54
	v_cvt_f32_i32_e32 v55, v55
	v_cvt_f32_i32_e32 v65, v65
	v_sub_nc_u32_e32 v56, v56, v30
	v_bfe_u32 v57, v62, 8, 8
	v_bfe_u32 v58, v62, 16, 8
	v_cvt_f16_f32_e32 v55, v55
	v_cvt_f16_f32_e32 v79, v65
	v_bfe_u32 v65, v63, 8, 8
	v_cvt_f32_i32_e32 v56, v56
	v_sub_nc_u32_e32 v57, v57, v30
	v_sub_nc_u32_e32 v58, v58, v30
	v_lshrrev_b32_e32 v59, 24, v62
	v_sub_nc_u32_e32 v65, v65, v29
	v_cvt_f16_f32_e32 v56, v56
	v_cvt_f32_i32_e32 v57, v57
	v_cvt_f32_i32_e32 v58, v58
	v_sub_nc_u32_e32 v59, v59, v30
	v_cvt_f32_i32_e32 v65, v65
	v_and_b32_e32 v60, 0xff, v66
	v_cvt_f16_f32_e32 v57, v57
	v_cvt_f16_f32_e32 v58, v58
	v_cvt_f32_i32_e32 v59, v59
	v_cvt_f16_f32_e32 v80, v65
	v_bfe_u32 v65, v63, 16, 8
	v_lshrrev_b32_e32 v63, 24, v63
	v_sub_nc_u32_e32 v60, v60, v30
	v_bfe_u32 v61, v66, 8, 8
	v_cvt_f16_f32_e32 v59, v59
	v_bfe_u32 v62, v66, 16, 8
	v_sub_nc_u32_e32 v63, v63, v29
	v_cvt_f32_i32_e32 v60, v60
	v_sub_nc_u32_e32 v61, v61, v30
	v_sub_nc_u32_e32 v65, v65, v29
	;; [unrolled: 1-line block ×3, first 2 shown]
	v_cvt_f32_i32_e32 v63, v63
	v_cvt_f16_f32_e32 v60, v60
	v_cvt_f32_i32_e32 v61, v61
	v_cvt_f32_i32_e32 v65, v65
	;; [unrolled: 1-line block ×3, first 2 shown]
	v_cvt_f16_f32_e32 v82, v63
	v_and_b32_e32 v63, 0xff, v67
	v_cvt_f16_f32_e32 v61, v61
	v_cvt_f16_f32_e32 v81, v65
	;; [unrolled: 1-line block ×3, first 2 shown]
	s_delay_alu instid0(VALU_DEP_4) | instskip(NEXT) | instid1(VALU_DEP_1)
	v_sub_nc_u32_e32 v63, v63, v29
	v_cvt_f32_i32_e32 v63, v63
	s_delay_alu instid0(VALU_DEP_1) | instskip(SKIP_1) | instid1(VALU_DEP_1)
	v_cvt_f16_f32_e32 v83, v63
	v_bfe_u32 v63, v67, 8, 8
	v_sub_nc_u32_e32 v63, v63, v29
	s_delay_alu instid0(VALU_DEP_1) | instskip(NEXT) | instid1(VALU_DEP_1)
	v_cvt_f32_i32_e32 v63, v63
	v_cvt_f16_f32_e32 v84, v63
	v_bfe_u32 v63, v67, 16, 8
	s_delay_alu instid0(VALU_DEP_1) | instskip(NEXT) | instid1(VALU_DEP_1)
	v_sub_nc_u32_e32 v63, v63, v29
	v_cvt_f32_i32_e32 v63, v63
	s_delay_alu instid0(VALU_DEP_1) | instskip(SKIP_1) | instid1(VALU_DEP_1)
	v_cvt_f16_f32_e32 v85, v63
	v_lshrrev_b32_e32 v63, 24, v67
	v_sub_nc_u32_e32 v63, v63, v29
	s_delay_alu instid0(VALU_DEP_1) | instskip(NEXT) | instid1(VALU_DEP_1)
	v_cvt_f32_i32_e32 v63, v63
	v_cvt_f16_f32_e32 v67, v63
	v_and_b32_e32 v63, 0xff, v64
	s_delay_alu instid0(VALU_DEP_1) | instskip(NEXT) | instid1(VALU_DEP_1)
	v_sub_nc_u32_e32 v63, v63, v28
	v_cvt_f32_i32_e32 v63, v63
	s_delay_alu instid0(VALU_DEP_1) | instskip(SKIP_1) | instid1(VALU_DEP_1)
	v_cvt_f16_f32_e32 v86, v63
	v_bfe_u32 v63, v64, 8, 8
	v_sub_nc_u32_e32 v63, v63, v28
	s_delay_alu instid0(VALU_DEP_1) | instskip(NEXT) | instid1(VALU_DEP_1)
	v_cvt_f32_i32_e32 v63, v63
	v_cvt_f16_f32_e32 v87, v63
	v_bfe_u32 v63, v64, 16, 8
	s_delay_alu instid0(VALU_DEP_1) | instskip(NEXT) | instid1(VALU_DEP_1)
	v_sub_nc_u32_e32 v63, v63, v28
	v_cvt_f32_i32_e32 v63, v63
	s_delay_alu instid0(VALU_DEP_1) | instskip(SKIP_1) | instid1(VALU_DEP_1)
	v_cvt_f16_f32_e32 v88, v63
	v_lshrrev_b32_e32 v63, 24, v64
	v_sub_nc_u32_e32 v63, v63, v28
	s_delay_alu instid0(VALU_DEP_1) | instskip(NEXT) | instid1(VALU_DEP_1)
	v_cvt_f32_i32_e32 v63, v63
	v_cvt_f16_f32_e32 v89, v63
	v_and_b32_e32 v63, 0xff, v68
	s_delay_alu instid0(VALU_DEP_1) | instskip(NEXT) | instid1(VALU_DEP_1)
	v_sub_nc_u32_e32 v63, v63, v28
	v_cvt_f32_i32_e32 v63, v63
	s_delay_alu instid0(VALU_DEP_1) | instskip(SKIP_1) | instid1(VALU_DEP_1)
	v_cvt_f16_f32_e32 v90, v63
	v_bfe_u32 v63, v68, 8, 8
	v_sub_nc_u32_e32 v63, v63, v28
	s_delay_alu instid0(VALU_DEP_1) | instskip(NEXT) | instid1(VALU_DEP_1)
	v_cvt_f32_i32_e32 v63, v63
	v_cvt_f16_f32_e32 v91, v63
	v_bfe_u32 v63, v68, 16, 8
	s_delay_alu instid0(VALU_DEP_1) | instskip(NEXT) | instid1(VALU_DEP_1)
	v_sub_nc_u32_e32 v63, v63, v28
	v_cvt_f32_i32_e32 v63, v63
	s_delay_alu instid0(VALU_DEP_1) | instskip(SKIP_1) | instid1(VALU_DEP_1)
	v_cvt_f16_f32_e32 v92, v63
	v_lshrrev_b32_e32 v63, 24, v68
	v_sub_nc_u32_e32 v63, v63, v28
	s_delay_alu instid0(VALU_DEP_1) | instskip(NEXT) | instid1(VALU_DEP_1)
	v_cvt_f32_i32_e32 v63, v63
	v_cvt_f16_f32_e32 v68, v63
	v_fma_mix_f32 v63, v18, v4, 0 op_sel_hi:[1,1,0]
	s_delay_alu instid0(VALU_DEP_1) | instskip(NEXT) | instid1(VALU_DEP_1)
	v_fma_mix_f32 v63, v19, v4, v63 op_sel:[0,1,0] op_sel_hi:[1,1,0]
	v_fma_mix_f32 v63, v50, v5, v63 op_sel_hi:[1,1,0]
	s_delay_alu instid0(VALU_DEP_1) | instskip(NEXT) | instid1(VALU_DEP_1)
	v_fma_mix_f32 v63, v51, v5, v63 op_sel:[0,1,0] op_sel_hi:[1,1,0]
	;; [unrolled: 3-line block ×4, first 2 shown]
	v_fma_mixlo_f16 v63, v63, v14, 0 op_sel_hi:[0,1,0]
	s_delay_alu instid0(VALU_DEP_1) | instskip(SKIP_1) | instid1(VALU_DEP_1)
	v_add_f16_e32 v34, v34, v63
	v_fma_mix_f32 v63, v56, v4, 0 op_sel_hi:[1,1,0]
	v_fma_mix_f32 v63, v57, v4, v63 op_sel:[0,1,0] op_sel_hi:[1,1,0]
	s_delay_alu instid0(VALU_DEP_1) | instskip(NEXT) | instid1(VALU_DEP_1)
	v_fma_mix_f32 v63, v58, v5, v63 op_sel_hi:[1,1,0]
	v_fma_mix_f32 v63, v59, v5, v63 op_sel:[0,1,0] op_sel_hi:[1,1,0]
	s_delay_alu instid0(VALU_DEP_1) | instskip(NEXT) | instid1(VALU_DEP_1)
	v_fma_mix_f32 v63, v60, v6, v63 op_sel_hi:[1,1,0]
	v_fma_mix_f32 v63, v61, v6, v63 op_sel:[0,1,0] op_sel_hi:[1,1,0]
	s_delay_alu instid0(VALU_DEP_1) | instskip(NEXT) | instid1(VALU_DEP_1)
	v_fma_mix_f32 v63, v62, v7, v63 op_sel_hi:[1,1,0]
	v_fma_mix_f32 v63, v69, v7, v63 op_sel:[0,1,0] op_sel_hi:[1,1,0]
	s_delay_alu instid0(VALU_DEP_1) | instskip(NEXT) | instid1(VALU_DEP_1)
	v_fma_mixlo_f16 v63, v63, v21, 0 op_sel_hi:[0,1,0]
	v_add_f16_e32 v33, v33, v63
	v_fma_mix_f32 v63, v79, v4, 0 op_sel_hi:[1,1,0]
	s_delay_alu instid0(VALU_DEP_1) | instskip(NEXT) | instid1(VALU_DEP_1)
	v_fma_mix_f32 v63, v80, v4, v63 op_sel:[0,1,0] op_sel_hi:[1,1,0]
	v_fma_mix_f32 v63, v81, v5, v63 op_sel_hi:[1,1,0]
	s_delay_alu instid0(VALU_DEP_1) | instskip(NEXT) | instid1(VALU_DEP_1)
	v_fma_mix_f32 v63, v82, v5, v63 op_sel:[0,1,0] op_sel_hi:[1,1,0]
	;; [unrolled: 3-line block ×4, first 2 shown]
	v_fma_mixlo_f16 v63, v63, v15, 0 op_sel_hi:[0,1,0]
	s_delay_alu instid0(VALU_DEP_1) | instskip(SKIP_1) | instid1(VALU_DEP_1)
	v_add_f16_e32 v32, v32, v63
	v_fma_mix_f32 v63, v86, v4, 0 op_sel_hi:[1,1,0]
	v_fma_mix_f32 v4, v87, v4, v63 op_sel:[0,1,0] op_sel_hi:[1,1,0]
	ds_load_b128 v[63:66], v27 offset:1056
	v_fma_mix_f32 v4, v88, v5, v4 op_sel_hi:[1,1,0]
	s_delay_alu instid0(VALU_DEP_1) | instskip(NEXT) | instid1(VALU_DEP_1)
	v_fma_mix_f32 v4, v89, v5, v4 op_sel:[0,1,0] op_sel_hi:[1,1,0]
	v_fma_mix_f32 v4, v90, v6, v4 op_sel_hi:[1,1,0]
	s_delay_alu instid0(VALU_DEP_1) | instskip(NEXT) | instid1(VALU_DEP_1)
	v_fma_mix_f32 v4, v91, v6, v4 op_sel:[0,1,0] op_sel_hi:[1,1,0]
	v_fma_mix_f32 v4, v92, v7, v4 op_sel_hi:[1,1,0]
	s_delay_alu instid0(VALU_DEP_1) | instskip(NEXT) | instid1(VALU_DEP_1)
	v_fma_mix_f32 v4, v68, v7, v4 op_sel:[0,1,0] op_sel_hi:[1,1,0]
	v_fma_mixlo_f16 v4, v4, v24, 0 op_sel_hi:[0,1,0]
	s_delay_alu instid0(VALU_DEP_1) | instskip(SKIP_3) | instid1(VALU_DEP_1)
	v_add_f16_e32 v93, v10, v4
	ds_load_b128 v[4:7], v27 offset:288
	s_waitcnt lgkmcnt(0)
	v_fma_mix_f32 v10, v18, v4, 0 op_sel_hi:[1,1,0]
	v_fma_mix_f32 v10, v19, v4, v10 op_sel:[0,1,0] op_sel_hi:[1,1,0]
	s_delay_alu instid0(VALU_DEP_1) | instskip(NEXT) | instid1(VALU_DEP_1)
	v_fma_mix_f32 v10, v50, v5, v10 op_sel_hi:[1,1,0]
	v_fma_mix_f32 v10, v51, v5, v10 op_sel:[0,1,0] op_sel_hi:[1,1,0]
	s_delay_alu instid0(VALU_DEP_1) | instskip(NEXT) | instid1(VALU_DEP_1)
	v_fma_mix_f32 v10, v52, v6, v10 op_sel_hi:[1,1,0]
	v_fma_mix_f32 v10, v53, v6, v10 op_sel:[0,1,0] op_sel_hi:[1,1,0]
	s_delay_alu instid0(VALU_DEP_1) | instskip(NEXT) | instid1(VALU_DEP_1)
	v_fma_mix_f32 v10, v54, v7, v10 op_sel_hi:[1,1,0]
	v_fma_mix_f32 v10, v55, v7, v10 op_sel:[0,1,0] op_sel_hi:[1,1,0]
	s_delay_alu instid0(VALU_DEP_1) | instskip(NEXT) | instid1(VALU_DEP_1)
	v_fma_mixlo_f16 v10, v10, v14, 0 op_sel_hi:[0,1,0]
	v_add_f16_e32 v76, v11, v10
	v_fma_mix_f32 v10, v56, v4, 0 op_sel_hi:[1,1,0]
	s_delay_alu instid0(VALU_DEP_1) | instskip(NEXT) | instid1(VALU_DEP_1)
	v_fma_mix_f32 v10, v57, v4, v10 op_sel:[0,1,0] op_sel_hi:[1,1,0]
	v_fma_mix_f32 v10, v58, v5, v10 op_sel_hi:[1,1,0]
	s_delay_alu instid0(VALU_DEP_1) | instskip(NEXT) | instid1(VALU_DEP_1)
	v_fma_mix_f32 v10, v59, v5, v10 op_sel:[0,1,0] op_sel_hi:[1,1,0]
	v_fma_mix_f32 v10, v60, v6, v10 op_sel_hi:[1,1,0]
	s_delay_alu instid0(VALU_DEP_1) | instskip(NEXT) | instid1(VALU_DEP_1)
	v_fma_mix_f32 v10, v61, v6, v10 op_sel:[0,1,0] op_sel_hi:[1,1,0]
	v_fma_mix_f32 v10, v62, v7, v10 op_sel_hi:[1,1,0]
	s_delay_alu instid0(VALU_DEP_1) | instskip(NEXT) | instid1(VALU_DEP_1)
	v_fma_mix_f32 v10, v69, v7, v10 op_sel:[0,1,0] op_sel_hi:[1,1,0]
	v_fma_mixlo_f16 v10, v10, v21, 0 op_sel_hi:[0,1,0]
	s_delay_alu instid0(VALU_DEP_1) | instskip(SKIP_1) | instid1(VALU_DEP_1)
	v_add_f16_e32 v77, v35, v10
	v_fma_mix_f32 v10, v79, v4, 0 op_sel_hi:[1,1,0]
	v_fma_mix_f32 v10, v80, v4, v10 op_sel:[0,1,0] op_sel_hi:[1,1,0]
	s_delay_alu instid0(VALU_DEP_1) | instskip(NEXT) | instid1(VALU_DEP_1)
	v_fma_mix_f32 v10, v81, v5, v10 op_sel_hi:[1,1,0]
	v_fma_mix_f32 v10, v82, v5, v10 op_sel:[0,1,0] op_sel_hi:[1,1,0]
	s_delay_alu instid0(VALU_DEP_1) | instskip(NEXT) | instid1(VALU_DEP_1)
	v_fma_mix_f32 v10, v83, v6, v10 op_sel_hi:[1,1,0]
	v_fma_mix_f32 v10, v84, v6, v10 op_sel:[0,1,0] op_sel_hi:[1,1,0]
	s_delay_alu instid0(VALU_DEP_1) | instskip(NEXT) | instid1(VALU_DEP_1)
	v_fma_mix_f32 v10, v85, v7, v10 op_sel_hi:[1,1,0]
	v_fma_mix_f32 v10, v67, v7, v10 op_sel:[0,1,0] op_sel_hi:[1,1,0]
	s_delay_alu instid0(VALU_DEP_1) | instskip(NEXT) | instid1(VALU_DEP_1)
	v_fma_mixlo_f16 v10, v10, v15, 0 op_sel_hi:[0,1,0]
	v_add_f16_e32 v36, v36, v10
	v_fma_mix_f32 v10, v86, v4, 0 op_sel_hi:[1,1,0]
	s_delay_alu instid0(VALU_DEP_1) | instskip(NEXT) | instid1(VALU_DEP_1)
	v_fma_mix_f32 v4, v87, v4, v10 op_sel:[0,1,0] op_sel_hi:[1,1,0]
	v_fma_mix_f32 v4, v88, v5, v4 op_sel_hi:[1,1,0]
	s_delay_alu instid0(VALU_DEP_1) | instskip(NEXT) | instid1(VALU_DEP_1)
	v_fma_mix_f32 v4, v89, v5, v4 op_sel:[0,1,0] op_sel_hi:[1,1,0]
	v_fma_mix_f32 v4, v90, v6, v4 op_sel_hi:[1,1,0]
	s_delay_alu instid0(VALU_DEP_1) | instskip(NEXT) | instid1(VALU_DEP_1)
	v_fma_mix_f32 v4, v91, v6, v4 op_sel:[0,1,0] op_sel_hi:[1,1,0]
	v_fma_mix_f32 v4, v92, v7, v4 op_sel_hi:[1,1,0]
	s_delay_alu instid0(VALU_DEP_1) | instskip(NEXT) | instid1(VALU_DEP_1)
	v_fma_mix_f32 v4, v68, v7, v4 op_sel:[0,1,0] op_sel_hi:[1,1,0]
	v_fma_mixlo_f16 v4, v4, v24, 0 op_sel_hi:[0,1,0]
	s_delay_alu instid0(VALU_DEP_1) | instskip(SKIP_3) | instid1(VALU_DEP_1)
	v_add_f16_e32 v78, v37, v4
	ds_load_b128 v[4:7], v27 offset:544
	s_waitcnt lgkmcnt(0)
	v_fma_mix_f32 v10, v18, v4, 0 op_sel_hi:[1,1,0]
	v_fma_mix_f32 v10, v19, v4, v10 op_sel:[0,1,0] op_sel_hi:[1,1,0]
	s_delay_alu instid0(VALU_DEP_1) | instskip(NEXT) | instid1(VALU_DEP_1)
	v_fma_mix_f32 v10, v50, v5, v10 op_sel_hi:[1,1,0]
	v_fma_mix_f32 v10, v51, v5, v10 op_sel:[0,1,0] op_sel_hi:[1,1,0]
	s_delay_alu instid0(VALU_DEP_1) | instskip(NEXT) | instid1(VALU_DEP_1)
	v_fma_mix_f32 v10, v52, v6, v10 op_sel_hi:[1,1,0]
	v_fma_mix_f32 v10, v53, v6, v10 op_sel:[0,1,0] op_sel_hi:[1,1,0]
	s_delay_alu instid0(VALU_DEP_1) | instskip(NEXT) | instid1(VALU_DEP_1)
	v_fma_mix_f32 v10, v54, v7, v10 op_sel_hi:[1,1,0]
	v_fma_mix_f32 v10, v55, v7, v10 op_sel:[0,1,0] op_sel_hi:[1,1,0]
	s_delay_alu instid0(VALU_DEP_1) | instskip(NEXT) | instid1(VALU_DEP_1)
	v_fma_mixlo_f16 v10, v10, v14, 0 op_sel_hi:[0,1,0]
	v_add_f16_e32 v73, v38, v10
	v_fma_mix_f32 v10, v56, v4, 0 op_sel_hi:[1,1,0]
	s_delay_alu instid0(VALU_DEP_1) | instskip(NEXT) | instid1(VALU_DEP_1)
	v_fma_mix_f32 v10, v57, v4, v10 op_sel:[0,1,0] op_sel_hi:[1,1,0]
	v_fma_mix_f32 v10, v58, v5, v10 op_sel_hi:[1,1,0]
	s_delay_alu instid0(VALU_DEP_1) | instskip(NEXT) | instid1(VALU_DEP_1)
	v_fma_mix_f32 v10, v59, v5, v10 op_sel:[0,1,0] op_sel_hi:[1,1,0]
	v_fma_mix_f32 v10, v60, v6, v10 op_sel_hi:[1,1,0]
	s_delay_alu instid0(VALU_DEP_1) | instskip(NEXT) | instid1(VALU_DEP_1)
	v_fma_mix_f32 v10, v61, v6, v10 op_sel:[0,1,0] op_sel_hi:[1,1,0]
	v_fma_mix_f32 v10, v62, v7, v10 op_sel_hi:[1,1,0]
	s_delay_alu instid0(VALU_DEP_1) | instskip(NEXT) | instid1(VALU_DEP_1)
	v_fma_mix_f32 v10, v69, v7, v10 op_sel:[0,1,0] op_sel_hi:[1,1,0]
	v_fma_mixlo_f16 v10, v10, v21, 0 op_sel_hi:[0,1,0]
	s_delay_alu instid0(VALU_DEP_1) | instskip(SKIP_1) | instid1(VALU_DEP_1)
	v_add_f16_e32 v74, v39, v10
	v_fma_mix_f32 v10, v79, v4, 0 op_sel_hi:[1,1,0]
	v_fma_mix_f32 v10, v80, v4, v10 op_sel:[0,1,0] op_sel_hi:[1,1,0]
	s_delay_alu instid0(VALU_DEP_1) | instskip(NEXT) | instid1(VALU_DEP_1)
	v_fma_mix_f32 v10, v81, v5, v10 op_sel_hi:[1,1,0]
	v_fma_mix_f32 v10, v82, v5, v10 op_sel:[0,1,0] op_sel_hi:[1,1,0]
	s_delay_alu instid0(VALU_DEP_1) | instskip(NEXT) | instid1(VALU_DEP_1)
	v_fma_mix_f32 v10, v83, v6, v10 op_sel_hi:[1,1,0]
	v_fma_mix_f32 v10, v84, v6, v10 op_sel:[0,1,0] op_sel_hi:[1,1,0]
	s_delay_alu instid0(VALU_DEP_1) | instskip(NEXT) | instid1(VALU_DEP_1)
	v_fma_mix_f32 v10, v85, v7, v10 op_sel_hi:[1,1,0]
	v_fma_mix_f32 v10, v67, v7, v10 op_sel:[0,1,0] op_sel_hi:[1,1,0]
	s_delay_alu instid0(VALU_DEP_1) | instskip(NEXT) | instid1(VALU_DEP_1)
	v_fma_mixlo_f16 v10, v10, v15, 0 op_sel_hi:[0,1,0]
	v_add_f16_e32 v40, v40, v10
	v_fma_mix_f32 v10, v86, v4, 0 op_sel_hi:[1,1,0]
	s_delay_alu instid0(VALU_DEP_1) | instskip(NEXT) | instid1(VALU_DEP_1)
	v_fma_mix_f32 v4, v87, v4, v10 op_sel:[0,1,0] op_sel_hi:[1,1,0]
	;; [unrolled: 60-line block ×3, first 2 shown]
	v_fma_mix_f32 v4, v88, v5, v4 op_sel_hi:[1,1,0]
	s_delay_alu instid0(VALU_DEP_1) | instskip(NEXT) | instid1(VALU_DEP_1)
	v_fma_mix_f32 v4, v89, v5, v4 op_sel:[0,1,0] op_sel_hi:[1,1,0]
	v_fma_mix_f32 v4, v90, v6, v4 op_sel_hi:[1,1,0]
	s_delay_alu instid0(VALU_DEP_1) | instskip(NEXT) | instid1(VALU_DEP_1)
	v_fma_mix_f32 v4, v91, v6, v4 op_sel:[0,1,0] op_sel_hi:[1,1,0]
	;; [unrolled: 3-line block ×3, first 2 shown]
	v_fma_mixlo_f16 v4, v4, v24, 0 op_sel_hi:[0,1,0]
	s_delay_alu instid0(VALU_DEP_1) | instskip(SKIP_1) | instid1(VALU_DEP_1)
	v_add_f16_e32 v72, v45, v4
	v_fma_mix_f32 v4, v18, v63, 0 op_sel_hi:[1,1,0]
	v_fma_mix_f32 v4, v19, v63, v4 op_sel:[0,1,0] op_sel_hi:[1,1,0]
	s_delay_alu instid0(VALU_DEP_1) | instskip(NEXT) | instid1(VALU_DEP_1)
	v_fma_mix_f32 v4, v50, v64, v4 op_sel_hi:[1,1,0]
	v_fma_mix_f32 v4, v51, v64, v4 op_sel:[0,1,0] op_sel_hi:[1,1,0]
	s_delay_alu instid0(VALU_DEP_1) | instskip(NEXT) | instid1(VALU_DEP_1)
	;; [unrolled: 3-line block ×4, first 2 shown]
	v_fma_mixlo_f16 v4, v4, v14, 0 op_sel_hi:[0,1,0]
	v_add_f16_e32 v7, v46, v4
	v_fma_mix_f32 v4, v56, v63, 0 op_sel_hi:[1,1,0]
	s_delay_alu instid0(VALU_DEP_1) | instskip(NEXT) | instid1(VALU_DEP_1)
	v_fma_mix_f32 v4, v57, v63, v4 op_sel:[0,1,0] op_sel_hi:[1,1,0]
	v_fma_mix_f32 v4, v58, v64, v4 op_sel_hi:[1,1,0]
	s_delay_alu instid0(VALU_DEP_1) | instskip(NEXT) | instid1(VALU_DEP_1)
	v_fma_mix_f32 v4, v59, v64, v4 op_sel:[0,1,0] op_sel_hi:[1,1,0]
	v_fma_mix_f32 v4, v60, v65, v4 op_sel_hi:[1,1,0]
	s_delay_alu instid0(VALU_DEP_1)
	v_fma_mix_f32 v4, v61, v65, v4 op_sel:[0,1,0] op_sel_hi:[1,1,0]
	global_load_b128 v[58:61], v[8:9], off
	v_add_co_u32 v8, vcc_lo, v8, s2
	v_add_co_ci_u32_e32 v9, vcc_lo, s3, v9, vcc_lo
	v_fma_mix_f32 v4, v62, v66, v4 op_sel_hi:[1,1,0]
	v_add_co_u32 v16, vcc_lo, v16, s0
	v_add_co_ci_u32_e32 v17, vcc_lo, s1, v17, vcc_lo
	s_delay_alu instid0(VALU_DEP_3) | instskip(NEXT) | instid1(VALU_DEP_1)
	v_fma_mix_f32 v4, v69, v66, v4 op_sel:[0,1,0] op_sel_hi:[1,1,0]
	v_fma_mixlo_f16 v4, v4, v21, 0 op_sel_hi:[0,1,0]
	s_delay_alu instid0(VALU_DEP_1) | instskip(SKIP_1) | instid1(VALU_DEP_1)
	v_add_f16_e32 v6, v47, v4
	v_fma_mix_f32 v4, v79, v63, 0 op_sel_hi:[1,1,0]
	v_fma_mix_f32 v4, v80, v63, v4 op_sel:[0,1,0] op_sel_hi:[1,1,0]
	s_delay_alu instid0(VALU_DEP_1) | instskip(NEXT) | instid1(VALU_DEP_1)
	v_fma_mix_f32 v4, v81, v64, v4 op_sel_hi:[1,1,0]
	v_fma_mix_f32 v4, v82, v64, v4 op_sel:[0,1,0] op_sel_hi:[1,1,0]
	global_load_b128 v[79:82], v[8:9], off
	v_fma_mix_f32 v4, v83, v65, v4 op_sel_hi:[1,1,0]
	s_delay_alu instid0(VALU_DEP_1) | instskip(NEXT) | instid1(VALU_DEP_1)
	v_fma_mix_f32 v4, v84, v65, v4 op_sel:[0,1,0] op_sel_hi:[1,1,0]
	v_fma_mix_f32 v4, v85, v66, v4 op_sel_hi:[1,1,0]
	s_delay_alu instid0(VALU_DEP_1) | instskip(NEXT) | instid1(VALU_DEP_1)
	v_fma_mix_f32 v4, v67, v66, v4 op_sel:[0,1,0] op_sel_hi:[1,1,0]
	v_fma_mixlo_f16 v4, v4, v15, 0 op_sel_hi:[0,1,0]
	s_delay_alu instid0(VALU_DEP_1) | instskip(SKIP_1) | instid1(VALU_DEP_1)
	v_add_f16_e32 v5, v48, v4
	v_fma_mix_f32 v4, v86, v63, 0 op_sel_hi:[1,1,0]
	v_fma_mix_f32 v4, v87, v63, v4 op_sel:[0,1,0] op_sel_hi:[1,1,0]
	s_delay_alu instid0(VALU_DEP_1) | instskip(NEXT) | instid1(VALU_DEP_1)
	v_fma_mix_f32 v4, v88, v64, v4 op_sel_hi:[1,1,0]
	v_fma_mix_f32 v4, v89, v64, v4 op_sel:[0,1,0] op_sel_hi:[1,1,0]
	s_delay_alu instid0(VALU_DEP_1) | instskip(NEXT) | instid1(VALU_DEP_1)
	;; [unrolled: 3-line block ×4, first 2 shown]
	v_fma_mixlo_f16 v4, v4, v24, 0 op_sel_hi:[0,1,0]
	v_add_f16_e32 v4, v49, v4
	s_waitcnt vmcnt(1)
	v_bfe_u32 v35, v59, 16, 8
	v_and_b32_e32 v8, 0xff, v58
	v_bfe_u32 v9, v58, 8, 8
	v_bfe_u32 v10, v58, 16, 8
	v_lshrrev_b32_e32 v11, 24, v58
	v_sub_nc_u32_e32 v35, v35, v30
	v_sub_nc_u32_e32 v8, v8, v31
	;; [unrolled: 1-line block ×5, first 2 shown]
	v_cvt_f32_i32_e32 v35, v35
	v_cvt_f32_i32_e32 v8, v8
	;; [unrolled: 1-line block ×5, first 2 shown]
	v_cvt_f16_f32_e32 v50, v35
	v_lshrrev_b32_e32 v35, 24, v59
	v_cvt_f16_f32_e32 v8, v8
	v_cvt_f16_f32_e32 v9, v9
	;; [unrolled: 1-line block ×4, first 2 shown]
	v_sub_nc_u32_e32 v35, v35, v30
	s_delay_alu instid0(VALU_DEP_1) | instskip(NEXT) | instid1(VALU_DEP_1)
	v_cvt_f32_i32_e32 v35, v35
	v_cvt_f16_f32_e32 v52, v35
	s_waitcnt vmcnt(0)
	v_bfe_u32 v19, v79, 8, 8
	v_and_b32_e32 v35, 0xff, v80
	v_and_b32_e32 v18, 0xff, v79
	s_delay_alu instid0(VALU_DEP_3) | instskip(NEXT) | instid1(VALU_DEP_3)
	v_sub_nc_u32_e32 v19, v19, v31
	v_sub_nc_u32_e32 v35, v35, v30
	s_delay_alu instid0(VALU_DEP_3) | instskip(NEXT) | instid1(VALU_DEP_3)
	v_sub_nc_u32_e32 v18, v18, v31
	v_cvt_f32_i32_e32 v19, v19
	s_delay_alu instid0(VALU_DEP_3) | instskip(NEXT) | instid1(VALU_DEP_3)
	v_cvt_f32_i32_e32 v35, v35
	v_cvt_f32_i32_e32 v18, v18
	s_delay_alu instid0(VALU_DEP_3) | instskip(SKIP_1) | instid1(VALU_DEP_4)
	v_cvt_f16_f32_e32 v48, v19
	v_bfe_u32 v19, v79, 16, 8
	v_cvt_f16_f32_e32 v53, v35
	v_bfe_u32 v35, v80, 8, 8
	v_cvt_f16_f32_e32 v18, v18
	s_delay_alu instid0(VALU_DEP_4) | instskip(NEXT) | instid1(VALU_DEP_3)
	v_sub_nc_u32_e32 v19, v19, v31
	v_sub_nc_u32_e32 v35, v35, v30
	s_delay_alu instid0(VALU_DEP_2) | instskip(NEXT) | instid1(VALU_DEP_2)
	v_cvt_f32_i32_e32 v19, v19
	v_cvt_f32_i32_e32 v35, v35
	s_delay_alu instid0(VALU_DEP_2) | instskip(SKIP_1) | instid1(VALU_DEP_3)
	v_cvt_f16_f32_e32 v49, v19
	v_lshrrev_b32_e32 v19, 24, v79
	v_cvt_f16_f32_e32 v54, v35
	v_bfe_u32 v35, v80, 16, 8
	s_delay_alu instid0(VALU_DEP_3) | instskip(SKIP_1) | instid1(VALU_DEP_3)
	v_sub_nc_u32_e32 v19, v19, v31
	v_bfe_u32 v31, v59, 8, 8
	v_sub_nc_u32_e32 v35, v35, v30
	s_delay_alu instid0(VALU_DEP_3) | instskip(NEXT) | instid1(VALU_DEP_3)
	v_cvt_f32_i32_e32 v19, v19
	v_sub_nc_u32_e32 v31, v31, v30
	s_delay_alu instid0(VALU_DEP_3) | instskip(NEXT) | instid1(VALU_DEP_3)
	v_cvt_f32_i32_e32 v35, v35
	v_cvt_f16_f32_e32 v51, v19
	v_and_b32_e32 v19, 0xff, v59
	s_delay_alu instid0(VALU_DEP_3) | instskip(SKIP_2) | instid1(VALU_DEP_4)
	v_cvt_f16_f32_e32 v56, v35
	v_lshrrev_b32_e32 v35, 24, v80
	v_cvt_f32_i32_e32 v31, v31
	v_sub_nc_u32_e32 v19, v19, v30
	s_delay_alu instid0(VALU_DEP_3) | instskip(SKIP_1) | instid1(VALU_DEP_4)
	v_sub_nc_u32_e32 v30, v35, v30
	v_bfe_u32 v35, v60, 8, 8
	v_cvt_f16_f32_e32 v31, v31
	s_delay_alu instid0(VALU_DEP_4) | instskip(NEXT) | instid1(VALU_DEP_4)
	v_cvt_f32_i32_e32 v19, v19
	v_cvt_f32_i32_e32 v30, v30
	s_delay_alu instid0(VALU_DEP_4) | instskip(NEXT) | instid1(VALU_DEP_3)
	v_sub_nc_u32_e32 v35, v35, v29
	v_cvt_f16_f32_e32 v19, v19
	s_delay_alu instid0(VALU_DEP_3) | instskip(NEXT) | instid1(VALU_DEP_3)
	v_cvt_f16_f32_e32 v58, v30
	v_cvt_f32_i32_e32 v35, v35
	v_and_b32_e32 v30, 0xff, v60
	s_delay_alu instid0(VALU_DEP_2) | instskip(SKIP_1) | instid1(VALU_DEP_3)
	v_cvt_f16_f32_e32 v55, v35
	v_bfe_u32 v35, v60, 16, 8
	v_sub_nc_u32_e32 v30, v30, v29
	s_delay_alu instid0(VALU_DEP_2) | instskip(NEXT) | instid1(VALU_DEP_2)
	v_sub_nc_u32_e32 v35, v35, v29
	v_cvt_f32_i32_e32 v30, v30
	s_delay_alu instid0(VALU_DEP_2) | instskip(NEXT) | instid1(VALU_DEP_2)
	v_cvt_f32_i32_e32 v35, v35
	v_cvt_f16_f32_e32 v30, v30
	s_delay_alu instid0(VALU_DEP_2) | instskip(SKIP_1) | instid1(VALU_DEP_1)
	v_cvt_f16_f32_e32 v57, v35
	v_lshrrev_b32_e32 v35, 24, v60
	v_sub_nc_u32_e32 v35, v35, v29
	s_delay_alu instid0(VALU_DEP_1) | instskip(NEXT) | instid1(VALU_DEP_1)
	v_cvt_f32_i32_e32 v35, v35
	v_cvt_f16_f32_e32 v60, v35
	v_and_b32_e32 v35, 0xff, v81
	s_delay_alu instid0(VALU_DEP_1) | instskip(NEXT) | instid1(VALU_DEP_1)
	v_sub_nc_u32_e32 v35, v35, v29
	v_cvt_f32_i32_e32 v35, v35
	s_delay_alu instid0(VALU_DEP_1) | instskip(SKIP_1) | instid1(VALU_DEP_1)
	v_cvt_f16_f32_e32 v64, v35
	v_bfe_u32 v35, v81, 8, 8
	v_sub_nc_u32_e32 v35, v35, v29
	s_delay_alu instid0(VALU_DEP_1) | instskip(NEXT) | instid1(VALU_DEP_1)
	v_cvt_f32_i32_e32 v35, v35
	v_cvt_f16_f32_e32 v67, v35
	v_bfe_u32 v35, v81, 16, 8
	s_delay_alu instid0(VALU_DEP_1) | instskip(NEXT) | instid1(VALU_DEP_1)
	v_sub_nc_u32_e32 v35, v35, v29
	v_cvt_f32_i32_e32 v35, v35
	s_delay_alu instid0(VALU_DEP_1) | instskip(SKIP_1) | instid1(VALU_DEP_1)
	v_cvt_f16_f32_e32 v68, v35
	v_lshrrev_b32_e32 v35, 24, v81
	v_sub_nc_u32_e32 v29, v35, v29
	v_lshrrev_b32_e32 v35, 24, v82
	s_delay_alu instid0(VALU_DEP_2) | instskip(NEXT) | instid1(VALU_DEP_1)
	v_cvt_f32_i32_e32 v29, v29
	v_cvt_f16_f32_e32 v69, v29
	v_and_b32_e32 v29, 0xff, v61
	s_delay_alu instid0(VALU_DEP_1) | instskip(NEXT) | instid1(VALU_DEP_1)
	v_sub_nc_u32_e32 v29, v29, v28
	v_cvt_f32_i32_e32 v29, v29
	s_delay_alu instid0(VALU_DEP_1) | instskip(SKIP_1) | instid1(VALU_DEP_1)
	v_cvt_f16_f32_e32 v66, v29
	v_bfe_u32 v29, v61, 8, 8
	v_sub_nc_u32_e32 v29, v29, v28
	s_delay_alu instid0(VALU_DEP_1) | instskip(NEXT) | instid1(VALU_DEP_1)
	v_cvt_f32_i32_e32 v29, v29
	v_cvt_f16_f32_e32 v65, v29
	v_bfe_u32 v29, v61, 16, 8
	s_delay_alu instid0(VALU_DEP_1) | instskip(NEXT) | instid1(VALU_DEP_1)
	v_sub_nc_u32_e32 v29, v29, v28
	v_cvt_f32_i32_e32 v29, v29
	s_delay_alu instid0(VALU_DEP_1) | instskip(SKIP_1) | instid1(VALU_DEP_1)
	v_cvt_f16_f32_e32 v63, v29
	v_lshrrev_b32_e32 v29, 24, v61
	v_sub_nc_u32_e32 v29, v29, v28
	s_delay_alu instid0(VALU_DEP_1) | instskip(NEXT) | instid1(VALU_DEP_1)
	v_cvt_f32_i32_e32 v29, v29
	v_cvt_f16_f32_e32 v62, v29
	v_and_b32_e32 v29, 0xff, v82
	s_delay_alu instid0(VALU_DEP_1) | instskip(NEXT) | instid1(VALU_DEP_1)
	v_sub_nc_u32_e32 v29, v29, v28
	v_cvt_f32_i32_e32 v29, v29
	s_delay_alu instid0(VALU_DEP_1) | instskip(SKIP_1) | instid1(VALU_DEP_1)
	v_cvt_f16_f32_e32 v61, v29
	v_bfe_u32 v29, v82, 8, 8
	v_sub_nc_u32_e32 v29, v29, v28
	s_delay_alu instid0(VALU_DEP_1) | instskip(NEXT) | instid1(VALU_DEP_1)
	v_cvt_f32_i32_e32 v29, v29
	v_cvt_f16_f32_e32 v59, v29
	v_bfe_u32 v29, v82, 16, 8
	s_delay_alu instid0(VALU_DEP_1) | instskip(SKIP_2) | instid1(VALU_DEP_3)
	v_sub_nc_u32_e32 v29, v29, v28
	v_sub_nc_u32_e32 v28, v35, v28
	v_fma_mix_f32 v35, v8, v0, 0 op_sel_hi:[1,1,0]
	v_cvt_f32_i32_e32 v29, v29
	s_delay_alu instid0(VALU_DEP_3) | instskip(NEXT) | instid1(VALU_DEP_3)
	v_cvt_f32_i32_e32 v28, v28
	v_fma_mix_f32 v35, v9, v0, v35 op_sel:[0,1,0] op_sel_hi:[1,1,0]
	s_delay_alu instid0(VALU_DEP_3) | instskip(NEXT) | instid1(VALU_DEP_3)
	v_cvt_f16_f32_e32 v29, v29
	v_cvt_f16_f32_e32 v28, v28
	s_delay_alu instid0(VALU_DEP_3) | instskip(NEXT) | instid1(VALU_DEP_1)
	v_fma_mix_f32 v35, v10, v1, v35 op_sel_hi:[1,1,0]
	v_fma_mix_f32 v35, v11, v1, v35 op_sel:[0,1,0] op_sel_hi:[1,1,0]
	s_delay_alu instid0(VALU_DEP_1) | instskip(NEXT) | instid1(VALU_DEP_1)
	v_fma_mix_f32 v35, v18, v2, v35 op_sel_hi:[1,1,0]
	v_fma_mix_f32 v35, v48, v2, v35 op_sel:[0,1,0] op_sel_hi:[1,1,0]
	s_delay_alu instid0(VALU_DEP_1) | instskip(NEXT) | instid1(VALU_DEP_1)
	v_fma_mix_f32 v35, v49, v3, v35 op_sel_hi:[1,1,0]
	v_fma_mix_f32 v35, v51, v3, v35 op_sel:[0,1,0] op_sel_hi:[1,1,0]
	s_delay_alu instid0(VALU_DEP_1) | instskip(NEXT) | instid1(VALU_DEP_1)
	v_fma_mixlo_f16 v35, v35, v14, 0 op_sel_hi:[0,1,0]
	v_add_f16_e32 v34, v34, v35
	v_fma_mix_f32 v35, v19, v0, 0 op_sel_hi:[1,1,0]
	s_delay_alu instid0(VALU_DEP_1) | instskip(NEXT) | instid1(VALU_DEP_1)
	v_fma_mix_f32 v35, v31, v0, v35 op_sel:[0,1,0] op_sel_hi:[1,1,0]
	v_fma_mix_f32 v35, v50, v1, v35 op_sel_hi:[1,1,0]
	s_delay_alu instid0(VALU_DEP_1) | instskip(NEXT) | instid1(VALU_DEP_1)
	v_fma_mix_f32 v35, v52, v1, v35 op_sel:[0,1,0] op_sel_hi:[1,1,0]
	v_fma_mix_f32 v35, v53, v2, v35 op_sel_hi:[1,1,0]
	s_delay_alu instid0(VALU_DEP_1) | instskip(NEXT) | instid1(VALU_DEP_1)
	v_fma_mix_f32 v35, v54, v2, v35 op_sel:[0,1,0] op_sel_hi:[1,1,0]
	v_fma_mix_f32 v35, v56, v3, v35 op_sel_hi:[1,1,0]
	s_delay_alu instid0(VALU_DEP_1) | instskip(NEXT) | instid1(VALU_DEP_1)
	v_fma_mix_f32 v35, v58, v3, v35 op_sel:[0,1,0] op_sel_hi:[1,1,0]
	v_fma_mixlo_f16 v35, v35, v21, 0 op_sel_hi:[0,1,0]
	s_delay_alu instid0(VALU_DEP_1) | instskip(SKIP_1) | instid1(VALU_DEP_1)
	v_add_f16_e32 v35, v33, v35
	v_fma_mix_f32 v33, v30, v0, 0 op_sel_hi:[1,1,0]
	v_fma_mix_f32 v33, v55, v0, v33 op_sel:[0,1,0] op_sel_hi:[1,1,0]
	s_delay_alu instid0(VALU_DEP_1) | instskip(NEXT) | instid1(VALU_DEP_1)
	v_fma_mix_f32 v33, v57, v1, v33 op_sel_hi:[1,1,0]
	v_fma_mix_f32 v33, v60, v1, v33 op_sel:[0,1,0] op_sel_hi:[1,1,0]
	s_delay_alu instid0(VALU_DEP_1) | instskip(NEXT) | instid1(VALU_DEP_1)
	v_fma_mix_f32 v33, v64, v2, v33 op_sel_hi:[1,1,0]
	v_fma_mix_f32 v33, v67, v2, v33 op_sel:[0,1,0] op_sel_hi:[1,1,0]
	s_delay_alu instid0(VALU_DEP_1) | instskip(NEXT) | instid1(VALU_DEP_1)
	v_fma_mix_f32 v33, v68, v3, v33 op_sel_hi:[1,1,0]
	v_fma_mix_f32 v33, v69, v3, v33 op_sel:[0,1,0] op_sel_hi:[1,1,0]
	s_delay_alu instid0(VALU_DEP_1) | instskip(NEXT) | instid1(VALU_DEP_1)
	v_fma_mixlo_f16 v33, v33, v15, 0 op_sel_hi:[0,1,0]
	v_add_f16_e32 v33, v32, v33
	v_fma_mix_f32 v32, v66, v0, 0 op_sel_hi:[1,1,0]
	s_delay_alu instid0(VALU_DEP_1) | instskip(NEXT) | instid1(VALU_DEP_1)
	v_fma_mix_f32 v0, v65, v0, v32 op_sel:[0,1,0] op_sel_hi:[1,1,0]
	v_fma_mix_f32 v0, v63, v1, v0 op_sel_hi:[1,1,0]
	s_delay_alu instid0(VALU_DEP_1) | instskip(NEXT) | instid1(VALU_DEP_1)
	v_fma_mix_f32 v0, v62, v1, v0 op_sel:[0,1,0] op_sel_hi:[1,1,0]
	v_fma_mix_f32 v0, v61, v2, v0 op_sel_hi:[1,1,0]
	s_delay_alu instid0(VALU_DEP_1) | instskip(NEXT) | instid1(VALU_DEP_1)
	v_fma_mix_f32 v0, v59, v2, v0 op_sel:[0,1,0] op_sel_hi:[1,1,0]
	v_fma_mix_f32 v0, v29, v3, v0 op_sel_hi:[1,1,0]
	s_delay_alu instid0(VALU_DEP_1) | instskip(NEXT) | instid1(VALU_DEP_1)
	v_fma_mix_f32 v0, v28, v3, v0 op_sel:[0,1,0] op_sel_hi:[1,1,0]
	v_fma_mixlo_f16 v0, v0, v24, 0 op_sel_hi:[0,1,0]
	s_delay_alu instid0(VALU_DEP_1) | instskip(SKIP_3) | instid1(VALU_DEP_1)
	v_add_f16_e32 v32, v93, v0
	ds_load_b128 v[0:3], v27 offset:304
	s_waitcnt lgkmcnt(0)
	v_fma_mix_f32 v37, v8, v0, 0 op_sel_hi:[1,1,0]
	v_fma_mix_f32 v37, v9, v0, v37 op_sel:[0,1,0] op_sel_hi:[1,1,0]
	s_delay_alu instid0(VALU_DEP_1) | instskip(NEXT) | instid1(VALU_DEP_1)
	v_fma_mix_f32 v37, v10, v1, v37 op_sel_hi:[1,1,0]
	v_fma_mix_f32 v37, v11, v1, v37 op_sel:[0,1,0] op_sel_hi:[1,1,0]
	s_delay_alu instid0(VALU_DEP_1) | instskip(NEXT) | instid1(VALU_DEP_1)
	v_fma_mix_f32 v37, v18, v2, v37 op_sel_hi:[1,1,0]
	v_fma_mix_f32 v37, v48, v2, v37 op_sel:[0,1,0] op_sel_hi:[1,1,0]
	s_delay_alu instid0(VALU_DEP_1) | instskip(NEXT) | instid1(VALU_DEP_1)
	v_fma_mix_f32 v37, v49, v3, v37 op_sel_hi:[1,1,0]
	v_fma_mix_f32 v37, v51, v3, v37 op_sel:[0,1,0] op_sel_hi:[1,1,0]
	s_delay_alu instid0(VALU_DEP_1) | instskip(NEXT) | instid1(VALU_DEP_1)
	v_fma_mixlo_f16 v37, v37, v14, 0 op_sel_hi:[0,1,0]
	v_add_f16_e32 v39, v76, v37
	v_fma_mix_f32 v37, v19, v0, 0 op_sel_hi:[1,1,0]
	s_delay_alu instid0(VALU_DEP_1) | instskip(NEXT) | instid1(VALU_DEP_1)
	v_fma_mix_f32 v37, v31, v0, v37 op_sel:[0,1,0] op_sel_hi:[1,1,0]
	v_fma_mix_f32 v37, v50, v1, v37 op_sel_hi:[1,1,0]
	s_delay_alu instid0(VALU_DEP_1) | instskip(NEXT) | instid1(VALU_DEP_1)
	v_fma_mix_f32 v37, v52, v1, v37 op_sel:[0,1,0] op_sel_hi:[1,1,0]
	v_fma_mix_f32 v37, v53, v2, v37 op_sel_hi:[1,1,0]
	s_delay_alu instid0(VALU_DEP_1) | instskip(NEXT) | instid1(VALU_DEP_1)
	v_fma_mix_f32 v37, v54, v2, v37 op_sel:[0,1,0] op_sel_hi:[1,1,0]
	v_fma_mix_f32 v37, v56, v3, v37 op_sel_hi:[1,1,0]
	s_delay_alu instid0(VALU_DEP_1) | instskip(NEXT) | instid1(VALU_DEP_1)
	v_fma_mix_f32 v37, v58, v3, v37 op_sel:[0,1,0] op_sel_hi:[1,1,0]
	v_fma_mixlo_f16 v37, v37, v21, 0 op_sel_hi:[0,1,0]
	s_delay_alu instid0(VALU_DEP_1) | instskip(SKIP_1) | instid1(VALU_DEP_1)
	v_add_f16_e32 v38, v77, v37
	v_fma_mix_f32 v37, v30, v0, 0 op_sel_hi:[1,1,0]
	v_fma_mix_f32 v37, v55, v0, v37 op_sel:[0,1,0] op_sel_hi:[1,1,0]
	s_delay_alu instid0(VALU_DEP_1) | instskip(NEXT) | instid1(VALU_DEP_1)
	v_fma_mix_f32 v37, v57, v1, v37 op_sel_hi:[1,1,0]
	v_fma_mix_f32 v37, v60, v1, v37 op_sel:[0,1,0] op_sel_hi:[1,1,0]
	s_delay_alu instid0(VALU_DEP_1) | instskip(NEXT) | instid1(VALU_DEP_1)
	v_fma_mix_f32 v37, v64, v2, v37 op_sel_hi:[1,1,0]
	v_fma_mix_f32 v37, v67, v2, v37 op_sel:[0,1,0] op_sel_hi:[1,1,0]
	s_delay_alu instid0(VALU_DEP_1) | instskip(NEXT) | instid1(VALU_DEP_1)
	v_fma_mix_f32 v37, v68, v3, v37 op_sel_hi:[1,1,0]
	v_fma_mix_f32 v37, v69, v3, v37 op_sel:[0,1,0] op_sel_hi:[1,1,0]
	s_delay_alu instid0(VALU_DEP_1) | instskip(NEXT) | instid1(VALU_DEP_1)
	v_fma_mixlo_f16 v37, v37, v15, 0 op_sel_hi:[0,1,0]
	v_add_f16_e32 v37, v36, v37
	v_fma_mix_f32 v36, v66, v0, 0 op_sel_hi:[1,1,0]
	s_delay_alu instid0(VALU_DEP_1) | instskip(NEXT) | instid1(VALU_DEP_1)
	v_fma_mix_f32 v0, v65, v0, v36 op_sel:[0,1,0] op_sel_hi:[1,1,0]
	v_fma_mix_f32 v0, v63, v1, v0 op_sel_hi:[1,1,0]
	s_delay_alu instid0(VALU_DEP_1) | instskip(NEXT) | instid1(VALU_DEP_1)
	v_fma_mix_f32 v0, v62, v1, v0 op_sel:[0,1,0] op_sel_hi:[1,1,0]
	v_fma_mix_f32 v0, v61, v2, v0 op_sel_hi:[1,1,0]
	s_delay_alu instid0(VALU_DEP_1) | instskip(NEXT) | instid1(VALU_DEP_1)
	v_fma_mix_f32 v0, v59, v2, v0 op_sel:[0,1,0] op_sel_hi:[1,1,0]
	v_fma_mix_f32 v0, v29, v3, v0 op_sel_hi:[1,1,0]
	s_delay_alu instid0(VALU_DEP_1) | instskip(NEXT) | instid1(VALU_DEP_1)
	v_fma_mix_f32 v0, v28, v3, v0 op_sel:[0,1,0] op_sel_hi:[1,1,0]
	v_fma_mixlo_f16 v0, v0, v24, 0 op_sel_hi:[0,1,0]
	s_delay_alu instid0(VALU_DEP_1) | instskip(SKIP_3) | instid1(VALU_DEP_1)
	v_add_f16_e32 v36, v78, v0
	ds_load_b128 v[0:3], v27 offset:560
	s_waitcnt lgkmcnt(0)
	v_fma_mix_f32 v41, v8, v0, 0 op_sel_hi:[1,1,0]
	v_fma_mix_f32 v41, v9, v0, v41 op_sel:[0,1,0] op_sel_hi:[1,1,0]
	s_delay_alu instid0(VALU_DEP_1) | instskip(NEXT) | instid1(VALU_DEP_1)
	;; [unrolled: 60-line block ×4, first 2 shown]
	v_fma_mix_f32 v8, v10, v1, v8 op_sel_hi:[1,1,0]
	v_fma_mix_f32 v8, v11, v1, v8 op_sel:[0,1,0] op_sel_hi:[1,1,0]
	s_delay_alu instid0(VALU_DEP_1) | instskip(NEXT) | instid1(VALU_DEP_1)
	v_fma_mix_f32 v8, v18, v2, v8 op_sel_hi:[1,1,0]
	v_fma_mix_f32 v8, v48, v2, v8 op_sel:[0,1,0] op_sel_hi:[1,1,0]
	s_delay_alu instid0(VALU_DEP_1) | instskip(NEXT) | instid1(VALU_DEP_1)
	;; [unrolled: 3-line block ×3, first 2 shown]
	v_fma_mixlo_f16 v8, v8, v14, 0 op_sel_hi:[0,1,0]
	v_add_f16_e32 v49, v7, v8
	v_fma_mix_f32 v7, v19, v0, 0 op_sel_hi:[1,1,0]
	s_delay_alu instid0(VALU_DEP_1) | instskip(NEXT) | instid1(VALU_DEP_1)
	v_fma_mix_f32 v7, v31, v0, v7 op_sel:[0,1,0] op_sel_hi:[1,1,0]
	v_fma_mix_f32 v7, v50, v1, v7 op_sel_hi:[1,1,0]
	s_delay_alu instid0(VALU_DEP_1) | instskip(NEXT) | instid1(VALU_DEP_1)
	v_fma_mix_f32 v7, v52, v1, v7 op_sel:[0,1,0] op_sel_hi:[1,1,0]
	;; [unrolled: 3-line block ×4, first 2 shown]
	v_fma_mixlo_f16 v7, v7, v21, 0 op_sel_hi:[0,1,0]
	s_delay_alu instid0(VALU_DEP_1) | instskip(SKIP_1) | instid1(VALU_DEP_1)
	v_add_f16_e32 v50, v6, v7
	v_fma_mix_f32 v6, v30, v0, 0 op_sel_hi:[1,1,0]
	v_fma_mix_f32 v6, v55, v0, v6 op_sel:[0,1,0] op_sel_hi:[1,1,0]
	s_delay_alu instid0(VALU_DEP_1) | instskip(NEXT) | instid1(VALU_DEP_1)
	v_fma_mix_f32 v6, v57, v1, v6 op_sel_hi:[1,1,0]
	v_fma_mix_f32 v6, v60, v1, v6 op_sel:[0,1,0] op_sel_hi:[1,1,0]
	s_delay_alu instid0(VALU_DEP_1) | instskip(NEXT) | instid1(VALU_DEP_1)
	;; [unrolled: 3-line block ×4, first 2 shown]
	v_fma_mixlo_f16 v6, v6, v15, 0 op_sel_hi:[0,1,0]
	v_add_f16_e32 v48, v5, v6
	v_fma_mix_f32 v5, v66, v0, 0 op_sel_hi:[1,1,0]
	s_delay_alu instid0(VALU_DEP_1) | instskip(NEXT) | instid1(VALU_DEP_1)
	v_fma_mix_f32 v0, v65, v0, v5 op_sel:[0,1,0] op_sel_hi:[1,1,0]
	v_fma_mix_f32 v0, v63, v1, v0 op_sel_hi:[1,1,0]
	s_delay_alu instid0(VALU_DEP_1) | instskip(NEXT) | instid1(VALU_DEP_1)
	v_fma_mix_f32 v0, v62, v1, v0 op_sel:[0,1,0] op_sel_hi:[1,1,0]
	;; [unrolled: 3-line block ×4, first 2 shown]
	v_fma_mixlo_f16 v0, v0, v24, 0 op_sel_hi:[0,1,0]
	s_delay_alu instid0(VALU_DEP_1)
	v_add_f16_e32 v51, v4, v0
	s_cbranch_scc1 .LBB34_18
.LBB34_16:                              ; =>This Inner Loop Header: Depth=1
	s_cmp_lg_u32 s15, s4
	s_cbranch_scc1 .LBB34_15
; %bb.17:                               ;   in Loop: Header=BB34_16 Depth=1
	s_add_i32 s18, s18, 1
	s_add_i32 s4, s4, s14
	s_mul_i32 s5, s18, s16
	s_delay_alu instid0(SALU_CYCLE_1) | instskip(SKIP_2) | instid1(SALU_CYCLE_1)
	s_ashr_i32 s17, s5, 31
	v_add_nc_u32_e32 v0, s5, v12
	s_lshr_b32 s17, s17, 30
	s_add_i32 s5, s5, s17
	s_delay_alu instid0(VALU_DEP_1) | instskip(SKIP_1) | instid1(SALU_CYCLE_1)
	v_ashrrev_i32_e32 v1, 31, v0
	s_ashr_i32 s5, s5, 2
	v_add_nc_u32_e32 v2, s5, v20
	s_delay_alu instid0(VALU_DEP_2) | instskip(NEXT) | instid1(VALU_DEP_2)
	v_lshlrev_b64 v[0:1], 1, v[0:1]
	v_ashrrev_i32_e32 v3, 31, v2
	s_delay_alu instid0(VALU_DEP_2) | instskip(NEXT) | instid1(VALU_DEP_2)
	v_add_co_u32 v0, vcc_lo, s8, v0
	v_lshlrev_b64 v[2:3], 2, v[2:3]
	s_delay_alu instid0(VALU_DEP_4) | instskip(NEXT) | instid1(VALU_DEP_2)
	v_add_co_ci_u32_e32 v1, vcc_lo, s9, v1, vcc_lo
	v_add_co_u32 v2, vcc_lo, s6, v2
	s_delay_alu instid0(VALU_DEP_3)
	v_add_co_ci_u32_e32 v3, vcc_lo, s7, v3, vcc_lo
	global_load_b64 v[14:15], v[0:1], off
	global_load_b32 v0, v[2:3], off
	s_waitcnt vmcnt(1)
	v_lshrrev_b32_e32 v21, 16, v14
	s_waitcnt vmcnt(0)
	v_and_b32_e32 v22, 0xff, v0
	v_bfe_u32 v23, v0, 8, 8
	v_bfe_u32 v25, v0, 16, 8
	v_lshrrev_b32_e32 v26, 24, v0
	v_lshrrev_b32_e32 v24, 16, v15
	s_branch .LBB34_15
.LBB34_18:
	v_mad_u64_u32 v[0:1], null, s12, s16, v[12:13]
	v_perm_b32 v5, v35, v34, 0x5040100
	s_mov_b32 s0, 0
	s_delay_alu instid0(VALU_DEP_2) | instskip(NEXT) | instid1(VALU_DEP_1)
	v_ashrrev_i32_e32 v1, 31, v0
	v_lshlrev_b64 v[1:2], 1, v[0:1]
	s_delay_alu instid0(VALU_DEP_1) | instskip(NEXT) | instid1(VALU_DEP_2)
	v_add_co_u32 v1, vcc_lo, s10, v1
	v_add_co_ci_u32_e32 v2, vcc_lo, s11, v2, vcc_lo
	global_load_b32 v4, v[1:2], off
.LBB34_19:                              ; =>This Inner Loop Header: Depth=1
	s_waitcnt vmcnt(0)
	v_pk_add_f16 v3, v5, v4
	global_atomic_cmpswap_b32 v3, v[1:2], v[3:4], off glc
	s_waitcnt vmcnt(0)
	v_cmp_eq_u32_e32 vcc_lo, v4, v3
	v_mov_b32_e32 v4, v3
	s_or_b32 s0, vcc_lo, s0
	s_delay_alu instid0(SALU_CYCLE_1)
	s_and_not1_b32 exec_lo, exec_lo, s0
	s_cbranch_execnz .LBB34_19
; %bb.20:
	s_or_b32 exec_lo, exec_lo, s0
	global_load_b32 v4, v[1:2], off offset:4
	v_perm_b32 v5, v32, v33, 0x5040100
	s_mov_b32 s0, 0
.LBB34_21:                              ; =>This Inner Loop Header: Depth=1
	s_waitcnt vmcnt(0)
	s_delay_alu instid0(VALU_DEP_1)
	v_pk_add_f16 v3, v5, v4
	global_atomic_cmpswap_b32 v3, v[1:2], v[3:4], off offset:4 glc
	s_waitcnt vmcnt(0)
	v_cmp_eq_u32_e32 vcc_lo, v4, v3
	v_mov_b32_e32 v4, v3
	s_or_b32 s0, vcc_lo, s0
	s_delay_alu instid0(SALU_CYCLE_1)
	s_and_not1_b32 exec_lo, exec_lo, s0
	s_cbranch_execnz .LBB34_21
; %bb.22:
	s_or_b32 exec_lo, exec_lo, s0
	v_add_nc_u32_e32 v0, s16, v0
	v_perm_b32 v5, v38, v39, 0x5040100
	s_mov_b32 s0, 0
	s_delay_alu instid0(VALU_DEP_2) | instskip(NEXT) | instid1(VALU_DEP_1)
	v_ashrrev_i32_e32 v1, 31, v0
	v_lshlrev_b64 v[1:2], 1, v[0:1]
	s_delay_alu instid0(VALU_DEP_1) | instskip(NEXT) | instid1(VALU_DEP_2)
	v_add_co_u32 v1, vcc_lo, s10, v1
	v_add_co_ci_u32_e32 v2, vcc_lo, s11, v2, vcc_lo
	global_load_b32 v4, v[1:2], off
.LBB34_23:                              ; =>This Inner Loop Header: Depth=1
	s_waitcnt vmcnt(0)
	v_pk_add_f16 v3, v5, v4
	global_atomic_cmpswap_b32 v3, v[1:2], v[3:4], off glc
	s_waitcnt vmcnt(0)
	v_cmp_eq_u32_e32 vcc_lo, v4, v3
	v_mov_b32_e32 v4, v3
	s_or_b32 s0, vcc_lo, s0
	s_delay_alu instid0(SALU_CYCLE_1)
	s_and_not1_b32 exec_lo, exec_lo, s0
	s_cbranch_execnz .LBB34_23
; %bb.24:
	s_or_b32 exec_lo, exec_lo, s0
	global_load_b32 v4, v[1:2], off offset:4
	v_perm_b32 v5, v36, v37, 0x5040100
	s_mov_b32 s0, 0
.LBB34_25:                              ; =>This Inner Loop Header: Depth=1
	s_waitcnt vmcnt(0)
	s_delay_alu instid0(VALU_DEP_1)
	v_pk_add_f16 v3, v5, v4
	global_atomic_cmpswap_b32 v3, v[1:2], v[3:4], off offset:4 glc
	s_waitcnt vmcnt(0)
	v_cmp_eq_u32_e32 vcc_lo, v4, v3
	v_mov_b32_e32 v4, v3
	s_or_b32 s0, vcc_lo, s0
	s_delay_alu instid0(SALU_CYCLE_1)
	s_and_not1_b32 exec_lo, exec_lo, s0
	s_cbranch_execnz .LBB34_25
; %bb.26:
	s_or_b32 exec_lo, exec_lo, s0
	v_add_nc_u32_e32 v0, s16, v0
	;; [unrolled: 40-line block ×4, first 2 shown]
	v_perm_b32 v4, v50, v49, 0x5040100
	s_mov_b32 s0, 0
	s_delay_alu instid0(VALU_DEP_2) | instskip(NEXT) | instid1(VALU_DEP_1)
	v_ashrrev_i32_e32 v1, 31, v0
	v_lshlrev_b64 v[0:1], 1, v[0:1]
	s_delay_alu instid0(VALU_DEP_1) | instskip(NEXT) | instid1(VALU_DEP_2)
	v_add_co_u32 v0, vcc_lo, s10, v0
	v_add_co_ci_u32_e32 v1, vcc_lo, s11, v1, vcc_lo
	global_load_b32 v3, v[0:1], off
.LBB34_35:                              ; =>This Inner Loop Header: Depth=1
	s_waitcnt vmcnt(0)
	v_pk_add_f16 v2, v4, v3
	global_atomic_cmpswap_b32 v2, v[0:1], v[2:3], off glc
	s_waitcnt vmcnt(0)
	v_cmp_eq_u32_e32 vcc_lo, v3, v2
	v_mov_b32_e32 v3, v2
	s_or_b32 s0, vcc_lo, s0
	s_delay_alu instid0(SALU_CYCLE_1)
	s_and_not1_b32 exec_lo, exec_lo, s0
	s_cbranch_execnz .LBB34_35
; %bb.36:
	s_or_b32 exec_lo, exec_lo, s0
	global_load_b32 v3, v[0:1], off offset:4
	v_perm_b32 v4, v51, v48, 0x5040100
	s_mov_b32 s0, 0
.LBB34_37:                              ; =>This Inner Loop Header: Depth=1
	s_waitcnt vmcnt(0)
	s_delay_alu instid0(VALU_DEP_1)
	v_pk_add_f16 v2, v4, v3
	global_atomic_cmpswap_b32 v2, v[0:1], v[2:3], off offset:4 glc
	s_waitcnt vmcnt(0)
	v_cmp_eq_u32_e32 vcc_lo, v3, v2
	v_mov_b32_e32 v3, v2
	s_or_b32 s0, vcc_lo, s0
	s_delay_alu instid0(SALU_CYCLE_1)
	s_and_not1_b32 exec_lo, exec_lo, s0
	s_cbranch_execnz .LBB34_37
.LBB34_38:
	s_endpgm
	.section	.rodata,"a",@progbits
	.p2align	6, 0x0
	.amdhsa_kernel _ZN4vllm4gptq33gemm_half_q_half_gptq_8bit_kernelILb1ELi5EEEvPK6__halfPKjS6_S4_PS2_iiiibPKi
		.amdhsa_group_segment_fixed_size 1280
		.amdhsa_private_segment_fixed_size 0
		.amdhsa_kernarg_size 72
		.amdhsa_user_sgpr_count 13
		.amdhsa_user_sgpr_dispatch_ptr 0
		.amdhsa_user_sgpr_queue_ptr 0
		.amdhsa_user_sgpr_kernarg_segment_ptr 1
		.amdhsa_user_sgpr_dispatch_id 0
		.amdhsa_user_sgpr_private_segment_size 0
		.amdhsa_wavefront_size32 1
		.amdhsa_uses_dynamic_stack 0
		.amdhsa_enable_private_segment 0
		.amdhsa_system_sgpr_workgroup_id_x 1
		.amdhsa_system_sgpr_workgroup_id_y 1
		.amdhsa_system_sgpr_workgroup_id_z 1
		.amdhsa_system_sgpr_workgroup_info 0
		.amdhsa_system_vgpr_workitem_id 0
		.amdhsa_next_free_vgpr 95
		.amdhsa_next_free_sgpr 24
		.amdhsa_reserve_vcc 1
		.amdhsa_float_round_mode_32 0
		.amdhsa_float_round_mode_16_64 0
		.amdhsa_float_denorm_mode_32 3
		.amdhsa_float_denorm_mode_16_64 3
		.amdhsa_dx10_clamp 1
		.amdhsa_ieee_mode 1
		.amdhsa_fp16_overflow 0
		.amdhsa_workgroup_processor_mode 1
		.amdhsa_memory_ordered 1
		.amdhsa_forward_progress 0
		.amdhsa_shared_vgpr_count 0
		.amdhsa_exception_fp_ieee_invalid_op 0
		.amdhsa_exception_fp_denorm_src 0
		.amdhsa_exception_fp_ieee_div_zero 0
		.amdhsa_exception_fp_ieee_overflow 0
		.amdhsa_exception_fp_ieee_underflow 0
		.amdhsa_exception_fp_ieee_inexact 0
		.amdhsa_exception_int_div_zero 0
	.end_amdhsa_kernel
	.section	.text._ZN4vllm4gptq33gemm_half_q_half_gptq_8bit_kernelILb1ELi5EEEvPK6__halfPKjS6_S4_PS2_iiiibPKi,"axG",@progbits,_ZN4vllm4gptq33gemm_half_q_half_gptq_8bit_kernelILb1ELi5EEEvPK6__halfPKjS6_S4_PS2_iiiibPKi,comdat
.Lfunc_end34:
	.size	_ZN4vllm4gptq33gemm_half_q_half_gptq_8bit_kernelILb1ELi5EEEvPK6__halfPKjS6_S4_PS2_iiiibPKi, .Lfunc_end34-_ZN4vllm4gptq33gemm_half_q_half_gptq_8bit_kernelILb1ELi5EEEvPK6__halfPKjS6_S4_PS2_iiiibPKi
                                        ; -- End function
	.section	.AMDGPU.csdata,"",@progbits
; Kernel info:
; codeLenInByte = 13500
; NumSgprs: 26
; NumVgprs: 95
; ScratchSize: 0
; MemoryBound: 0
; FloatMode: 240
; IeeeMode: 1
; LDSByteSize: 1280 bytes/workgroup (compile time only)
; SGPRBlocks: 3
; VGPRBlocks: 11
; NumSGPRsForWavesPerEU: 26
; NumVGPRsForWavesPerEU: 95
; Occupancy: 16
; WaveLimiterHint : 0
; COMPUTE_PGM_RSRC2:SCRATCH_EN: 0
; COMPUTE_PGM_RSRC2:USER_SGPR: 13
; COMPUTE_PGM_RSRC2:TRAP_HANDLER: 0
; COMPUTE_PGM_RSRC2:TGID_X_EN: 1
; COMPUTE_PGM_RSRC2:TGID_Y_EN: 1
; COMPUTE_PGM_RSRC2:TGID_Z_EN: 1
; COMPUTE_PGM_RSRC2:TIDIG_COMP_CNT: 0
	.section	.text._ZN4vllm4gptq33gemm_half_q_half_gptq_2bit_kernelILb1ELi6EEEvPK6__halfPKjS6_S4_PS2_iiiibPKi,"axG",@progbits,_ZN4vllm4gptq33gemm_half_q_half_gptq_2bit_kernelILb1ELi6EEEvPK6__halfPKjS6_S4_PS2_iiiibPKi,comdat
	.protected	_ZN4vllm4gptq33gemm_half_q_half_gptq_2bit_kernelILb1ELi6EEEvPK6__halfPKjS6_S4_PS2_iiiibPKi ; -- Begin function _ZN4vllm4gptq33gemm_half_q_half_gptq_2bit_kernelILb1ELi6EEEvPK6__halfPKjS6_S4_PS2_iiiibPKi
	.globl	_ZN4vllm4gptq33gemm_half_q_half_gptq_2bit_kernelILb1ELi6EEEvPK6__halfPKjS6_S4_PS2_iiiibPKi
	.p2align	8
	.type	_ZN4vllm4gptq33gemm_half_q_half_gptq_2bit_kernelILb1ELi6EEEvPK6__halfPKjS6_S4_PS2_iiiibPKi,@function
_ZN4vllm4gptq33gemm_half_q_half_gptq_2bit_kernelILb1ELi6EEEvPK6__halfPKjS6_S4_PS2_iiiibPKi: ; @_ZN4vllm4gptq33gemm_half_q_half_gptq_2bit_kernelILb1ELi6EEEvPK6__halfPKjS6_S4_PS2_iiiibPKi
; %bb.0:
	s_load_b128 s[16:19], s[0:1], 0x2c
	s_lshl_b32 s15, s15, 7
	s_load_b256 s[4:11], s[0:1], 0x8
	s_add_i32 s2, s15, 0x80
	s_mul_i32 s12, s14, 6
	v_cvt_f64_u32_e32 v[1:2], s2
	s_mov_b32 s14, exec_lo
	s_waitcnt lgkmcnt(0)
	v_cvt_f64_i32_e32 v[3:4], s17
	s_delay_alu instid0(VALU_DEP_1) | instskip(NEXT) | instid1(VALU_DEP_1)
	v_min_f64 v[1:2], v[1:2], v[3:4]
	v_cvt_i32_f64_e32 v2, v[1:2]
	v_add_nc_u32_e32 v1, s15, v0
	s_delay_alu instid0(VALU_DEP_2) | instskip(NEXT) | instid1(VALU_DEP_2)
	v_readfirstlane_b32 s20, v2
	v_cmpx_lt_u32_e64 v1, v2
	s_cbranch_execz .LBB35_14
; %bb.1:
	s_clause 0x1
	s_load_b64 s[2:3], s[0:1], 0x40
	s_load_b64 s[0:1], s[0:1], 0x0
	v_mov_b32_e32 v2, 0
	s_delay_alu instid0(VALU_DEP_1) | instskip(SKIP_2) | instid1(VALU_DEP_2)
	v_lshlrev_b64 v[3:4], 2, v[1:2]
	v_dual_mov_b32 v6, v2 :: v_dual_mov_b32 v5, v1
	s_waitcnt lgkmcnt(0)
	v_add_co_u32 v3, vcc_lo, s2, v3
	s_delay_alu instid0(VALU_DEP_3)
	v_add_co_ci_u32_e32 v4, vcc_lo, s3, v4, vcc_lo
	s_cmp_lg_u64 s[2:3], 0
	s_cselect_b32 s21, -1, 0
	s_cmp_eq_u64 s[2:3], 0
	s_cbranch_scc1 .LBB35_3
; %bb.2:
	global_load_b32 v5, v[3:4], off
	s_waitcnt vmcnt(0)
	v_ashrrev_i32_e32 v6, 31, v5
.LBB35_3:
	s_mul_i32 s2, s12, s17
	s_delay_alu instid0(VALU_DEP_1)
	v_lshlrev_b64 v[5:6], 1, v[5:6]
	s_ashr_i32 s3, s2, 31
	v_lshlrev_b32_e32 v7, 1, v0
	s_lshl_b64 s[22:23], s[2:3], 1
	v_cndmask_b32_e64 v8, 0, 1, s21
	s_add_u32 s3, s0, s22
	s_addc_u32 s22, s1, s23
	v_add_co_u32 v5, vcc_lo, s3, v5
	v_add_co_ci_u32_e32 v6, vcc_lo, s22, v6, vcc_lo
	s_and_not1_b32 vcc_lo, exec_lo, s21
	global_load_u16 v9, v[5:6], off
	v_dual_mov_b32 v6, v2 :: v_dual_mov_b32 v5, v1
	s_waitcnt vmcnt(0)
	ds_store_b16 v7, v9
	s_cbranch_vccnz .LBB35_5
; %bb.4:
	global_load_b32 v5, v[3:4], off
	s_waitcnt vmcnt(0)
	v_ashrrev_i32_e32 v6, 31, v5
.LBB35_5:
	s_add_i32 s2, s2, s17
	s_delay_alu instid0(VALU_DEP_1) | instskip(SKIP_1) | instid1(SALU_CYCLE_1)
	v_lshlrev_b64 v[5:6], 1, v[5:6]
	s_ashr_i32 s3, s2, 31
	s_lshl_b64 s[22:23], s[2:3], 1
	s_delay_alu instid0(SALU_CYCLE_1) | instskip(SKIP_1) | instid1(VALU_DEP_1)
	s_add_u32 s3, s0, s22
	s_addc_u32 s21, s1, s23
	v_add_co_u32 v5, vcc_lo, s3, v5
	v_add_co_ci_u32_e32 v6, vcc_lo, s21, v6, vcc_lo
	v_cmp_ne_u32_e32 vcc_lo, 1, v8
	global_load_u16 v9, v[5:6], off
	v_dual_mov_b32 v6, v2 :: v_dual_mov_b32 v5, v1
	s_waitcnt vmcnt(0)
	ds_store_b16 v7, v9 offset:256
	s_cbranch_vccnz .LBB35_7
; %bb.6:
	global_load_b32 v5, v[3:4], off
	s_waitcnt vmcnt(0)
	v_ashrrev_i32_e32 v6, 31, v5
.LBB35_7:
	s_add_i32 s2, s2, s17
	s_delay_alu instid0(VALU_DEP_1) | instskip(SKIP_1) | instid1(SALU_CYCLE_1)
	v_lshlrev_b64 v[5:6], 1, v[5:6]
	s_ashr_i32 s3, s2, 31
	s_lshl_b64 s[22:23], s[2:3], 1
	s_delay_alu instid0(SALU_CYCLE_1) | instskip(SKIP_1) | instid1(VALU_DEP_1)
	s_add_u32 s3, s0, s22
	s_addc_u32 s21, s1, s23
	v_add_co_u32 v5, vcc_lo, s3, v5
	v_add_co_ci_u32_e32 v6, vcc_lo, s21, v6, vcc_lo
	v_cmp_ne_u32_e32 vcc_lo, 1, v8
	global_load_u16 v9, v[5:6], off
	v_dual_mov_b32 v6, v2 :: v_dual_mov_b32 v5, v1
	s_waitcnt vmcnt(0)
	ds_store_b16 v7, v9 offset:512
	;; [unrolled: 21-line block ×3, first 2 shown]
	s_cbranch_vccnz .LBB35_11
; %bb.10:
	global_load_b32 v5, v[3:4], off
	s_waitcnt vmcnt(0)
	v_ashrrev_i32_e32 v6, 31, v5
.LBB35_11:
	s_add_i32 s2, s2, s17
	s_delay_alu instid0(VALU_DEP_1) | instskip(SKIP_1) | instid1(SALU_CYCLE_1)
	v_lshlrev_b64 v[5:6], 1, v[5:6]
	s_ashr_i32 s3, s2, 31
	s_lshl_b64 s[22:23], s[2:3], 1
	s_delay_alu instid0(SALU_CYCLE_1) | instskip(SKIP_1) | instid1(VALU_DEP_1)
	s_add_u32 s3, s0, s22
	s_addc_u32 s21, s1, s23
	v_add_co_u32 v5, vcc_lo, s3, v5
	v_add_co_ci_u32_e32 v6, vcc_lo, s21, v6, vcc_lo
	v_cmp_ne_u32_e32 vcc_lo, 1, v8
	global_load_u16 v5, v[5:6], off
	s_waitcnt vmcnt(0)
	ds_store_b16 v7, v5 offset:1024
	s_cbranch_vccnz .LBB35_13
; %bb.12:
	global_load_b32 v1, v[3:4], off
	s_waitcnt vmcnt(0)
	v_ashrrev_i32_e32 v2, 31, v1
.LBB35_13:
	s_add_i32 s2, s2, s17
	s_delay_alu instid0(VALU_DEP_1) | instskip(SKIP_1) | instid1(SALU_CYCLE_1)
	v_lshlrev_b64 v[1:2], 1, v[1:2]
	s_ashr_i32 s3, s2, 31
	s_lshl_b64 s[2:3], s[2:3], 1
	s_delay_alu instid0(SALU_CYCLE_1) | instskip(SKIP_1) | instid1(VALU_DEP_1)
	s_add_u32 s0, s0, s2
	s_addc_u32 s1, s1, s3
	v_add_co_u32 v1, vcc_lo, s0, v1
	v_add_co_ci_u32_e32 v2, vcc_lo, s1, v2, vcc_lo
	global_load_u16 v1, v[1:2], off
	s_waitcnt vmcnt(0)
	ds_store_b16 v7, v1 offset:1280
.LBB35_14:
	s_or_b32 exec_lo, exec_lo, s14
	v_lshlrev_b32_e32 v1, 2, v0
	s_mov_b32 s0, exec_lo
	s_delay_alu instid0(VALU_DEP_1) | instskip(NEXT) | instid1(VALU_DEP_1)
	v_lshl_add_u32 v1, s13, 9, v1
	v_cmpx_gt_i32_e64 s16, v1
	s_cbranch_execz .LBB35_44
; %bb.15:
	s_abs_i32 s0, s18
	v_dual_mov_b32 v19, 0 :: v_dual_mov_b32 v16, 0
	v_cvt_f32_u32_e32 v2, s0
	v_dual_mov_b32 v15, 0 :: v_dual_mov_b32 v14, 0
	v_dual_mov_b32 v13, 0 :: v_dual_mov_b32 v12, 0
	s_delay_alu instid0(VALU_DEP_3)
	v_rcp_iflag_f32_e32 v2, v2
	v_mov_b32_e32 v17, 0
	v_dual_mov_b32 v11, 0 :: v_dual_mov_b32 v10, 0
	v_dual_mov_b32 v9, 0 :: v_dual_mov_b32 v8, 0
	v_mov_b32_e32 v7, 0
	s_cmp_ge_i32 s15, s20
	s_mov_b32 s2, 0
	s_waitcnt lgkmcnt(0)
	s_waitcnt_depctr 0xfff
	v_mul_f32_e32 v2, 0x4f7ffffe, v2
	s_barrier
	buffer_gl0_inv
	v_cvt_u32_f32_e32 v2, v2
	s_delay_alu instid0(VALU_DEP_1)
	v_readfirstlane_b32 s1, v2
	s_cbranch_scc1 .LBB35_20
; %bb.16:
	s_sub_i32 s3, 0, s0
	s_abs_i32 s13, s17
	s_delay_alu instid0(VALU_DEP_1)
	s_mul_i32 s3, s3, s1
	s_ashr_i32 s14, s18, 31
	s_mul_hi_u32 s3, s1, s3
	v_dual_mov_b32 v7, 0 :: v_dual_lshlrev_b32 v20, 3, v0
	s_add_i32 s1, s1, s3
	s_ashr_i32 s3, s17, 31
	s_mul_hi_u32 s1, s13, s1
	s_xor_b32 s3, s3, s14
	s_mul_i32 s17, s1, s0
	s_add_i32 s14, s1, 1
	s_sub_i32 s13, s13, s17
	v_dual_mov_b32 v15, 0 :: v_dual_and_b32 v0, 24, v20
	s_sub_i32 s17, s13, s0
	s_cmp_ge_u32 s13, s0
	v_dual_mov_b32 v9, 0 :: v_dual_mov_b32 v12, 0
	s_cselect_b32 s1, s14, s1
	s_cselect_b32 s13, s17, s13
	s_add_i32 s14, s1, 1
	s_cmp_ge_u32 s13, s0
	v_dual_mov_b32 v11, 0 :: v_dual_mov_b32 v14, 0
	s_cselect_b32 s0, s14, s1
	v_dual_mov_b32 v13, 0 :: v_dual_mov_b32 v16, 0
	s_xor_b32 s0, s0, s3
	v_mov_b32_e32 v17, 0
	s_sub_i32 s3, s0, s3
	s_bitcmp1_b32 s19, 0
	v_cvt_f32_u32_e32 v2, s3
	s_cselect_b32 s1, -1, 0
	s_sub_i32 s13, 0, s3
	s_xor_b32 s1, s1, -1
	v_mov_b32_e32 v10, 0
	v_rcp_iflag_f32_e32 v2, v2
	v_mov_b32_e32 v8, 0
	s_waitcnt_depctr 0xfff
	v_mul_f32_e32 v2, 0x4f7ffffe, v2
	s_delay_alu instid0(VALU_DEP_1) | instskip(NEXT) | instid1(VALU_DEP_1)
	v_cvt_u32_f32_e32 v2, v2
	v_readfirstlane_b32 s0, v2
	v_ashrrev_i32_e32 v2, 31, v1
	s_delay_alu instid0(VALU_DEP_2) | instskip(NEXT) | instid1(VALU_DEP_1)
	s_mul_i32 s13, s13, s0
	v_lshrrev_b32_e32 v3, 28, v2
	s_mul_hi_u32 s13, s0, s13
	s_delay_alu instid0(SALU_CYCLE_1) | instskip(NEXT) | instid1(VALU_DEP_1)
	s_add_i32 s0, s0, s13
	v_add_nc_u32_e32 v3, v1, v3
	s_mul_hi_u32 s0, s15, s0
	s_delay_alu instid0(SALU_CYCLE_1)
	s_mul_i32 s13, s0, s3
	s_add_i32 s14, s0, 1
	s_sub_i32 s13, s15, s13
	v_ashrrev_i32_e32 v18, 4, v3
	s_sub_i32 s17, s13, s3
	s_cmp_ge_u32 s13, s3
	s_cselect_b32 s0, s14, s0
	s_cselect_b32 s13, s17, s13
	s_add_i32 s14, s0, 1
	s_cmp_ge_u32 s13, s3
	s_cselect_b32 s13, s14, s0
	s_add_i32 s18, s3, s15
	s_mul_i32 s0, s13, s16
	s_ashr_i32 s17, s16, 31
	s_ashr_i32 s14, s0, 31
	v_add_nc_u32_e32 v5, s0, v1
	s_lshr_b32 s14, s14, 28
	s_delay_alu instid0(SALU_CYCLE_1)
	s_add_i32 s14, s0, s14
	s_lshr_b32 s0, s15, 4
	s_ashr_i32 s14, s14, 4
	v_ashrrev_i32_e32 v6, 31, v5
	v_add_nc_u32_e32 v3, s14, v18
	s_mul_i32 s0, s0, s16
	s_mov_b32 s14, 0x30003
	s_delay_alu instid0(VALU_DEP_1) | instskip(NEXT) | instid1(VALU_DEP_1)
	v_ashrrev_i32_e32 v4, 31, v3
	v_lshlrev_b64 v[3:4], 2, v[3:4]
	s_delay_alu instid0(VALU_DEP_1) | instskip(NEXT) | instid1(VALU_DEP_2)
	v_add_co_u32 v3, vcc_lo, s6, v3
	v_add_co_ci_u32_e32 v4, vcc_lo, s7, v4, vcc_lo
	global_load_b32 v19, v[3:4], off
	v_lshlrev_b64 v[3:4], 1, v[5:6]
	v_lshlrev_b64 v[5:6], 2, v[1:2]
	v_cndmask_b32_e64 v2, 0, 1, s1
	s_ashr_i32 s1, s0, 31
	s_delay_alu instid0(SALU_CYCLE_1) | instskip(NEXT) | instid1(VALU_DEP_3)
	s_lshl_b64 s[0:1], s[0:1], 2
	v_add_co_u32 v3, vcc_lo, s8, v3
	v_add_co_ci_u32_e32 v4, vcc_lo, s9, v4, vcc_lo
	s_add_u32 s4, s4, s0
	s_addc_u32 s5, s5, s1
	v_add_co_u32 v5, vcc_lo, s4, v5
	global_load_b64 v[3:4], v[3:4], off
	v_add_co_ci_u32_e32 v6, vcc_lo, s5, v6, vcc_lo
	v_add_co_u32 v5, vcc_lo, v5, 8
	s_lshl_b64 s[0:1], s[16:17], 2
	s_delay_alu instid0(VALU_DEP_2)
	v_add_co_ci_u32_e32 v6, vcc_lo, 0, v6, vcc_lo
	s_mov_b32 s4, 0xc000c
	s_mov_b32 s5, 0x300030
	;; [unrolled: 1-line block ×3, first 2 shown]
	s_waitcnt vmcnt(1)
	v_lshrrev_b32_e32 v23, v20, v19
	v_bfe_u32 v20, v19, v0, 2
	v_mov_b32_e32 v19, 0
	s_delay_alu instid0(VALU_DEP_3)
	v_bfe_u32 v21, v23, 2, 2
	v_bfe_u32 v22, v23, 4, 2
	;; [unrolled: 1-line block ×3, first 2 shown]
	s_branch .LBB35_18
.LBB35_17:                              ;   in Loop: Header=BB35_18 Depth=1
	v_add_nc_u32_e32 v24, v20, v2
	v_mov_b32_e32 v64, s2
	s_add_i32 s19, s2, 0x400
	s_add_i32 s15, s15, 16
	s_delay_alu instid0(VALU_DEP_2) | instskip(SKIP_1) | instid1(VALU_DEP_1)
	v_or_b32_e32 v28, 0xffffe400, v24
	v_cvt_f32_i32_e32 v24, v24
	v_cvt_f16_f32_e32 v24, v24
	s_delay_alu instid0(VALU_DEP_1) | instskip(SKIP_3) | instid1(VALU_DEP_1)
	v_sub_f16_e32 v29, 0xdc00, v24
	v_sub_f16_e32 v30, 0xd400, v24
	;; [unrolled: 1-line block ×3, first 2 shown]
	v_add_nc_u32_e32 v24, v21, v2
	v_or_b32_e32 v32, 0xffffe400, v24
	v_cvt_f32_i32_e32 v24, v24
	s_delay_alu instid0(VALU_DEP_1) | instskip(NEXT) | instid1(VALU_DEP_1)
	v_cvt_f16_f32_e32 v24, v24
	v_sub_f16_e32 v33, 0xdc00, v24
	v_sub_f16_e32 v34, 0xd400, v24
	;; [unrolled: 1-line block ×3, first 2 shown]
	v_add_nc_u32_e32 v24, v22, v2
	s_delay_alu instid0(VALU_DEP_1) | instskip(SKIP_1) | instid1(VALU_DEP_1)
	v_or_b32_e32 v36, 0xffffe400, v24
	v_cvt_f32_i32_e32 v24, v24
	v_cvt_f16_f32_e32 v24, v24
	s_delay_alu instid0(VALU_DEP_1) | instskip(SKIP_3) | instid1(VALU_DEP_1)
	v_sub_f16_e32 v37, 0xdc00, v24
	v_sub_f16_e32 v38, 0xd400, v24
	;; [unrolled: 1-line block ×3, first 2 shown]
	v_add_nc_u32_e32 v24, v23, v2
	v_or_b32_e32 v56, 0xffffe400, v24
	v_cvt_f32_i32_e32 v24, v24
	s_delay_alu instid0(VALU_DEP_1) | instskip(NEXT) | instid1(VALU_DEP_1)
	v_cvt_f16_f32_e32 v24, v24
	v_sub_f16_e32 v57, 0xdc00, v24
	v_sub_f16_e32 v58, 0xd400, v24
	;; [unrolled: 1-line block ×3, first 2 shown]
	global_load_b128 v[24:27], v[5:6], off offset:-8
	v_add_co_u32 v5, vcc_lo, v5, s0
	v_add_co_ci_u32_e32 v6, vcc_lo, s1, v6, vcc_lo
	s_waitcnt vmcnt(0)
	v_and_or_b32 v40, v24, s14, 0x64006400
	v_and_or_b32 v41, v24, s4, 0x64006400
	;; [unrolled: 1-line block ×4, first 2 shown]
	v_lshrrev_b32_e32 v24, 8, v24
	v_pk_add_f16 v55, v28, v40 op_sel_hi:[0,1]
	v_pk_fma_f16 v54, 0x3400, v41, v29 op_sel_hi:[0,1,0]
	v_and_or_b32 v40, v25, s17, 0x64006400
	v_pk_fma_f16 v52, 0x2400, v43, v31 op_sel_hi:[0,1,0]
	v_and_or_b32 v44, v24, s14, 0x64006400
	v_and_or_b32 v45, v24, s4, 0x64006400
	v_and_or_b32 v46, v24, s5, 0x64006400
	v_and_or_b32 v24, v24, s17, 0x64006400
	v_pk_fma_f16 v53, 0x2c00, v42, v30 op_sel_hi:[0,1,0]
	v_pk_add_f16 v51, v28, v44 op_sel_hi:[0,1]
	v_pk_fma_f16 v50, 0x3400, v45, v29 op_sel_hi:[0,1,0]
	v_and_or_b32 v28, v25, s4, 0x64006400
	v_pk_fma_f16 v31, 0x2400, v24, v31 op_sel_hi:[0,1,0]
	v_and_or_b32 v24, v25, s14, 0x64006400
	v_and_or_b32 v29, v25, s5, 0x64006400
	v_lshrrev_b32_e32 v25, 8, v25
	v_pk_fma_f16 v43, 0x3400, v28, v33 op_sel_hi:[0,1,0]
	v_and_or_b32 v28, v26, s5, 0x64006400
	v_pk_add_f16 v42, v32, v24 op_sel_hi:[0,1]
	v_pk_fma_f16 v44, 0x2c00, v29, v34 op_sel_hi:[0,1,0]
	v_and_or_b32 v41, v25, s14, 0x64006400
	v_and_or_b32 v47, v25, s4, 0x64006400
	;; [unrolled: 1-line block ×6, first 2 shown]
	v_pk_fma_f16 v30, 0x2c00, v46, v30 op_sel_hi:[0,1,0]
	v_pk_fma_f16 v45, 0x2400, v40, v35 op_sel_hi:[0,1,0]
	;; [unrolled: 1-line block ×3, first 2 shown]
	v_and_or_b32 v25, v26, s4, 0x64006400
	v_lshrrev_b32_e32 v26, 8, v26
	v_pk_add_f16 v46, v32, v41 op_sel_hi:[0,1]
	v_pk_fma_f16 v47, 0x3400, v47, v33 op_sel_hi:[0,1,0]
	v_pk_fma_f16 v48, 0x2c00, v48, v34 op_sel_hi:[0,1,0]
	v_pk_add_f16 v32, v36, v24 op_sel_hi:[0,1]
	v_and_or_b32 v40, v26, s14, 0x64006400
	v_and_or_b32 v41, v26, s4, 0x64006400
	;; [unrolled: 1-line block ×4, first 2 shown]
	v_pk_fma_f16 v33, 0x3400, v25, v37 op_sel_hi:[0,1,0]
	v_pk_fma_f16 v34, 0x2c00, v28, v38 op_sel_hi:[0,1,0]
	;; [unrolled: 1-line block ×3, first 2 shown]
	v_and_or_b32 v24, v27, s14, 0x64006400
	v_pk_fma_f16 v39, 0x2400, v26, v39 op_sel_hi:[0,1,0]
	v_and_or_b32 v25, v27, s4, 0x64006400
	v_and_or_b32 v26, v27, s5, 0x64006400
	;; [unrolled: 1-line block ×3, first 2 shown]
	v_lshrrev_b32_e32 v27, 8, v27
	v_pk_fma_f16 v38, 0x2c00, v60, v38 op_sel_hi:[0,1,0]
	v_pk_add_f16 v36, v36, v40 op_sel_hi:[0,1]
	v_pk_fma_f16 v37, 0x3400, v41, v37 op_sel_hi:[0,1,0]
	v_pk_add_f16 v40, v56, v24 op_sel_hi:[0,1]
	v_and_or_b32 v29, v27, s14, 0x64006400
	v_and_or_b32 v60, v27, s4, 0x64006400
	;; [unrolled: 1-line block ×4, first 2 shown]
	v_pk_fma_f16 v41, 0x3400, v25, v57 op_sel_hi:[0,1,0]
	v_pk_fma_f16 v24, 0x2c00, v26, v58 op_sel_hi:[0,1,0]
	v_pk_add_f16 v26, v56, v29 op_sel_hi:[0,1]
	v_pk_fma_f16 v27, 0x3400, v60, v57 op_sel_hi:[0,1,0]
	ds_load_2addr_b32 v[56:57], v64 offset1:1
	v_pk_fma_f16 v25, 0x2400, v28, v59 op_sel_hi:[0,1,0]
	v_pk_fma_f16 v28, 0x2c00, v61, v58 op_sel_hi:[0,1,0]
	;; [unrolled: 1-line block ×3, first 2 shown]
	s_waitcnt lgkmcnt(0)
	v_pk_fma_f16 v58, v55, v56, 0
	v_pk_fma_f16 v66, v42, v56, 0
	s_delay_alu instid0(VALU_DEP_2) | instskip(SKIP_4) | instid1(VALU_DEP_2)
	v_pk_fma_f16 v60, v54, v57, v58
	ds_load_2addr_b32 v[58:59], v64 offset0:2 offset1:3
	v_pk_fma_f16 v66, v43, v57, v66
	s_waitcnt lgkmcnt(0)
	v_pk_fma_f16 v60, v53, v58, v60
	v_pk_fma_f16 v66, v44, v58, v66
	s_delay_alu instid0(VALU_DEP_2) | instskip(SKIP_4) | instid1(VALU_DEP_2)
	v_pk_fma_f16 v62, v52, v59, v60
	ds_load_2addr_b32 v[60:61], v64 offset0:4 offset1:5
	v_pk_fma_f16 v66, v45, v59, v66
	s_waitcnt lgkmcnt(0)
	v_pk_fma_f16 v62, v51, v60, v62
	v_pk_fma_f16 v66, v46, v60, v66
	s_delay_alu instid0(VALU_DEP_2) | instskip(SKIP_4) | instid1(VALU_DEP_2)
	v_pk_fma_f16 v65, v50, v61, v62
	ds_load_2addr_b32 v[62:63], v64 offset0:6 offset1:7
	v_pk_fma_f16 v66, v47, v61, v66
	s_waitcnt lgkmcnt(0)
	v_pk_fma_f16 v65, v30, v62, v65
	v_pk_fma_f16 v66, v48, v62, v66
	s_delay_alu instid0(VALU_DEP_2) | instskip(NEXT) | instid1(VALU_DEP_2)
	v_pk_fma_f16 v65, v31, v63, v65
	v_pk_fma_f16 v66, v49, v63, v66
	s_delay_alu instid0(VALU_DEP_1) | instskip(SKIP_1) | instid1(VALU_DEP_1)
	v_pack_b32_f16 v67, v65, v66
	v_perm_b32 v65, v66, v65, 0x7060302
	v_pk_add_f16 v65, v67, v65
	s_delay_alu instid0(VALU_DEP_1) | instskip(SKIP_2) | instid1(VALU_DEP_2)
	v_pk_fma_f16 v19, v65, v3, v19
	v_pk_fma_f16 v65, v32, v56, 0
	v_pk_fma_f16 v56, v40, v56, 0
	v_pk_fma_f16 v65, v33, v57, v65
	s_delay_alu instid0(VALU_DEP_2) | instskip(NEXT) | instid1(VALU_DEP_2)
	v_pk_fma_f16 v56, v41, v57, v56
	v_pk_fma_f16 v65, v34, v58, v65
	s_delay_alu instid0(VALU_DEP_2) | instskip(NEXT) | instid1(VALU_DEP_2)
	v_pk_fma_f16 v56, v24, v58, v56
	v_pk_fma_f16 v65, v35, v59, v65
	s_delay_alu instid0(VALU_DEP_2) | instskip(NEXT) | instid1(VALU_DEP_2)
	v_pk_fma_f16 v56, v25, v59, v56
	v_pk_fma_f16 v65, v36, v60, v65
	s_delay_alu instid0(VALU_DEP_2) | instskip(NEXT) | instid1(VALU_DEP_2)
	v_pk_fma_f16 v56, v26, v60, v56
	v_pk_fma_f16 v65, v37, v61, v65
	s_delay_alu instid0(VALU_DEP_2) | instskip(NEXT) | instid1(VALU_DEP_2)
	v_pk_fma_f16 v56, v27, v61, v56
	v_pk_fma_f16 v65, v38, v62, v65
	s_delay_alu instid0(VALU_DEP_2) | instskip(NEXT) | instid1(VALU_DEP_2)
	v_pk_fma_f16 v56, v28, v62, v56
	v_pk_fma_f16 v65, v39, v63, v65
	s_delay_alu instid0(VALU_DEP_2) | instskip(NEXT) | instid1(VALU_DEP_1)
	v_pk_fma_f16 v56, v29, v63, v56
	v_pack_b32_f16 v57, v65, v56
	v_perm_b32 v56, v56, v65, 0x7060302
	s_delay_alu instid0(VALU_DEP_1) | instskip(NEXT) | instid1(VALU_DEP_1)
	v_pk_add_f16 v56, v57, v56
	v_pk_fma_f16 v17, v56, v4, v17
	ds_load_2addr_b32 v[56:57], v64 offset0:64 offset1:65
	s_waitcnt lgkmcnt(0)
	v_pk_fma_f16 v58, v55, v56, 0
	v_pk_fma_f16 v66, v42, v56, 0
	s_delay_alu instid0(VALU_DEP_2) | instskip(SKIP_4) | instid1(VALU_DEP_2)
	v_pk_fma_f16 v60, v54, v57, v58
	ds_load_2addr_b32 v[58:59], v64 offset0:66 offset1:67
	v_pk_fma_f16 v66, v43, v57, v66
	s_waitcnt lgkmcnt(0)
	v_pk_fma_f16 v60, v53, v58, v60
	v_pk_fma_f16 v66, v44, v58, v66
	s_delay_alu instid0(VALU_DEP_2) | instskip(SKIP_4) | instid1(VALU_DEP_2)
	v_pk_fma_f16 v62, v52, v59, v60
	ds_load_2addr_b32 v[60:61], v64 offset0:68 offset1:69
	v_pk_fma_f16 v66, v45, v59, v66
	s_waitcnt lgkmcnt(0)
	v_pk_fma_f16 v62, v51, v60, v62
	v_pk_fma_f16 v66, v46, v60, v66
	s_delay_alu instid0(VALU_DEP_2) | instskip(SKIP_4) | instid1(VALU_DEP_2)
	v_pk_fma_f16 v65, v50, v61, v62
	ds_load_2addr_b32 v[62:63], v64 offset0:70 offset1:71
	v_pk_fma_f16 v66, v47, v61, v66
	s_waitcnt lgkmcnt(0)
	v_pk_fma_f16 v65, v30, v62, v65
	v_pk_fma_f16 v66, v48, v62, v66
	s_delay_alu instid0(VALU_DEP_2) | instskip(NEXT) | instid1(VALU_DEP_2)
	v_pk_fma_f16 v65, v31, v63, v65
	v_pk_fma_f16 v66, v49, v63, v66
	s_delay_alu instid0(VALU_DEP_1) | instskip(SKIP_1) | instid1(VALU_DEP_1)
	v_pack_b32_f16 v67, v65, v66
	v_perm_b32 v65, v66, v65, 0x7060302
	v_pk_add_f16 v65, v67, v65
	s_delay_alu instid0(VALU_DEP_1) | instskip(SKIP_2) | instid1(VALU_DEP_2)
	v_pk_fma_f16 v16, v65, v3, v16
	v_pk_fma_f16 v65, v32, v56, 0
	v_pk_fma_f16 v56, v40, v56, 0
	v_pk_fma_f16 v65, v33, v57, v65
	s_delay_alu instid0(VALU_DEP_2) | instskip(NEXT) | instid1(VALU_DEP_2)
	v_pk_fma_f16 v56, v41, v57, v56
	v_pk_fma_f16 v65, v34, v58, v65
	s_delay_alu instid0(VALU_DEP_2) | instskip(NEXT) | instid1(VALU_DEP_2)
	v_pk_fma_f16 v56, v24, v58, v56
	v_pk_fma_f16 v65, v35, v59, v65
	s_delay_alu instid0(VALU_DEP_2) | instskip(NEXT) | instid1(VALU_DEP_2)
	v_pk_fma_f16 v56, v25, v59, v56
	v_pk_fma_f16 v65, v36, v60, v65
	s_delay_alu instid0(VALU_DEP_2) | instskip(NEXT) | instid1(VALU_DEP_2)
	v_pk_fma_f16 v56, v26, v60, v56
	v_pk_fma_f16 v65, v37, v61, v65
	s_delay_alu instid0(VALU_DEP_2) | instskip(NEXT) | instid1(VALU_DEP_2)
	v_pk_fma_f16 v56, v27, v61, v56
	v_pk_fma_f16 v65, v38, v62, v65
	s_delay_alu instid0(VALU_DEP_2) | instskip(NEXT) | instid1(VALU_DEP_2)
	v_pk_fma_f16 v56, v28, v62, v56
	v_pk_fma_f16 v65, v39, v63, v65
	s_delay_alu instid0(VALU_DEP_2) | instskip(NEXT) | instid1(VALU_DEP_1)
	v_pk_fma_f16 v56, v29, v63, v56
	v_pack_b32_f16 v57, v65, v56
	v_perm_b32 v56, v56, v65, 0x7060302
	s_delay_alu instid0(VALU_DEP_1) | instskip(NEXT) | instid1(VALU_DEP_1)
	v_pk_add_f16 v56, v57, v56
	v_pk_fma_f16 v15, v56, v4, v15
	ds_load_2addr_b32 v[56:57], v64 offset0:128 offset1:129
	;; [unrolled: 62-line block ×3, first 2 shown]
	s_waitcnt lgkmcnt(0)
	v_pk_fma_f16 v58, v55, v56, 0
	s_delay_alu instid0(VALU_DEP_1) | instskip(SKIP_3) | instid1(VALU_DEP_1)
	v_pk_fma_f16 v60, v54, v57, v58
	ds_load_2addr_b32 v[58:59], v64 offset0:194 offset1:195
	s_waitcnt lgkmcnt(0)
	v_pk_fma_f16 v60, v53, v58, v60
	v_pk_fma_f16 v62, v52, v59, v60
	ds_load_2addr_b32 v[60:61], v64 offset0:196 offset1:197
	s_waitcnt lgkmcnt(0)
	v_pk_fma_f16 v62, v51, v60, v62
	s_delay_alu instid0(VALU_DEP_1) | instskip(SKIP_4) | instid1(VALU_DEP_2)
	v_pk_fma_f16 v65, v50, v61, v62
	ds_load_2addr_b32 v[62:63], v64 offset0:198 offset1:199
	s_waitcnt lgkmcnt(0)
	v_pk_fma_f16 v64, v30, v62, v65
	v_pk_fma_f16 v65, v42, v56, 0
	;; [unrolled: 1-line block ×3, first 2 shown]
	s_delay_alu instid0(VALU_DEP_2) | instskip(NEXT) | instid1(VALU_DEP_1)
	v_pk_fma_f16 v65, v43, v57, v65
	v_pk_fma_f16 v65, v44, v58, v65
	s_delay_alu instid0(VALU_DEP_1) | instskip(NEXT) | instid1(VALU_DEP_1)
	v_pk_fma_f16 v65, v45, v59, v65
	v_pk_fma_f16 v65, v46, v60, v65
	s_delay_alu instid0(VALU_DEP_1) | instskip(NEXT) | instid1(VALU_DEP_1)
	;; [unrolled: 3-line block ×3, first 2 shown]
	v_pk_fma_f16 v65, v49, v63, v65
	v_pack_b32_f16 v66, v64, v65
	v_perm_b32 v64, v65, v64, 0x7060302
	s_delay_alu instid0(VALU_DEP_1) | instskip(NEXT) | instid1(VALU_DEP_1)
	v_pk_add_f16 v64, v66, v64
	v_pk_fma_f16 v12, v64, v3, v12
	v_pk_fma_f16 v64, v32, v56, 0
	;; [unrolled: 1-line block ×3, first 2 shown]
	s_delay_alu instid0(VALU_DEP_2) | instskip(NEXT) | instid1(VALU_DEP_2)
	v_pk_fma_f16 v64, v33, v57, v64
	v_pk_fma_f16 v56, v41, v57, v56
	s_delay_alu instid0(VALU_DEP_2) | instskip(NEXT) | instid1(VALU_DEP_2)
	v_pk_fma_f16 v64, v34, v58, v64
	v_pk_fma_f16 v56, v24, v58, v56
	;; [unrolled: 3-line block ×7, first 2 shown]
	s_delay_alu instid0(VALU_DEP_1) | instskip(SKIP_1) | instid1(VALU_DEP_1)
	v_pack_b32_f16 v57, v64, v56
	v_perm_b32 v56, v56, v64, 0x7060302
	v_pk_add_f16 v56, v57, v56
	s_delay_alu instid0(VALU_DEP_1)
	v_pk_fma_f16 v11, v56, v4, v11
	v_mov_b32_e32 v56, s19
	s_add_i32 s19, s2, 0x408
	ds_load_2addr_b32 v[56:57], v56 offset1:1
	s_waitcnt lgkmcnt(0)
	v_pk_fma_f16 v58, v55, v56, 0
	v_pk_fma_f16 v65, v42, v56, 0
	s_delay_alu instid0(VALU_DEP_2) | instskip(SKIP_2) | instid1(VALU_DEP_3)
	v_pk_fma_f16 v60, v54, v57, v58
	v_mov_b32_e32 v58, s19
	s_add_i32 s19, s2, 0x410
	v_pk_fma_f16 v65, v43, v57, v65
	ds_load_2addr_b32 v[58:59], v58 offset1:1
	s_waitcnt lgkmcnt(0)
	v_pk_fma_f16 v60, v53, v58, v60
	v_pk_fma_f16 v65, v44, v58, v65
	s_delay_alu instid0(VALU_DEP_2) | instskip(SKIP_2) | instid1(VALU_DEP_3)
	v_pk_fma_f16 v62, v52, v59, v60
	v_mov_b32_e32 v60, s19
	s_add_i32 s19, s2, 0x418
	v_pk_fma_f16 v65, v45, v59, v65
	ds_load_2addr_b32 v[60:61], v60 offset1:1
	s_waitcnt lgkmcnt(0)
	v_pk_fma_f16 v62, v51, v60, v62
	v_pk_fma_f16 v65, v46, v60, v65
	s_delay_alu instid0(VALU_DEP_2) | instskip(SKIP_1) | instid1(VALU_DEP_3)
	v_pk_fma_f16 v64, v50, v61, v62
	v_mov_b32_e32 v62, s19
	v_pk_fma_f16 v65, v47, v61, v65
	s_add_i32 s19, s2, 0x500
	ds_load_2addr_b32 v[62:63], v62 offset1:1
	s_waitcnt lgkmcnt(0)
	v_pk_fma_f16 v64, v30, v62, v64
	v_pk_fma_f16 v65, v48, v62, v65
	s_delay_alu instid0(VALU_DEP_2) | instskip(NEXT) | instid1(VALU_DEP_2)
	v_pk_fma_f16 v64, v31, v63, v64
	v_pk_fma_f16 v65, v49, v63, v65
	s_delay_alu instid0(VALU_DEP_1) | instskip(SKIP_1) | instid1(VALU_DEP_1)
	v_pack_b32_f16 v66, v64, v65
	v_perm_b32 v64, v65, v64, 0x7060302
	v_pk_add_f16 v64, v66, v64
	s_delay_alu instid0(VALU_DEP_1) | instskip(SKIP_2) | instid1(VALU_DEP_2)
	v_pk_fma_f16 v10, v64, v3, v10
	v_pk_fma_f16 v64, v32, v56, 0
	;; [unrolled: 1-line block ×4, first 2 shown]
	s_delay_alu instid0(VALU_DEP_2) | instskip(NEXT) | instid1(VALU_DEP_2)
	v_pk_fma_f16 v56, v41, v57, v56
	v_pk_fma_f16 v64, v34, v58, v64
	s_delay_alu instid0(VALU_DEP_2) | instskip(NEXT) | instid1(VALU_DEP_2)
	v_pk_fma_f16 v56, v24, v58, v56
	v_pk_fma_f16 v64, v35, v59, v64
	;; [unrolled: 3-line block ×6, first 2 shown]
	s_delay_alu instid0(VALU_DEP_2) | instskip(NEXT) | instid1(VALU_DEP_1)
	v_pk_fma_f16 v56, v29, v63, v56
	v_pack_b32_f16 v57, v64, v56
	v_perm_b32 v56, v56, v64, 0x7060302
	s_delay_alu instid0(VALU_DEP_1) | instskip(NEXT) | instid1(VALU_DEP_1)
	v_pk_add_f16 v56, v57, v56
	v_pk_fma_f16 v9, v56, v4, v9
	v_mov_b32_e32 v56, s19
	s_add_i32 s19, s2, 0x508
	ds_load_2addr_b32 v[56:57], v56 offset1:1
	s_waitcnt lgkmcnt(0)
	v_pk_fma_f16 v55, v55, v56, 0
	s_delay_alu instid0(VALU_DEP_1)
	v_pk_fma_f16 v58, v54, v57, v55
	v_mov_b32_e32 v54, s19
	s_add_i32 s19, s2, 0x510
	ds_load_2addr_b32 v[54:55], v54 offset1:1
	s_waitcnt lgkmcnt(0)
	v_pk_fma_f16 v53, v53, v54, v58
	s_delay_alu instid0(VALU_DEP_1)
	v_pk_fma_f16 v58, v52, v55, v53
	v_mov_b32_e32 v52, s19
	s_add_i32 s19, s2, 0x518
	s_add_i32 s2, s2, 32
	s_cmp_ge_i32 s15, s20
	ds_load_2addr_b32 v[52:53], v52 offset1:1
	s_waitcnt lgkmcnt(0)
	v_pk_fma_f16 v51, v51, v52, v58
	s_delay_alu instid0(VALU_DEP_1) | instskip(SKIP_4) | instid1(VALU_DEP_1)
	v_pk_fma_f16 v58, v50, v53, v51
	v_mov_b32_e32 v50, s19
	ds_load_2addr_b32 v[50:51], v50 offset1:1
	s_waitcnt lgkmcnt(0)
	v_pk_fma_f16 v30, v30, v50, v58
	v_pk_fma_f16 v30, v31, v51, v30
	;; [unrolled: 1-line block ×3, first 2 shown]
	s_delay_alu instid0(VALU_DEP_1) | instskip(NEXT) | instid1(VALU_DEP_1)
	v_pk_fma_f16 v31, v43, v57, v31
	v_pk_fma_f16 v31, v44, v54, v31
	s_delay_alu instid0(VALU_DEP_1) | instskip(NEXT) | instid1(VALU_DEP_1)
	v_pk_fma_f16 v31, v45, v55, v31
	v_pk_fma_f16 v31, v46, v52, v31
	;; [unrolled: 3-line block ×3, first 2 shown]
	s_delay_alu instid0(VALU_DEP_1) | instskip(NEXT) | instid1(VALU_DEP_1)
	v_pk_fma_f16 v31, v49, v51, v31
	v_pack_b32_f16 v42, v30, v31
	v_perm_b32 v30, v31, v30, 0x7060302
	v_pk_fma_f16 v31, v40, v56, 0
	s_delay_alu instid0(VALU_DEP_2) | instskip(NEXT) | instid1(VALU_DEP_2)
	v_pk_add_f16 v30, v42, v30
	v_pk_fma_f16 v31, v41, v57, v31
	s_delay_alu instid0(VALU_DEP_2) | instskip(SKIP_1) | instid1(VALU_DEP_3)
	v_pk_fma_f16 v8, v30, v3, v8
	v_pk_fma_f16 v30, v32, v56, 0
	;; [unrolled: 1-line block ×3, first 2 shown]
	s_delay_alu instid0(VALU_DEP_2) | instskip(NEXT) | instid1(VALU_DEP_2)
	v_pk_fma_f16 v30, v33, v57, v30
	v_pk_fma_f16 v24, v25, v55, v24
	s_delay_alu instid0(VALU_DEP_2) | instskip(NEXT) | instid1(VALU_DEP_2)
	v_pk_fma_f16 v30, v34, v54, v30
	v_pk_fma_f16 v24, v26, v52, v24
	;; [unrolled: 3-line block ×5, first 2 shown]
	s_delay_alu instid0(VALU_DEP_2) | instskip(NEXT) | instid1(VALU_DEP_1)
	v_pk_fma_f16 v30, v38, v50, v30
	v_pk_fma_f16 v30, v39, v51, v30
	s_delay_alu instid0(VALU_DEP_1) | instskip(SKIP_1) | instid1(VALU_DEP_1)
	v_pack_b32_f16 v25, v30, v24
	v_perm_b32 v24, v24, v30, 0x7060302
	v_pk_add_f16 v24, v25, v24
	s_delay_alu instid0(VALU_DEP_1)
	v_pk_fma_f16 v7, v24, v4, v7
	s_cbranch_scc1 .LBB35_20
.LBB35_18:                              ; =>This Inner Loop Header: Depth=1
	s_cmp_lg_u32 s15, s18
	s_cbranch_scc1 .LBB35_17
; %bb.19:                               ;   in Loop: Header=BB35_18 Depth=1
	s_add_i32 s13, s13, 1
	s_add_i32 s18, s18, s3
	s_mul_i32 s19, s13, s16
	s_delay_alu instid0(SALU_CYCLE_1) | instskip(SKIP_2) | instid1(SALU_CYCLE_1)
	s_ashr_i32 s21, s19, 31
	v_add_nc_u32_e32 v20, s19, v1
	s_lshr_b32 s21, s21, 28
	s_add_i32 s21, s19, s21
	s_delay_alu instid0(VALU_DEP_1) | instskip(SKIP_3) | instid1(VALU_DEP_2)
	v_ashrrev_i32_e32 v21, 31, v20
	s_ashr_i32 s21, s21, 4
	s_waitcnt vmcnt(0)
	v_add_nc_u32_e32 v3, s21, v18
	v_lshlrev_b64 v[20:21], 1, v[20:21]
	s_delay_alu instid0(VALU_DEP_2) | instskip(NEXT) | instid1(VALU_DEP_1)
	v_ashrrev_i32_e32 v4, 31, v3
	v_lshlrev_b64 v[3:4], 2, v[3:4]
	s_delay_alu instid0(VALU_DEP_1) | instskip(NEXT) | instid1(VALU_DEP_2)
	v_add_co_u32 v3, vcc_lo, s6, v3
	v_add_co_ci_u32_e32 v4, vcc_lo, s7, v4, vcc_lo
	global_load_b32 v22, v[3:4], off
	v_add_co_u32 v3, vcc_lo, s8, v20
	v_add_co_ci_u32_e32 v4, vcc_lo, s9, v21, vcc_lo
	global_load_b64 v[3:4], v[3:4], off
	s_waitcnt vmcnt(1)
	v_lshrrev_b32_e32 v23, v0, v22
	v_bfe_u32 v20, v22, v0, 2
	s_delay_alu instid0(VALU_DEP_2)
	v_bfe_u32 v21, v23, 2, 2
	v_bfe_u32 v22, v23, 4, 2
	;; [unrolled: 1-line block ×3, first 2 shown]
	s_branch .LBB35_17
.LBB35_20:
	v_mad_u64_u32 v[2:3], null, s12, s16, v[1:2]
	s_mov_b32 s0, 0
	s_delay_alu instid0(VALU_DEP_1) | instskip(NEXT) | instid1(VALU_DEP_1)
	v_ashrrev_i32_e32 v3, 31, v2
	v_lshlrev_b64 v[0:1], 1, v[2:3]
	s_delay_alu instid0(VALU_DEP_1) | instskip(NEXT) | instid1(VALU_DEP_2)
	v_add_co_u32 v0, vcc_lo, s10, v0
	v_add_co_ci_u32_e32 v1, vcc_lo, s11, v1, vcc_lo
	global_load_b32 v4, v[0:1], off
.LBB35_21:                              ; =>This Inner Loop Header: Depth=1
	s_waitcnt vmcnt(0)
	v_pk_add_f16 v3, v19, v4
	global_atomic_cmpswap_b32 v3, v[0:1], v[3:4], off glc
	s_waitcnt vmcnt(0)
	v_cmp_eq_u32_e32 vcc_lo, v4, v3
	v_mov_b32_e32 v4, v3
	s_or_b32 s0, vcc_lo, s0
	s_delay_alu instid0(SALU_CYCLE_1)
	s_and_not1_b32 exec_lo, exec_lo, s0
	s_cbranch_execnz .LBB35_21
; %bb.22:
	s_or_b32 exec_lo, exec_lo, s0
	global_load_b32 v4, v[0:1], off offset:4
	s_mov_b32 s0, 0
.LBB35_23:                              ; =>This Inner Loop Header: Depth=1
	s_waitcnt vmcnt(0)
	v_pk_add_f16 v3, v17, v4
	global_atomic_cmpswap_b32 v3, v[0:1], v[3:4], off offset:4 glc
	s_waitcnt vmcnt(0)
	v_cmp_eq_u32_e32 vcc_lo, v4, v3
	v_mov_b32_e32 v4, v3
	s_or_b32 s0, vcc_lo, s0
	s_delay_alu instid0(SALU_CYCLE_1)
	s_and_not1_b32 exec_lo, exec_lo, s0
	s_cbranch_execnz .LBB35_23
; %bb.24:
	s_or_b32 exec_lo, exec_lo, s0
	v_add_nc_u32_e32 v0, s16, v2
	s_mov_b32 s0, 0
	s_delay_alu instid0(VALU_DEP_1) | instskip(NEXT) | instid1(VALU_DEP_1)
	v_ashrrev_i32_e32 v1, 31, v0
	v_lshlrev_b64 v[1:2], 1, v[0:1]
	s_delay_alu instid0(VALU_DEP_1) | instskip(NEXT) | instid1(VALU_DEP_2)
	v_add_co_u32 v1, vcc_lo, s10, v1
	v_add_co_ci_u32_e32 v2, vcc_lo, s11, v2, vcc_lo
	global_load_b32 v4, v[1:2], off
.LBB35_25:                              ; =>This Inner Loop Header: Depth=1
	s_waitcnt vmcnt(0)
	v_pk_add_f16 v3, v16, v4
	global_atomic_cmpswap_b32 v3, v[1:2], v[3:4], off glc
	s_waitcnt vmcnt(0)
	v_cmp_eq_u32_e32 vcc_lo, v4, v3
	v_mov_b32_e32 v4, v3
	s_or_b32 s0, vcc_lo, s0
	s_delay_alu instid0(SALU_CYCLE_1)
	s_and_not1_b32 exec_lo, exec_lo, s0
	s_cbranch_execnz .LBB35_25
; %bb.26:
	s_or_b32 exec_lo, exec_lo, s0
	global_load_b32 v4, v[1:2], off offset:4
	s_mov_b32 s0, 0
.LBB35_27:                              ; =>This Inner Loop Header: Depth=1
	s_waitcnt vmcnt(0)
	v_pk_add_f16 v3, v15, v4
	global_atomic_cmpswap_b32 v3, v[1:2], v[3:4], off offset:4 glc
	s_waitcnt vmcnt(0)
	v_cmp_eq_u32_e32 vcc_lo, v4, v3
	v_mov_b32_e32 v4, v3
	s_or_b32 s0, vcc_lo, s0
	s_delay_alu instid0(SALU_CYCLE_1)
	s_and_not1_b32 exec_lo, exec_lo, s0
	s_cbranch_execnz .LBB35_27
; %bb.28:
	s_or_b32 exec_lo, exec_lo, s0
	v_add_nc_u32_e32 v0, s16, v0
	;; [unrolled: 37-line block ×5, first 2 shown]
	s_mov_b32 s0, 0
	s_delay_alu instid0(VALU_DEP_1) | instskip(NEXT) | instid1(VALU_DEP_1)
	v_ashrrev_i32_e32 v1, 31, v0
	v_lshlrev_b64 v[0:1], 1, v[0:1]
	s_delay_alu instid0(VALU_DEP_1) | instskip(NEXT) | instid1(VALU_DEP_2)
	v_add_co_u32 v0, vcc_lo, s10, v0
	v_add_co_ci_u32_e32 v1, vcc_lo, s11, v1, vcc_lo
	global_load_b32 v3, v[0:1], off
.LBB35_41:                              ; =>This Inner Loop Header: Depth=1
	s_waitcnt vmcnt(0)
	v_pk_add_f16 v2, v8, v3
	global_atomic_cmpswap_b32 v2, v[0:1], v[2:3], off glc
	s_waitcnt vmcnt(0)
	v_cmp_eq_u32_e32 vcc_lo, v3, v2
	v_mov_b32_e32 v3, v2
	s_or_b32 s0, vcc_lo, s0
	s_delay_alu instid0(SALU_CYCLE_1)
	s_and_not1_b32 exec_lo, exec_lo, s0
	s_cbranch_execnz .LBB35_41
; %bb.42:
	s_or_b32 exec_lo, exec_lo, s0
	global_load_b32 v3, v[0:1], off offset:4
	s_mov_b32 s0, 0
.LBB35_43:                              ; =>This Inner Loop Header: Depth=1
	s_waitcnt vmcnt(0)
	v_pk_add_f16 v2, v7, v3
	global_atomic_cmpswap_b32 v2, v[0:1], v[2:3], off offset:4 glc
	s_waitcnt vmcnt(0)
	v_cmp_eq_u32_e32 vcc_lo, v3, v2
	v_mov_b32_e32 v3, v2
	s_or_b32 s0, vcc_lo, s0
	s_delay_alu instid0(SALU_CYCLE_1)
	s_and_not1_b32 exec_lo, exec_lo, s0
	s_cbranch_execnz .LBB35_43
.LBB35_44:
	s_endpgm
	.section	.rodata,"a",@progbits
	.p2align	6, 0x0
	.amdhsa_kernel _ZN4vllm4gptq33gemm_half_q_half_gptq_2bit_kernelILb1ELi6EEEvPK6__halfPKjS6_S4_PS2_iiiibPKi
		.amdhsa_group_segment_fixed_size 1536
		.amdhsa_private_segment_fixed_size 0
		.amdhsa_kernarg_size 72
		.amdhsa_user_sgpr_count 13
		.amdhsa_user_sgpr_dispatch_ptr 0
		.amdhsa_user_sgpr_queue_ptr 0
		.amdhsa_user_sgpr_kernarg_segment_ptr 1
		.amdhsa_user_sgpr_dispatch_id 0
		.amdhsa_user_sgpr_private_segment_size 0
		.amdhsa_wavefront_size32 1
		.amdhsa_uses_dynamic_stack 0
		.amdhsa_enable_private_segment 0
		.amdhsa_system_sgpr_workgroup_id_x 1
		.amdhsa_system_sgpr_workgroup_id_y 1
		.amdhsa_system_sgpr_workgroup_id_z 1
		.amdhsa_system_sgpr_workgroup_info 0
		.amdhsa_system_vgpr_workitem_id 0
		.amdhsa_next_free_vgpr 68
		.amdhsa_next_free_sgpr 24
		.amdhsa_reserve_vcc 1
		.amdhsa_float_round_mode_32 0
		.amdhsa_float_round_mode_16_64 0
		.amdhsa_float_denorm_mode_32 3
		.amdhsa_float_denorm_mode_16_64 3
		.amdhsa_dx10_clamp 1
		.amdhsa_ieee_mode 1
		.amdhsa_fp16_overflow 0
		.amdhsa_workgroup_processor_mode 1
		.amdhsa_memory_ordered 1
		.amdhsa_forward_progress 0
		.amdhsa_shared_vgpr_count 0
		.amdhsa_exception_fp_ieee_invalid_op 0
		.amdhsa_exception_fp_denorm_src 0
		.amdhsa_exception_fp_ieee_div_zero 0
		.amdhsa_exception_fp_ieee_overflow 0
		.amdhsa_exception_fp_ieee_underflow 0
		.amdhsa_exception_fp_ieee_inexact 0
		.amdhsa_exception_int_div_zero 0
	.end_amdhsa_kernel
	.section	.text._ZN4vllm4gptq33gemm_half_q_half_gptq_2bit_kernelILb1ELi6EEEvPK6__halfPKjS6_S4_PS2_iiiibPKi,"axG",@progbits,_ZN4vllm4gptq33gemm_half_q_half_gptq_2bit_kernelILb1ELi6EEEvPK6__halfPKjS6_S4_PS2_iiiibPKi,comdat
.Lfunc_end35:
	.size	_ZN4vllm4gptq33gemm_half_q_half_gptq_2bit_kernelILb1ELi6EEEvPK6__halfPKjS6_S4_PS2_iiiibPKi, .Lfunc_end35-_ZN4vllm4gptq33gemm_half_q_half_gptq_2bit_kernelILb1ELi6EEEvPK6__halfPKjS6_S4_PS2_iiiibPKi
                                        ; -- End function
	.section	.AMDGPU.csdata,"",@progbits
; Kernel info:
; codeLenInByte = 6316
; NumSgprs: 26
; NumVgprs: 68
; ScratchSize: 0
; MemoryBound: 0
; FloatMode: 240
; IeeeMode: 1
; LDSByteSize: 1536 bytes/workgroup (compile time only)
; SGPRBlocks: 3
; VGPRBlocks: 8
; NumSGPRsForWavesPerEU: 26
; NumVGPRsForWavesPerEU: 68
; Occupancy: 16
; WaveLimiterHint : 0
; COMPUTE_PGM_RSRC2:SCRATCH_EN: 0
; COMPUTE_PGM_RSRC2:USER_SGPR: 13
; COMPUTE_PGM_RSRC2:TRAP_HANDLER: 0
; COMPUTE_PGM_RSRC2:TGID_X_EN: 1
; COMPUTE_PGM_RSRC2:TGID_Y_EN: 1
; COMPUTE_PGM_RSRC2:TGID_Z_EN: 1
; COMPUTE_PGM_RSRC2:TIDIG_COMP_CNT: 0
	.section	.text._ZN4vllm4gptq33gemm_half_q_half_gptq_3bit_kernelILb1ELi6EEEvPK6__halfPKjS6_S4_PS2_iiiibPKi,"axG",@progbits,_ZN4vllm4gptq33gemm_half_q_half_gptq_3bit_kernelILb1ELi6EEEvPK6__halfPKjS6_S4_PS2_iiiibPKi,comdat
	.protected	_ZN4vllm4gptq33gemm_half_q_half_gptq_3bit_kernelILb1ELi6EEEvPK6__halfPKjS6_S4_PS2_iiiibPKi ; -- Begin function _ZN4vllm4gptq33gemm_half_q_half_gptq_3bit_kernelILb1ELi6EEEvPK6__halfPKjS6_S4_PS2_iiiibPKi
	.globl	_ZN4vllm4gptq33gemm_half_q_half_gptq_3bit_kernelILb1ELi6EEEvPK6__halfPKjS6_S4_PS2_iiiibPKi
	.p2align	8
	.type	_ZN4vllm4gptq33gemm_half_q_half_gptq_3bit_kernelILb1ELi6EEEvPK6__halfPKjS6_S4_PS2_iiiibPKi,@function
_ZN4vllm4gptq33gemm_half_q_half_gptq_3bit_kernelILb1ELi6EEEvPK6__halfPKjS6_S4_PS2_iiiibPKi: ; @_ZN4vllm4gptq33gemm_half_q_half_gptq_3bit_kernelILb1ELi6EEEvPK6__halfPKjS6_S4_PS2_iiiibPKi
; %bb.0:
	s_load_b128 s[16:19], s[0:1], 0x2c
	s_lshl_b32 s15, s15, 7
	s_load_b256 s[4:11], s[0:1], 0x8
	s_add_i32 s2, s15, 0x80
	s_mul_i32 s12, s14, 6
	v_cvt_f64_u32_e32 v[1:2], s2
	s_mov_b32 s14, exec_lo
	s_waitcnt lgkmcnt(0)
	v_cvt_f64_i32_e32 v[3:4], s17
	s_delay_alu instid0(VALU_DEP_1) | instskip(NEXT) | instid1(VALU_DEP_1)
	v_min_f64 v[1:2], v[1:2], v[3:4]
	v_cvt_i32_f64_e32 v2, v[1:2]
	v_add_nc_u32_e32 v1, s15, v0
	s_delay_alu instid0(VALU_DEP_2) | instskip(NEXT) | instid1(VALU_DEP_2)
	v_readfirstlane_b32 s20, v2
	v_cmpx_lt_u32_e64 v1, v2
	s_cbranch_execz .LBB36_14
; %bb.1:
	s_clause 0x1
	s_load_b64 s[2:3], s[0:1], 0x40
	s_load_b64 s[0:1], s[0:1], 0x0
	v_mov_b32_e32 v2, 0
	s_delay_alu instid0(VALU_DEP_1) | instskip(SKIP_2) | instid1(VALU_DEP_2)
	v_lshlrev_b64 v[3:4], 2, v[1:2]
	v_dual_mov_b32 v6, v2 :: v_dual_mov_b32 v5, v1
	s_waitcnt lgkmcnt(0)
	v_add_co_u32 v3, vcc_lo, s2, v3
	s_delay_alu instid0(VALU_DEP_3)
	v_add_co_ci_u32_e32 v4, vcc_lo, s3, v4, vcc_lo
	s_cmp_lg_u64 s[2:3], 0
	s_cselect_b32 s21, -1, 0
	s_cmp_eq_u64 s[2:3], 0
	s_cbranch_scc1 .LBB36_3
; %bb.2:
	global_load_b32 v5, v[3:4], off
	s_waitcnt vmcnt(0)
	v_ashrrev_i32_e32 v6, 31, v5
.LBB36_3:
	s_mul_i32 s2, s12, s17
	s_delay_alu instid0(VALU_DEP_1)
	v_lshlrev_b64 v[5:6], 1, v[5:6]
	s_ashr_i32 s3, s2, 31
	v_lshlrev_b32_e32 v7, 1, v0
	s_lshl_b64 s[22:23], s[2:3], 1
	v_cndmask_b32_e64 v8, 0, 1, s21
	s_add_u32 s3, s0, s22
	s_addc_u32 s22, s1, s23
	v_add_co_u32 v5, vcc_lo, s3, v5
	v_add_co_ci_u32_e32 v6, vcc_lo, s22, v6, vcc_lo
	s_and_not1_b32 vcc_lo, exec_lo, s21
	global_load_u16 v9, v[5:6], off
	v_dual_mov_b32 v6, v2 :: v_dual_mov_b32 v5, v1
	s_waitcnt vmcnt(0)
	ds_store_b16 v7, v9
	s_cbranch_vccnz .LBB36_5
; %bb.4:
	global_load_b32 v5, v[3:4], off
	s_waitcnt vmcnt(0)
	v_ashrrev_i32_e32 v6, 31, v5
.LBB36_5:
	s_add_i32 s2, s2, s17
	s_delay_alu instid0(VALU_DEP_1) | instskip(SKIP_1) | instid1(SALU_CYCLE_1)
	v_lshlrev_b64 v[5:6], 1, v[5:6]
	s_ashr_i32 s3, s2, 31
	s_lshl_b64 s[22:23], s[2:3], 1
	s_delay_alu instid0(SALU_CYCLE_1) | instskip(SKIP_1) | instid1(VALU_DEP_1)
	s_add_u32 s3, s0, s22
	s_addc_u32 s21, s1, s23
	v_add_co_u32 v5, vcc_lo, s3, v5
	v_add_co_ci_u32_e32 v6, vcc_lo, s21, v6, vcc_lo
	v_cmp_ne_u32_e32 vcc_lo, 1, v8
	global_load_u16 v9, v[5:6], off
	v_dual_mov_b32 v6, v2 :: v_dual_mov_b32 v5, v1
	s_waitcnt vmcnt(0)
	ds_store_b16 v7, v9 offset:256
	s_cbranch_vccnz .LBB36_7
; %bb.6:
	global_load_b32 v5, v[3:4], off
	s_waitcnt vmcnt(0)
	v_ashrrev_i32_e32 v6, 31, v5
.LBB36_7:
	s_add_i32 s2, s2, s17
	s_delay_alu instid0(VALU_DEP_1) | instskip(SKIP_1) | instid1(SALU_CYCLE_1)
	v_lshlrev_b64 v[5:6], 1, v[5:6]
	s_ashr_i32 s3, s2, 31
	s_lshl_b64 s[22:23], s[2:3], 1
	s_delay_alu instid0(SALU_CYCLE_1) | instskip(SKIP_1) | instid1(VALU_DEP_1)
	s_add_u32 s3, s0, s22
	s_addc_u32 s21, s1, s23
	v_add_co_u32 v5, vcc_lo, s3, v5
	v_add_co_ci_u32_e32 v6, vcc_lo, s21, v6, vcc_lo
	v_cmp_ne_u32_e32 vcc_lo, 1, v8
	global_load_u16 v9, v[5:6], off
	v_dual_mov_b32 v6, v2 :: v_dual_mov_b32 v5, v1
	s_waitcnt vmcnt(0)
	ds_store_b16 v7, v9 offset:512
	;; [unrolled: 21-line block ×3, first 2 shown]
	s_cbranch_vccnz .LBB36_11
; %bb.10:
	global_load_b32 v5, v[3:4], off
	s_waitcnt vmcnt(0)
	v_ashrrev_i32_e32 v6, 31, v5
.LBB36_11:
	s_add_i32 s2, s2, s17
	s_delay_alu instid0(VALU_DEP_1) | instskip(SKIP_1) | instid1(SALU_CYCLE_1)
	v_lshlrev_b64 v[5:6], 1, v[5:6]
	s_ashr_i32 s3, s2, 31
	s_lshl_b64 s[22:23], s[2:3], 1
	s_delay_alu instid0(SALU_CYCLE_1) | instskip(SKIP_1) | instid1(VALU_DEP_1)
	s_add_u32 s3, s0, s22
	s_addc_u32 s21, s1, s23
	v_add_co_u32 v5, vcc_lo, s3, v5
	v_add_co_ci_u32_e32 v6, vcc_lo, s21, v6, vcc_lo
	v_cmp_ne_u32_e32 vcc_lo, 1, v8
	global_load_u16 v5, v[5:6], off
	s_waitcnt vmcnt(0)
	ds_store_b16 v7, v5 offset:1024
	s_cbranch_vccnz .LBB36_13
; %bb.12:
	global_load_b32 v1, v[3:4], off
	s_waitcnt vmcnt(0)
	v_ashrrev_i32_e32 v2, 31, v1
.LBB36_13:
	s_add_i32 s2, s2, s17
	s_delay_alu instid0(VALU_DEP_1) | instskip(SKIP_1) | instid1(SALU_CYCLE_1)
	v_lshlrev_b64 v[1:2], 1, v[1:2]
	s_ashr_i32 s3, s2, 31
	s_lshl_b64 s[2:3], s[2:3], 1
	s_delay_alu instid0(SALU_CYCLE_1) | instskip(SKIP_1) | instid1(VALU_DEP_1)
	s_add_u32 s0, s0, s2
	s_addc_u32 s1, s1, s3
	v_add_co_u32 v1, vcc_lo, s0, v1
	v_add_co_ci_u32_e32 v2, vcc_lo, s1, v2, vcc_lo
	global_load_u16 v1, v[1:2], off
	s_waitcnt vmcnt(0)
	ds_store_b16 v7, v1 offset:1280
.LBB36_14:
	s_or_b32 exec_lo, exec_lo, s14
	v_lshlrev_b32_e32 v0, 2, v0
	s_mov_b32 s0, exec_lo
	s_delay_alu instid0(VALU_DEP_1) | instskip(NEXT) | instid1(VALU_DEP_1)
	v_lshl_add_u32 v12, s13, 9, v0
	v_cmpx_gt_i32_e64 s16, v12
	s_cbranch_execz .LBB36_76
; %bb.15:
	s_abs_i32 s0, s18
	s_abs_i32 s3, s17
	v_cvt_f32_u32_e32 v1, s0
	s_sub_i32 s2, 0, s0
	s_waitcnt lgkmcnt(0)
	s_barrier
	buffer_gl0_inv
	v_rcp_iflag_f32_e32 v1, v1
                                        ; implicit-def: $vgpr3
                                        ; implicit-def: $vgpr4
	v_and_b32_e32 v2, 28, v0
	s_delay_alu instid0(VALU_DEP_1) | instskip(SKIP_2) | instid1(VALU_DEP_1)
	v_cmp_lt_u32_e32 vcc_lo, 4, v2
	s_waitcnt_depctr 0xfff
	v_mul_f32_e32 v1, 0x4f7ffffe, v1
	v_cvt_u32_f32_e32 v1, v1
	s_delay_alu instid0(VALU_DEP_1) | instskip(NEXT) | instid1(VALU_DEP_1)
	v_readfirstlane_b32 s1, v1
	s_mul_i32 s2, s2, s1
	s_delay_alu instid0(SALU_CYCLE_1) | instskip(NEXT) | instid1(SALU_CYCLE_1)
	s_mul_hi_u32 s2, s1, s2
	s_add_i32 s1, s1, s2
	s_xor_b32 s2, s17, s18
	s_mul_hi_u32 s1, s3, s1
	s_ashr_i32 s2, s2, 31
	s_mul_i32 s13, s1, s0
	s_delay_alu instid0(SALU_CYCLE_1)
	s_sub_i32 s3, s3, s13
	s_add_i32 s13, s1, 1
	s_sub_i32 s14, s3, s0
	s_cmp_ge_u32 s3, s0
	s_cselect_b32 s1, s13, s1
	s_cselect_b32 s3, s14, s3
	s_add_i32 s13, s1, 1
	s_cmp_ge_u32 s3, s0
	s_cselect_b32 s0, s13, s1
	s_delay_alu instid0(SALU_CYCLE_1) | instskip(NEXT) | instid1(SALU_CYCLE_1)
	s_xor_b32 s0, s0, s2
	s_sub_i32 s13, s0, s2
	s_delay_alu instid0(SALU_CYCLE_1) | instskip(SKIP_1) | instid1(VALU_DEP_1)
	v_cvt_f32_u32_e32 v1, s13
	s_sub_i32 s1, 0, s13
	v_rcp_iflag_f32_e32 v1, v1
	s_waitcnt_depctr 0xfff
	v_mul_f32_e32 v1, 0x4f7ffffe, v1
	s_delay_alu instid0(VALU_DEP_1) | instskip(NEXT) | instid1(VALU_DEP_1)
	v_cvt_u32_f32_e32 v1, v1
	v_readfirstlane_b32 s0, v1
	s_delay_alu instid0(VALU_DEP_1) | instskip(NEXT) | instid1(SALU_CYCLE_1)
	s_mul_i32 s1, s1, s0
	s_mul_hi_u32 s1, s0, s1
	s_delay_alu instid0(SALU_CYCLE_1) | instskip(NEXT) | instid1(SALU_CYCLE_1)
	s_add_i32 s0, s0, s1
	s_mul_hi_u32 s0, s15, s0
	s_delay_alu instid0(SALU_CYCLE_1) | instskip(SKIP_2) | instid1(SALU_CYCLE_1)
	s_mul_i32 s1, s0, s13
	s_add_i32 s2, s0, 1
	s_sub_i32 s1, s15, s1
	s_sub_i32 s3, s1, s13
	s_cmp_ge_u32 s1, s13
	s_cselect_b32 s0, s2, s0
	s_cselect_b32 s1, s3, s1
	s_add_i32 s2, s0, 1
	s_cmp_ge_u32 s1, s13
	s_cselect_b32 s14, s2, s0
	s_and_saveexec_b32 s0, vcc_lo
	s_delay_alu instid0(SALU_CYCLE_1)
	s_xor_b32 s1, exec_lo, s0
	s_cbranch_execz .LBB36_29
; %bb.16:
	s_mov_b32 s2, exec_lo
                                        ; implicit-def: $vgpr3
                                        ; implicit-def: $vgpr4
	v_cmpx_ne_u32_e32 8, v2
	s_xor_b32 s2, exec_lo, s2
	s_cbranch_execz .LBB36_26
; %bb.17:
	s_mov_b32 s3, exec_lo
                                        ; implicit-def: $vgpr3
                                        ; implicit-def: $vgpr4
	v_cmpx_lt_u32_e32 16, v2
	s_xor_b32 s3, exec_lo, s3
	s_cbranch_execz .LBB36_23
; %bb.18:
	v_lshl_add_u32 v0, v12, 1, v12
	s_mul_i32 s17, s14, s16
	s_delay_alu instid0(SALU_CYCLE_1) | instskip(NEXT) | instid1(SALU_CYCLE_1)
	s_ashr_i32 s0, s17, 31
	s_lshr_b32 s0, s0, 27
	s_delay_alu instid0(VALU_DEP_1) | instskip(SKIP_1) | instid1(SALU_CYCLE_1)
	v_ashrrev_i32_e32 v1, 31, v0
	s_add_i32 s0, s17, s0
	s_ashr_i32 s0, s0, 5
	s_delay_alu instid0(VALU_DEP_1) | instskip(NEXT) | instid1(VALU_DEP_1)
	v_lshrrev_b32_e32 v1, 27, v1
	v_add_nc_u32_e32 v0, v0, v1
	s_delay_alu instid0(VALU_DEP_1) | instskip(NEXT) | instid1(VALU_DEP_1)
	v_ashrrev_i32_e32 v0, 5, v0
	v_mad_u64_u32 v[3:4], null, s0, 3, v[0:1]
	s_delay_alu instid0(VALU_DEP_1) | instskip(NEXT) | instid1(VALU_DEP_1)
	v_ashrrev_i32_e32 v4, 31, v3
	v_lshlrev_b64 v[0:1], 2, v[3:4]
                                        ; implicit-def: $vgpr3
	s_delay_alu instid0(VALU_DEP_1) | instskip(NEXT) | instid1(VALU_DEP_1)
	v_add_co_u32 v0, s0, s6, v0
	v_add_co_ci_u32_e64 v1, s0, s7, v1, s0
	v_cmp_ne_u32_e64 s0, 20, v2
	global_load_b32 v5, v[0:1], off
	s_and_saveexec_b32 s18, s0
	s_delay_alu instid0(SALU_CYCLE_1)
	s_xor_b32 s0, exec_lo, s18
	s_cbranch_execz .LBB36_20
; %bb.19:
	v_mad_u32_u24 v0, v2, 3, 0xffffffc0
	s_waitcnt vmcnt(0)
	s_delay_alu instid0(VALU_DEP_1)
	v_lshrrev_b32_e32 v3, v0, v5
                                        ; implicit-def: $vgpr0_vgpr1
                                        ; implicit-def: $vgpr5
.LBB36_20:
	s_or_saveexec_b32 s0, s0
	v_mov_b32_e32 v4, s17
	s_xor_b32 exec_lo, exec_lo, s0
	s_cbranch_execz .LBB36_22
; %bb.21:
	global_load_b32 v0, v[0:1], off offset:4
	v_mov_b32_e32 v4, s17
	s_waitcnt vmcnt(0)
	v_alignbit_b32 v0, v0, v5, 28
	s_delay_alu instid0(VALU_DEP_1)
	v_and_b32_e32 v3, 0xfff, v0
.LBB36_22:
	s_or_b32 exec_lo, exec_lo, s0
.LBB36_23:
	s_and_not1_saveexec_b32 s3, s3
	s_cbranch_execz .LBB36_25
; %bb.24:
	v_lshl_add_u32 v0, v12, 1, v12
	s_mul_i32 s17, s14, s16
	s_delay_alu instid0(SALU_CYCLE_1) | instskip(NEXT) | instid1(SALU_CYCLE_1)
	s_ashr_i32 s0, s17, 31
	s_lshr_b32 s0, s0, 27
	s_delay_alu instid0(VALU_DEP_1) | instskip(SKIP_1) | instid1(SALU_CYCLE_1)
	v_ashrrev_i32_e32 v1, 31, v0
	s_add_i32 s0, s17, s0
	s_ashr_i32 s0, s0, 5
	s_delay_alu instid0(VALU_DEP_1) | instskip(NEXT) | instid1(VALU_DEP_1)
	v_lshrrev_b32_e32 v1, 27, v1
	v_add_nc_u32_e32 v0, v0, v1
	s_delay_alu instid0(VALU_DEP_1) | instskip(NEXT) | instid1(VALU_DEP_1)
	v_ashrrev_i32_e32 v0, 5, v0
	v_mad_u64_u32 v[3:4], null, s0, 3, v[0:1]
	s_delay_alu instid0(VALU_DEP_1) | instskip(NEXT) | instid1(VALU_DEP_1)
	v_ashrrev_i32_e32 v4, 31, v3
	v_lshlrev_b64 v[0:1], 2, v[3:4]
	v_mov_b32_e32 v4, s17
	s_delay_alu instid0(VALU_DEP_2) | instskip(NEXT) | instid1(VALU_DEP_1)
	v_add_co_u32 v0, s0, s6, v0
	v_add_co_ci_u32_e64 v1, s0, s7, v1, s0
	global_load_b32 v0, v[0:1], off
	v_mad_u32_u24 v1, v2, 3, 0xffffffe0
	s_waitcnt vmcnt(0)
	s_delay_alu instid0(VALU_DEP_1)
	v_lshrrev_b32_e32 v3, v1, v0
.LBB36_25:
	s_or_b32 exec_lo, exec_lo, s3
.LBB36_26:
	s_and_not1_saveexec_b32 s2, s2
	s_cbranch_execz .LBB36_28
; %bb.27:
	v_lshl_add_u32 v0, v12, 1, v12
	s_mul_i32 s3, s14, s16
	s_delay_alu instid0(SALU_CYCLE_1) | instskip(NEXT) | instid1(SALU_CYCLE_1)
	s_ashr_i32 s0, s3, 31
	s_lshr_b32 s0, s0, 27
	s_delay_alu instid0(VALU_DEP_1) | instskip(SKIP_1) | instid1(SALU_CYCLE_1)
	v_ashrrev_i32_e32 v1, 31, v0
	s_add_i32 s0, s3, s0
	s_ashr_i32 s0, s0, 5
	s_delay_alu instid0(VALU_DEP_1) | instskip(NEXT) | instid1(VALU_DEP_1)
	v_lshrrev_b32_e32 v1, 27, v1
	v_add_nc_u32_e32 v0, v0, v1
	s_delay_alu instid0(VALU_DEP_1) | instskip(NEXT) | instid1(VALU_DEP_1)
	v_ashrrev_i32_e32 v0, 5, v0
	v_mad_u64_u32 v[3:4], null, s0, 3, v[0:1]
	s_delay_alu instid0(VALU_DEP_1) | instskip(NEXT) | instid1(VALU_DEP_1)
	v_ashrrev_i32_e32 v4, 31, v3
	v_lshlrev_b64 v[0:1], 2, v[3:4]
	v_mov_b32_e32 v4, s3
	s_delay_alu instid0(VALU_DEP_2) | instskip(NEXT) | instid1(VALU_DEP_1)
	v_add_co_u32 v0, s0, s6, v0
	v_add_co_ci_u32_e64 v1, s0, s7, v1, s0
	global_load_b64 v[0:1], v[0:1], off
	s_waitcnt vmcnt(0)
	v_perm_b32 v0, v0, v1, 0x2010007
	s_delay_alu instid0(VALU_DEP_1)
	v_and_b32_e32 v3, 0xfff, v0
.LBB36_28:
	s_or_b32 exec_lo, exec_lo, s2
.LBB36_29:
	s_or_saveexec_b32 s1, s1
	v_lshl_add_u32 v0, v12, 1, v12
	v_mul_u32_u24_e32 v26, 3, v2
	s_delay_alu instid0(VALU_DEP_2)
	v_ashrrev_i32_e32 v1, 31, v0
	s_xor_b32 exec_lo, exec_lo, s1
	s_cbranch_execz .LBB36_31
; %bb.30:
	s_delay_alu instid0(VALU_DEP_1) | instskip(SKIP_1) | instid1(SALU_CYCLE_1)
	v_lshrrev_b32_e32 v3, 27, v1
	s_mul_i32 s2, s14, s16
	s_ashr_i32 s0, s2, 31
	s_delay_alu instid0(SALU_CYCLE_1) | instskip(NEXT) | instid1(VALU_DEP_1)
	s_lshr_b32 s0, s0, 27
	v_add_nc_u32_e32 v3, v0, v3
	s_add_i32 s0, s2, s0
	s_delay_alu instid0(SALU_CYCLE_1) | instskip(NEXT) | instid1(VALU_DEP_1)
	s_ashr_i32 s0, s0, 5
	v_ashrrev_i32_e32 v3, 5, v3
	s_waitcnt vmcnt(0)
	s_delay_alu instid0(VALU_DEP_1) | instskip(NEXT) | instid1(VALU_DEP_1)
	v_mad_u64_u32 v[4:5], null, s0, 3, v[3:4]
	v_ashrrev_i32_e32 v5, 31, v4
	s_delay_alu instid0(VALU_DEP_1) | instskip(NEXT) | instid1(VALU_DEP_1)
	v_lshlrev_b64 v[3:4], 2, v[4:5]
	v_add_co_u32 v3, s0, s6, v3
	s_delay_alu instid0(VALU_DEP_1)
	v_add_co_ci_u32_e64 v4, s0, s7, v4, s0
	global_load_b32 v3, v[3:4], off
	v_mov_b32_e32 v4, s2
	s_waitcnt vmcnt(0)
	v_lshrrev_b32_e32 v3, v26, v3
.LBB36_31:
	s_or_b32 exec_lo, exec_lo, s1
	v_dual_mov_b32 v30, 0 :: v_dual_mov_b32 v29, 0
	v_dual_mov_b32 v28, 0 :: v_dual_mov_b32 v27, 0
	;; [unrolled: 1-line block ×5, first 2 shown]
	v_mov_b32_e32 v19, 0
	v_mov_b32_e32 v13, 0
	s_cmp_ge_i32 s15, s20
	s_mov_b32 s18, 0
	s_cbranch_scc1 .LBB36_52
; %bb.32:
	v_lshrrev_b32_e32 v1, 27, v1
	v_add_nc_u32_e32 v4, v4, v12
	v_ashrrev_i32_e32 v13, 31, v12
	s_add_i32 s21, s13, s15
	v_dual_mov_b32 v19, 0 :: v_dual_and_b32 v34, 7, v3
	v_dual_mov_b32 v21, 0 :: v_dual_add_nc_u32 v0, v0, v1
	v_bfe_u32 v35, v3, 3, 3
	v_bfe_u32 v36, v3, 6, 3
	;; [unrolled: 1-line block ×3, first 2 shown]
	s_delay_alu instid0(VALU_DEP_4)
	v_ashrrev_i32_e32 v14, 5, v0
	v_lshlrev_b64 v[0:1], 2, v[12:13]
	v_mov_b32_e32 v13, 0
	s_waitcnt vmcnt(0)
	v_ashrrev_i32_e32 v5, 31, v4
	v_cmp_lt_u32_e64 s1, 16, v2
	v_cmp_ne_u32_e64 s2, 20, v2
	v_mad_u32_u24 v32, v2, 3, 0xffffffc0
	v_mad_u32_u24 v33, v2, 3, 0xffffffe0
	v_lshlrev_b64 v[4:5], 1, v[4:5]
	v_dual_mov_b32 v20, 0 :: v_dual_mov_b32 v23, 0
	v_dual_mov_b32 v22, 0 :: v_dual_mov_b32 v25, 0
	;; [unrolled: 1-line block ×3, first 2 shown]
	s_delay_alu instid0(VALU_DEP_4) | instskip(NEXT) | instid1(VALU_DEP_1)
	v_add_co_u32 v4, s0, s8, v4
	v_add_co_ci_u32_e64 v5, s0, s9, v5, s0
	s_lshr_b32 s0, s15, 5
	v_dual_mov_b32 v28, 0 :: v_dual_mov_b32 v29, 0
	global_load_b64 v[17:18], v[4:5], off
	s_mul_i32 s0, s0, s16
	v_mov_b32_e32 v30, 0
	s_mul_i32 s22, s0, 3
	s_mov_b32 s24, 0x1c001c0
	s_ashr_i32 s23, s22, 31
	s_bitcmp1_b32 s19, 0
	s_mul_hi_i32 s19, s16, 12
	s_cselect_b32 s0, -1, 0
	s_lshl_b64 s[22:23], s[22:23], 2
	s_xor_b32 s0, s0, -1
	s_ashr_i32 s17, s16, 31
	s_add_u32 s3, s4, s22
	s_addc_u32 s4, s5, s23
	v_add_co_u32 v15, s3, s3, v0
	v_cndmask_b32_e64 v31, 0, 1, s0
	v_cmp_ne_u32_e64 s0, 8, v2
	v_add_co_ci_u32_e64 v16, s3, s4, v1, s3
	s_mul_i32 s22, s16, 12
	s_lshl_b64 s[4:5], s[16:17], 2
	s_mov_b32 s17, 0x70007
	s_mov_b32 s23, 0x380038
	s_branch .LBB36_35
.LBB36_33:                              ;   in Loop: Header=BB36_35 Depth=1
	s_or_b32 exec_lo, exec_lo, s3
	v_add_nc_u32_e32 v0, s25, v12
	s_delay_alu instid0(VALU_DEP_2)
	v_and_b32_e32 v34, 7, v2
	v_bfe_u32 v35, v2, 3, 3
	v_bfe_u32 v36, v2, 6, 3
	;; [unrolled: 1-line block ×3, first 2 shown]
	v_ashrrev_i32_e32 v1, 31, v0
	s_add_i32 s21, s21, s13
	s_delay_alu instid0(VALU_DEP_1) | instskip(NEXT) | instid1(VALU_DEP_1)
	v_lshlrev_b64 v[0:1], 1, v[0:1]
	v_add_co_u32 v0, s3, s8, v0
	s_delay_alu instid0(VALU_DEP_1)
	v_add_co_ci_u32_e64 v1, s3, s9, v1, s3
	global_load_b64 v[17:18], v[0:1], off
.LBB36_34:                              ;   in Loop: Header=BB36_35 Depth=1
	global_load_b128 v[8:11], v[15:16], off
	v_add_co_u32 v0, s3, v15, s4
	v_dual_mov_b32 v38, s18 :: v_dual_add_nc_u32 v41, v35, v31
	v_add_co_ci_u32_e64 v1, s3, s5, v16, s3
	v_add_nc_u32_e32 v42, v36, v31
	v_add_nc_u32_e32 v43, v37, v31
	ds_load_2addr_b32 v[83:84], v38 offset1:1
	ds_load_2addr_b32 v[111:112], v38 offset0:2 offset1:3
	global_load_b128 v[4:7], v[0:1], off
	v_add_co_u32 v0, s3, v0, s4
	s_delay_alu instid0(VALU_DEP_1)
	v_add_co_ci_u32_e64 v1, s3, s5, v1, s3
	v_cvt_f32_i32_e32 v45, v41
	s_add_i32 s3, s18, 0x400
	v_add_nc_u32_e32 v40, v34, v31
	v_cvt_f32_i32_e32 v46, v42
	global_load_b128 v[0:3], v[0:1], off
	v_cvt_f16_f32_e32 v53, v45
	s_add_i32 s15, s15, 32
	v_or_b32_e32 v39, 0xffffe400, v40
	v_cvt_f32_i32_e32 v44, v40
	v_or_b32_e32 v40, 0xffffe400, v41
	v_or_b32_e32 v41, 0xffffe400, v42
	;; [unrolled: 1-line block ×3, first 2 shown]
	v_cvt_f32_i32_e32 v43, v43
	v_cvt_f16_f32_e32 v54, v46
	v_cvt_f16_f32_e32 v52, v44
	s_delay_alu instid0(VALU_DEP_3) | instskip(SKIP_1) | instid1(VALU_DEP_4)
	v_cvt_f16_f32_e32 v59, v43
	v_sub_f16_e32 v43, 0xd800, v53
	v_sub_f16_e32 v49, 0xd800, v54
	s_delay_alu instid0(VALU_DEP_4)
	v_sub_f16_e32 v44, 0xd800, v52
	s_waitcnt vmcnt(2)
	v_and_or_b32 v60, v9, s17, 0x64006400
	v_and_or_b32 v65, v9, s23, 0x64006400
	;; [unrolled: 1-line block ×5, first 2 shown]
	v_pk_add_f16 v104, v40, v60 op_sel_hi:[0,1]
	v_and_or_b32 v86, v11, s17, 0x64006400
	v_pk_fma_f16 v105, 0x3000, v65, v43 op_sel_hi:[0,1,0]
	v_pk_add_f16 v106, v41, v76 op_sel_hi:[0,1]
	v_and_or_b32 v51, v8, s23, 0x64006400
	s_waitcnt lgkmcnt(1)
	v_pk_fma_f16 v60, v104, v83, 0
	v_and_or_b32 v87, v11, s23, 0x64006400
	v_pk_add_f16 v90, v39, v50 op_sel_hi:[0,1]
	v_sub_f16_e32 v50, 0xd800, v59
	v_pk_fma_f16 v107, 0x3000, v85, v49 op_sel_hi:[0,1,0]
	v_pk_add_f16 v108, v42, v86 op_sel_hi:[0,1]
	v_pk_fma_f16 v85, v105, v84, v60
	v_pk_fma_f16 v60, v106, v83, 0
	v_pk_fma_f16 v96, 0x3000, v51, v44 op_sel_hi:[0,1,0]
	v_pk_fma_f16 v51, v90, v83, 0
	v_pk_fma_f16 v109, 0x3000, v87, v50 op_sel_hi:[0,1,0]
	v_lshrrev_b32_e32 v66, 6, v8
	v_pk_fma_f16 v91, v107, v84, v60
	v_pk_fma_f16 v60, v108, v83, 0
	;; [unrolled: 1-line block ×3, first 2 shown]
	v_lshrrev_b32_e32 v69, 6, v9
	v_lshrrev_b32_e32 v78, 6, v10
	;; [unrolled: 1-line block ×3, first 2 shown]
	v_pk_fma_f16 v97, v109, v84, v60
	ds_load_2addr_b32 v[83:84], v38 offset0:64 offset1:65
	s_waitcnt vmcnt(1)
	v_and_or_b32 v77, v4, s17, 0x64006400
	v_and_or_b32 v72, v4, s23, 0x64006400
	v_lshrrev_b32_e32 v67, 6, v4
	v_lshrrev_b32_e32 v4, 14, v4
	v_and_or_b32 v79, v5, s17, 0x64006400
	v_and_or_b32 v81, v6, s17, 0x64006400
	;; [unrolled: 1-line block ×3, first 2 shown]
	v_pk_add_f16 v77, v39, v77 op_sel_hi:[0,1]
	v_and_or_b32 v73, v5, s23, 0x64006400
	v_lshrrev_b32_e32 v68, 6, v5
	v_and_or_b32 v74, v6, s23, 0x64006400
	v_lshrrev_b32_e32 v70, 6, v6
	;; [unrolled: 2-line block ×3, first 2 shown]
	s_waitcnt vmcnt(0)
	v_and_or_b32 v57, v1, s17, 0x64006400
	v_and_or_b32 v58, v1, s23, 0x64006400
	;; [unrolled: 1-line block ×5, first 2 shown]
	s_waitcnt lgkmcnt(0)
	v_pk_fma_f16 v65, v104, v83, 0
	v_pk_fma_f16 v60, v90, v83, 0
	v_and_or_b32 v55, v0, s17, 0x64006400
	v_and_or_b32 v56, v0, s23, 0x64006400
	;; [unrolled: 1-line block ×3, first 2 shown]
	v_pk_fma_f16 v86, v105, v84, v65
	v_pk_fma_f16 v65, v106, v83, 0
	;; [unrolled: 1-line block ×3, first 2 shown]
	v_pk_fma_f16 v56, 0x3000, v56, v44 op_sel_hi:[0,1,0]
	v_lshrrev_b32_e32 v45, 14, v7
	v_lshrrev_b32_e32 v7, 6, v0
	v_pk_fma_f16 v92, v107, v84, v65
	v_pk_fma_f16 v65, v108, v83, 0
	v_lshrrev_b32_e32 v46, 13, v0
	v_lshrrev_b32_e32 v0, 6, v1
	;; [unrolled: 1-line block ×4, first 2 shown]
	v_pk_fma_f16 v98, v109, v84, v65
	ds_load_2addr_b32 v[83:84], v38 offset0:128 offset1:129
	v_lshrrev_b32_e32 v48, 13, v2
	v_lshrrev_b32_e32 v2, 6, v3
	;; [unrolled: 1-line block ×8, first 2 shown]
	v_and_b32_e32 v5, 0x20002, v5
	v_lshrrev_b32_e32 v10, 15, v10
	v_and_b32_e32 v4, 0x20002, v4
	s_delay_alu instid0(VALU_DEP_3) | instskip(NEXT) | instid1(VALU_DEP_2)
	v_and_or_b32 v5, 0x10001, v9, v5
	v_and_or_b32 v4, 0x10001, v8, v4
	v_and_b32_e32 v8, 0x20002, v45
	s_waitcnt lgkmcnt(0)
	v_pk_fma_f16 v76, v104, v83, 0
	v_pk_fma_f16 v65, v90, v83, 0
	s_delay_alu instid0(VALU_DEP_3) | instskip(SKIP_1) | instid1(VALU_DEP_4)
	v_and_or_b32 v9, 0x10001, v11, v8
	v_and_b32_e32 v8, 0x40004, v46
	v_pk_fma_f16 v87, v105, v84, v76
	v_pk_fma_f16 v76, v106, v83, 0
	;; [unrolled: 1-line block ×3, first 2 shown]
	s_delay_alu instid0(VALU_DEP_4) | instskip(NEXT) | instid1(VALU_DEP_3)
	v_or3_b32 v4, v4, v8, 0x64006400
	v_pk_fma_f16 v93, v107, v84, v76
	v_pk_fma_f16 v76, v108, v83, 0
	s_delay_alu instid0(VALU_DEP_3) | instskip(NEXT) | instid1(VALU_DEP_2)
	v_pk_add_f16 v11, v39, v4 op_sel_hi:[0,1]
	v_pk_fma_f16 v99, v109, v84, v76
	ds_load_2addr_b32 v[83:84], v38 offset0:192 offset1:193
	s_waitcnt lgkmcnt(0)
	v_pk_fma_f16 v76, v90, v83, 0
	v_pk_fma_f16 v88, v104, v83, 0
	;; [unrolled: 1-line block ×4, first 2 shown]
	s_delay_alu instid0(VALU_DEP_4) | instskip(NEXT) | instid1(VALU_DEP_4)
	v_pk_fma_f16 v76, v96, v84, v76
	v_pk_fma_f16 v88, v105, v84, v88
	s_delay_alu instid0(VALU_DEP_4) | instskip(NEXT) | instid1(VALU_DEP_4)
	v_pk_fma_f16 v94, v107, v84, v89
	v_pk_fma_f16 v100, v109, v84, v83
	v_mov_b32_e32 v83, s3
	s_add_i32 s3, s18, 0x500
	ds_load_2addr_b32 v[101:102], v83 offset1:1
	s_waitcnt lgkmcnt(0)
	v_pk_fma_f16 v84, v104, v101, 0
	v_pk_fma_f16 v83, v90, v101, 0
	s_delay_alu instid0(VALU_DEP_2) | instskip(SKIP_1) | instid1(VALU_DEP_3)
	v_pk_fma_f16 v89, v105, v102, v84
	v_pk_fma_f16 v84, v106, v101, 0
	;; [unrolled: 1-line block ×3, first 2 shown]
	s_delay_alu instid0(VALU_DEP_2) | instskip(SKIP_1) | instid1(VALU_DEP_1)
	v_pk_fma_f16 v95, v107, v102, v84
	v_pk_fma_f16 v84, v108, v101, 0
	;; [unrolled: 1-line block ×3, first 2 shown]
	v_mov_b32_e32 v84, s3
	s_add_i32 s3, s18, 0x408
	ds_load_2addr_b32 v[102:103], v84 offset1:1
	s_waitcnt lgkmcnt(0)
	v_pk_fma_f16 v84, v90, v102, 0
	v_pk_fma_f16 v90, v104, v102, 0
	s_delay_alu instid0(VALU_DEP_2) | instskip(SKIP_2) | instid1(VALU_DEP_4)
	v_pk_fma_f16 v84, v96, v103, v84
	v_pk_fma_f16 v96, v106, v102, 0
	;; [unrolled: 1-line block ×4, first 2 shown]
	v_and_or_b32 v105, v69, s17, 0x64006400
	s_delay_alu instid0(VALU_DEP_4) | instskip(NEXT) | instid1(VALU_DEP_4)
	v_pk_fma_f16 v96, v107, v103, v96
	v_pk_fma_f16 v102, v109, v103, v102
	v_and_or_b32 v103, v66, s17, 0x64006400
	v_and_or_b32 v107, v78, s17, 0x64006400
	;; [unrolled: 1-line block ×3, first 2 shown]
	v_pk_add_f16 v106, v40, v105 op_sel_hi:[0,1]
	v_and_or_b32 v105, v69, s23, 0x64006400
	v_pk_add_f16 v104, v39, v103 op_sel_hi:[0,1]
	v_and_or_b32 v103, v66, s23, 0x64006400
	;; [unrolled: 2-line block ×4, first 2 shown]
	v_pk_fma_f16 v103, 0x3000, v103, v44 op_sel_hi:[0,1,0]
	v_pk_fma_f16 v105, 0x3000, v105, v43 op_sel_hi:[0,1,0]
	;; [unrolled: 1-line block ×3, first 2 shown]
	v_pk_fma_f16 v51, v104, v111, v51
	v_pk_fma_f16 v109, 0x3000, v109, v50 op_sel_hi:[0,1,0]
	v_pk_fma_f16 v113, v106, v111, v85
	v_pk_fma_f16 v91, v108, v111, v91
	;; [unrolled: 1-line block ×4, first 2 shown]
	s_delay_alu instid0(VALU_DEP_4) | instskip(NEXT) | instid1(VALU_DEP_4)
	v_pk_fma_f16 v115, v105, v112, v113
	v_pk_fma_f16 v116, v107, v112, v91
	s_delay_alu instid0(VALU_DEP_4)
	v_pk_fma_f16 v117, v109, v112, v97
	ds_load_2addr_b32 v[111:112], v38 offset0:66 offset1:67
	s_waitcnt lgkmcnt(0)
	v_pk_fma_f16 v91, v108, v111, v92
	v_pk_fma_f16 v92, v110, v111, v98
	;; [unrolled: 1-line block ×4, first 2 shown]
	s_delay_alu instid0(VALU_DEP_4) | instskip(NEXT) | instid1(VALU_DEP_4)
	v_pk_fma_f16 v119, v107, v112, v91
	v_pk_fma_f16 v120, v109, v112, v92
	ds_load_2addr_b32 v[91:92], v38 offset0:130 offset1:131
	v_pk_fma_f16 v86, v103, v112, v51
	v_pk_fma_f16 v118, v105, v112, v60
	s_waitcnt lgkmcnt(0)
	v_pk_fma_f16 v51, v104, v91, v65
	v_pk_fma_f16 v60, v106, v91, v87
	;; [unrolled: 1-line block ×4, first 2 shown]
	s_delay_alu instid0(VALU_DEP_4) | instskip(NEXT) | instid1(VALU_DEP_4)
	v_pk_fma_f16 v111, v103, v92, v51
	v_pk_fma_f16 v112, v105, v92, v60
	s_delay_alu instid0(VALU_DEP_4) | instskip(NEXT) | instid1(VALU_DEP_4)
	v_pk_fma_f16 v113, v107, v92, v65
	v_pk_fma_f16 v114, v109, v92, v87
	ds_load_2addr_b32 v[91:92], v38 offset0:194 offset1:195
	s_waitcnt lgkmcnt(0)
	v_pk_fma_f16 v51, v104, v91, v76
	v_pk_fma_f16 v60, v106, v91, v88
	;; [unrolled: 1-line block ×4, first 2 shown]
	s_delay_alu instid0(VALU_DEP_4)
	v_pk_fma_f16 v97, v103, v92, v51
	v_mov_b32_e32 v51, s3
	s_add_i32 s3, s18, 0x508
	v_pk_fma_f16 v98, v105, v92, v60
	v_pk_fma_f16 v99, v107, v92, v65
	;; [unrolled: 1-line block ×3, first 2 shown]
	ds_load_2addr_b32 v[87:88], v51 offset1:1
	s_waitcnt lgkmcnt(0)
	v_pk_fma_f16 v51, v104, v87, v83
	v_pk_fma_f16 v60, v106, v87, v89
	;; [unrolled: 1-line block ×4, first 2 shown]
	v_sub_f16_e32 v101, 0xcc00, v53
	v_pk_fma_f16 v91, v103, v88, v51
	v_mov_b32_e32 v51, s3
	v_pk_fma_f16 v92, v105, v88, v60
	v_pk_fma_f16 v93, v107, v88, v65
	;; [unrolled: 1-line block ×3, first 2 shown]
	v_and_or_b32 v53, v69, s24, 0x64006400
	ds_load_2addr_b32 v[87:88], v51 offset1:1
	v_sub_f16_e32 v95, 0xcc00, v59
	v_and_or_b32 v59, v80, s24, 0x64006400
	s_add_i32 s3, s18, 0x410
	v_pk_fma_f16 v69, 0x2400, v53, v101 op_sel_hi:[0,1,0]
	v_pk_add_f16 v53, v40, v79 op_sel_hi:[0,1]
	ds_load_2addr_b32 v[79:80], v38 offset0:4 offset1:5
	v_pk_fma_f16 v59, 0x2400, v59, v95 op_sel_hi:[0,1,0]
	v_and_b32_e32 v6, 0x20002, v6
	s_delay_alu instid0(VALU_DEP_1)
	v_and_or_b32 v6, 0x10001, v10, v6
	s_waitcnt lgkmcnt(1)
	v_pk_fma_f16 v51, v104, v87, v84
	v_pk_fma_f16 v83, v108, v87, v96
	;; [unrolled: 1-line block ×3, first 2 shown]
	v_sub_f16_e32 v102, 0xcc00, v52
	v_sub_f16_e32 v96, 0xcc00, v54
	v_and_or_b32 v52, v66, s24, 0x64006400
	v_and_or_b32 v54, v78, s24, 0x64006400
	v_pk_fma_f16 v60, v106, v87, v90
	v_pk_fma_f16 v76, v103, v88, v51
	;; [unrolled: 1-line block ×3, first 2 shown]
	v_pk_fma_f16 v78, 0x2400, v52, v102 op_sel_hi:[0,1,0]
	v_pk_fma_f16 v66, 0x2400, v54, v96 op_sel_hi:[0,1,0]
	v_pk_fma_f16 v65, v105, v88, v60
	v_pk_fma_f16 v60, v107, v88, v83
	v_pk_add_f16 v54, v41, v81 op_sel_hi:[0,1]
	v_pk_add_f16 v52, v42, v82 op_sel_hi:[0,1]
	s_waitcnt lgkmcnt(0)
	v_pk_fma_f16 v81, v78, v79, v85
	v_pk_fma_f16 v82, v69, v79, v115
	;; [unrolled: 1-line block ×4, first 2 shown]
	v_pk_fma_f16 v90, 0x3000, v72, v44 op_sel_hi:[0,1,0]
	v_pk_fma_f16 v84, v77, v80, v81
	v_pk_fma_f16 v85, v53, v80, v82
	;; [unrolled: 1-line block ×4, first 2 shown]
	ds_load_2addr_b32 v[79:80], v38 offset0:68 offset1:69
	v_pk_fma_f16 v72, 0x3000, v75, v50 op_sel_hi:[0,1,0]
	v_and_or_b32 v75, v71, s17, 0x64006400
	v_and_or_b32 v109, v71, s23, 0x64006400
	;; [unrolled: 1-line block ×3, first 2 shown]
	s_delay_alu instid0(VALU_DEP_3)
	v_pk_add_f16 v75, v42, v75 op_sel_hi:[0,1]
	s_waitcnt lgkmcnt(0)
	v_pk_fma_f16 v81, v78, v79, v86
	v_pk_fma_f16 v82, v69, v79, v118
	;; [unrolled: 1-line block ×4, first 2 shown]
	s_delay_alu instid0(VALU_DEP_4) | instskip(NEXT) | instid1(VALU_DEP_4)
	v_pk_fma_f16 v88, v77, v80, v81
	v_pk_fma_f16 v103, v53, v80, v82
	ds_load_2addr_b32 v[81:82], v38 offset0:6 offset1:7
	v_pk_fma_f16 v104, v52, v80, v79
	v_pk_fma_f16 v79, 0x3000, v73, v43 op_sel_hi:[0,1,0]
	v_and_or_b32 v73, v67, s17, 0x64006400
	v_pk_fma_f16 v86, v54, v80, v86
	v_pk_fma_f16 v80, 0x3000, v74, v49 op_sel_hi:[0,1,0]
	v_and_or_b32 v74, v70, s17, 0x64006400
	s_delay_alu instid0(VALU_DEP_4) | instskip(SKIP_1) | instid1(VALU_DEP_3)
	v_pk_add_f16 v89, v39, v73 op_sel_hi:[0,1]
	v_and_or_b32 v73, v68, s17, 0x64006400
	v_pk_add_f16 v74, v41, v74 op_sel_hi:[0,1]
	s_delay_alu instid0(VALU_DEP_2)
	v_pk_add_f16 v73, v40, v73 op_sel_hi:[0,1]
	s_waitcnt lgkmcnt(0)
	v_pk_fma_f16 v84, v90, v81, v84
	v_pk_fma_f16 v85, v79, v81, v85
	;; [unrolled: 1-line block ×4, first 2 shown]
	s_delay_alu instid0(VALU_DEP_4) | instskip(NEXT) | instid1(VALU_DEP_4)
	v_pk_fma_f16 v87, v89, v82, v84
	v_pk_fma_f16 v85, v73, v82, v85
	s_delay_alu instid0(VALU_DEP_4) | instskip(NEXT) | instid1(VALU_DEP_4)
	v_pk_fma_f16 v105, v74, v82, v83
	v_pk_fma_f16 v106, v75, v82, v81
	ds_load_2addr_b32 v[81:82], v38 offset0:70 offset1:71
	s_waitcnt lgkmcnt(0)
	v_pk_fma_f16 v83, v90, v81, v88
	v_pk_fma_f16 v84, v79, v81, v103
	;; [unrolled: 1-line block ×4, first 2 shown]
	s_delay_alu instid0(VALU_DEP_4) | instskip(SKIP_2) | instid1(VALU_DEP_4)
	v_pk_fma_f16 v103, v89, v82, v83
	v_and_or_b32 v83, v68, s23, 0x64006400
	v_and_or_b32 v68, v68, s24, 0x64006400
	v_pk_fma_f16 v108, v75, v82, v81
	v_and_or_b32 v81, v67, s23, 0x64006400
	v_and_or_b32 v67, v67, s24, 0x64006400
	v_pk_fma_f16 v104, v73, v82, v84
	v_pk_fma_f16 v107, v74, v82, v86
	v_and_or_b32 v84, v70, s23, 0x64006400
	v_and_or_b32 v86, v70, s24, 0x64006400
	v_pk_fma_f16 v82, 0x2400, v67, v102 op_sel_hi:[0,1,0]
	v_pk_fma_f16 v70, 0x2400, v68, v101 op_sel_hi:[0,1,0]
	ds_load_2addr_b32 v[67:68], v38 offset0:8 offset1:9
	v_pk_fma_f16 v88, 0x3000, v81, v44 op_sel_hi:[0,1,0]
	v_pk_fma_f16 v83, 0x3000, v83, v43 op_sel_hi:[0,1,0]
	;; [unrolled: 1-line block ×6, first 2 shown]
	s_waitcnt lgkmcnt(0)
	v_pk_fma_f16 v87, v88, v67, v87
	v_pk_fma_f16 v85, v83, v67, v85
	v_pk_fma_f16 v105, v84, v67, v105
	v_pk_fma_f16 v67, v86, v67, v106
	s_delay_alu instid0(VALU_DEP_4) | instskip(NEXT) | instid1(VALU_DEP_4)
	v_pk_fma_f16 v106, v82, v68, v87
	v_pk_fma_f16 v85, v70, v68, v85
	s_delay_alu instid0(VALU_DEP_4) | instskip(NEXT) | instid1(VALU_DEP_4)
	v_pk_fma_f16 v105, v71, v68, v105
	v_pk_fma_f16 v109, v81, v68, v67
	ds_load_2addr_b32 v[67:68], v38 offset0:72 offset1:73
	s_waitcnt lgkmcnt(0)
	v_pk_fma_f16 v87, v88, v67, v103
	v_pk_fma_f16 v103, v83, v67, v104
	;; [unrolled: 1-line block ×4, first 2 shown]
	s_delay_alu instid0(VALU_DEP_4) | instskip(NEXT) | instid1(VALU_DEP_4)
	v_pk_fma_f16 v107, v82, v68, v87
	v_pk_fma_f16 v103, v70, v68, v103
	s_delay_alu instid0(VALU_DEP_4) | instskip(NEXT) | instid1(VALU_DEP_4)
	v_pk_fma_f16 v104, v71, v68, v104
	v_pk_fma_f16 v108, v81, v68, v67
	v_pk_add_f16 v67, v40, v57 op_sel_hi:[0,1]
	v_pk_fma_f16 v57, 0x3000, v58, v43 op_sel_hi:[0,1,0]
	v_pk_add_f16 v68, v41, v61 op_sel_hi:[0,1]
	v_pk_fma_f16 v58, 0x3000, v62, v49 op_sel_hi:[0,1,0]
	v_pk_add_f16 v61, v42, v63 op_sel_hi:[0,1]
	ds_load_2addr_b32 v[62:63], v38 offset0:10 offset1:11
	v_pk_add_f16 v87, v39, v55 op_sel_hi:[0,1]
	v_pk_fma_f16 v55, 0x3000, v64, v50 op_sel_hi:[0,1,0]
	s_waitcnt lgkmcnt(0)
	s_delay_alu instid0(VALU_DEP_2) | instskip(SKIP_3) | instid1(VALU_DEP_4)
	v_pk_fma_f16 v64, v87, v62, v106
	v_pk_fma_f16 v85, v67, v62, v85
	v_pk_fma_f16 v105, v68, v62, v105
	v_pk_fma_f16 v62, v61, v62, v109
	v_pk_fma_f16 v106, v56, v63, v64
	s_delay_alu instid0(VALU_DEP_4) | instskip(NEXT) | instid1(VALU_DEP_4)
	v_pk_fma_f16 v109, v57, v63, v85
	v_pk_fma_f16 v105, v58, v63, v105
	s_delay_alu instid0(VALU_DEP_4)
	v_pk_fma_f16 v110, v55, v63, v62
	ds_load_2addr_b32 v[62:63], v38 offset0:74 offset1:75
	s_waitcnt lgkmcnt(0)
	v_pk_fma_f16 v64, v87, v62, v107
	v_pk_fma_f16 v85, v67, v62, v103
	;; [unrolled: 1-line block ×4, first 2 shown]
	s_delay_alu instid0(VALU_DEP_4) | instskip(NEXT) | instid1(VALU_DEP_4)
	v_pk_fma_f16 v107, v56, v63, v64
	v_pk_fma_f16 v108, v57, v63, v85
	s_delay_alu instid0(VALU_DEP_4) | instskip(NEXT) | instid1(VALU_DEP_4)
	v_pk_fma_f16 v115, v58, v63, v103
	v_pk_fma_f16 v116, v55, v63, v62
	v_and_or_b32 v62, v7, s23, 0x64006400
	ds_load_2addr_b32 v[103:104], v38 offset0:12 offset1:13
	v_pk_fma_f16 v44, 0x3000, v62, v44 op_sel_hi:[0,1,0]
	v_and_or_b32 v62, v0, s23, 0x64006400
	s_delay_alu instid0(VALU_DEP_1) | instskip(SKIP_1) | instid1(VALU_DEP_1)
	v_pk_fma_f16 v62, 0x3000, v62, v43 op_sel_hi:[0,1,0]
	v_and_or_b32 v43, v1, s23, 0x64006400
	v_pk_fma_f16 v49, 0x3000, v43, v49 op_sel_hi:[0,1,0]
	v_and_or_b32 v43, v2, s23, 0x64006400
	s_delay_alu instid0(VALU_DEP_1) | instskip(SKIP_2) | instid1(VALU_DEP_2)
	v_pk_fma_f16 v43, 0x3000, v43, v50 op_sel_hi:[0,1,0]
	v_and_or_b32 v50, v7, s17, 0x64006400
	v_and_or_b32 v7, v7, s24, 0x64006400
	v_pk_add_f16 v63, v39, v50 op_sel_hi:[0,1]
	v_and_or_b32 v50, v0, s17, 0x64006400
	v_and_or_b32 v0, v0, s24, 0x64006400
	s_delay_alu instid0(VALU_DEP_4) | instskip(SKIP_1) | instid1(VALU_DEP_4)
	v_pk_fma_f16 v8, 0x2400, v7, v102 op_sel_hi:[0,1,0]
	v_and_b32_e32 v7, 0x40004, v47
	v_pk_add_f16 v64, v40, v50 op_sel_hi:[0,1]
	v_and_or_b32 v50, v1, s17, 0x64006400
	v_and_or_b32 v1, v1, s24, 0x64006400
	v_pk_fma_f16 v10, 0x2400, v0, v101 op_sel_hi:[0,1,0]
	v_and_b32_e32 v0, 0x40004, v48
	v_or3_b32 v5, v5, v7, 0x64006400
	v_pk_add_f16 v85, v41, v50 op_sel_hi:[0,1]
	v_and_or_b32 v50, v2, s17, 0x64006400
	v_and_or_b32 v2, v2, s24, 0x64006400
	v_pk_fma_f16 v46, 0x2400, v1, v96 op_sel_hi:[0,1,0]
	v_and_b32_e32 v1, 0x40004, v3
	v_or3_b32 v0, v6, v0, 0x64006400
	v_pk_add_f16 v50, v42, v50 op_sel_hi:[0,1]
	v_pk_fma_f16 v45, 0x2400, v2, v95 op_sel_hi:[0,1,0]
	ds_load_2addr_b32 v[2:3], v38 offset0:14 offset1:15
	s_waitcnt lgkmcnt(1)
	v_pk_fma_f16 v106, v63, v103, v106
	v_pk_fma_f16 v109, v64, v103, v109
	;; [unrolled: 1-line block ×4, first 2 shown]
	v_or3_b32 v1, v9, v1, 0x64006400
	v_pk_fma_f16 v106, v44, v104, v106
	v_pk_fma_f16 v109, v62, v104, v109
	v_pk_fma_f16 v105, v49, v104, v105
	v_pk_fma_f16 v103, v43, v104, v103
	v_pk_add_f16 v39, v40, v5 op_sel_hi:[0,1]
	v_pk_add_f16 v40, v41, v0 op_sel_hi:[0,1]
	;; [unrolled: 1-line block ×3, first 2 shown]
	s_waitcnt lgkmcnt(0)
	v_pk_fma_f16 v0, v8, v2, v106
	v_pk_fma_f16 v1, v10, v2, v109
	;; [unrolled: 1-line block ×4, first 2 shown]
	s_delay_alu instid0(VALU_DEP_4) | instskip(NEXT) | instid1(VALU_DEP_4)
	v_pk_fma_f16 v0, v11, v3, v0
	v_pk_fma_f16 v2, v39, v3, v1
	s_delay_alu instid0(VALU_DEP_4) | instskip(NEXT) | instid1(VALU_DEP_4)
	v_pk_fma_f16 v1, v40, v3, v4
	v_pk_fma_f16 v3, v9, v3, v5
	ds_load_2addr_b32 v[4:5], v38 offset0:76 offset1:77
	s_waitcnt lgkmcnt(0)
	v_pk_fma_f16 v6, v63, v4, v107
	v_pk_fma_f16 v7, v64, v4, v108
	;; [unrolled: 1-line block ×4, first 2 shown]
	s_delay_alu instid0(VALU_DEP_4) | instskip(NEXT) | instid1(VALU_DEP_4)
	v_pk_fma_f16 v42, v44, v5, v6
	v_pk_fma_f16 v47, v62, v5, v7
	ds_load_2addr_b32 v[6:7], v38 offset0:78 offset1:79
	v_pk_fma_f16 v41, v49, v5, v41
	v_pk_fma_f16 v4, v43, v5, v4
	s_waitcnt lgkmcnt(0)
	v_pk_fma_f16 v5, v8, v6, v42
	v_pk_fma_f16 v42, v10, v6, v47
	;; [unrolled: 1-line block ×4, first 2 shown]
	s_delay_alu instid0(VALU_DEP_4) | instskip(NEXT) | instid1(VALU_DEP_4)
	v_pk_fma_f16 v4, v11, v7, v5
	v_pk_fma_f16 v6, v39, v7, v42
	s_delay_alu instid0(VALU_DEP_4)
	v_pk_fma_f16 v5, v40, v7, v41
	ds_load_2addr_b32 v[41:42], v38 offset0:132 offset1:133
	v_pk_fma_f16 v7, v9, v7, v47
	s_waitcnt lgkmcnt(0)
	v_pk_fma_f16 v47, v78, v41, v111
	v_pk_fma_f16 v48, v69, v41, v112
	v_pk_fma_f16 v95, v66, v41, v113
	v_pk_fma_f16 v41, v59, v41, v114
	s_delay_alu instid0(VALU_DEP_4) | instskip(NEXT) | instid1(VALU_DEP_4)
	v_pk_fma_f16 v47, v77, v42, v47
	v_pk_fma_f16 v48, v53, v42, v48
	s_delay_alu instid0(VALU_DEP_4) | instskip(NEXT) | instid1(VALU_DEP_4)
	v_pk_fma_f16 v95, v54, v42, v95
	v_pk_fma_f16 v96, v52, v42, v41
	ds_load_2addr_b32 v[41:42], v38 offset0:134 offset1:135
	s_waitcnt lgkmcnt(0)
	v_pk_fma_f16 v47, v90, v41, v47
	v_pk_fma_f16 v48, v79, v41, v48
	v_pk_fma_f16 v95, v80, v41, v95
	v_pk_fma_f16 v41, v72, v41, v96
	s_delay_alu instid0(VALU_DEP_4) | instskip(NEXT) | instid1(VALU_DEP_4)
	v_pk_fma_f16 v47, v89, v42, v47
	v_pk_fma_f16 v48, v73, v42, v48
	s_delay_alu instid0(VALU_DEP_4) | instskip(NEXT) | instid1(VALU_DEP_4)
	v_pk_fma_f16 v95, v74, v42, v95
	v_pk_fma_f16 v96, v75, v42, v41
	ds_load_2addr_b32 v[41:42], v38 offset0:136 offset1:137
	;; [unrolled: 12-line block ×11, first 2 shown]
	s_waitcnt lgkmcnt(0)
	v_pk_fma_f16 v38, v8, v41, v97
	v_pk_fma_f16 v97, v10, v41, v98
	;; [unrolled: 1-line block ×4, first 2 shown]
	s_delay_alu instid0(VALU_DEP_4) | instskip(NEXT) | instid1(VALU_DEP_4)
	v_pk_fma_f16 v38, v11, v42, v38
	v_pk_fma_f16 v97, v39, v42, v97
	s_delay_alu instid0(VALU_DEP_4) | instskip(NEXT) | instid1(VALU_DEP_4)
	v_pk_fma_f16 v98, v40, v42, v98
	v_pk_fma_f16 v99, v9, v42, v41
	v_mov_b32_e32 v41, s3
	s_add_i32 s3, s18, 0x418
	ds_load_2addr_b32 v[41:42], v41 offset1:1
	s_waitcnt lgkmcnt(0)
	v_pk_fma_f16 v91, v78, v41, v91
	v_pk_fma_f16 v92, v69, v41, v92
	;; [unrolled: 1-line block ×4, first 2 shown]
	s_delay_alu instid0(VALU_DEP_4) | instskip(NEXT) | instid1(VALU_DEP_4)
	v_pk_fma_f16 v91, v77, v42, v91
	v_pk_fma_f16 v92, v53, v42, v92
	s_delay_alu instid0(VALU_DEP_4) | instskip(NEXT) | instid1(VALU_DEP_4)
	v_pk_fma_f16 v93, v54, v42, v93
	v_pk_fma_f16 v41, v52, v42, v41
	v_pack_b32_f16 v42, v0, v2
	v_perm_b32 v0, v2, v0, 0x7060302
	v_pack_b32_f16 v2, v1, v3
	v_perm_b32 v1, v3, v1, 0x7060302
	;; [unrolled: 2-line block ×4, first 2 shown]
	v_pk_add_f16 v0, v42, v0
	v_pk_add_f16 v1, v2, v1
	;; [unrolled: 1-line block ×3, first 2 shown]
	v_pack_b32_f16 v4, v47, v48
	v_pk_add_f16 v3, v6, v5
	v_perm_b32 v5, v48, v47, 0x7060302
	v_pk_fma_f16 v30, v0, v17, v30
	v_pk_fma_f16 v29, v1, v18, v29
	v_mov_b32_e32 v1, s3
	v_pk_fma_f16 v28, v2, v17, v28
	v_pk_add_f16 v0, v4, v5
	v_pk_fma_f16 v27, v3, v18, v27
	v_pack_b32_f16 v2, v95, v96
	v_perm_b32 v3, v96, v95, 0x7060302
	s_add_i32 s3, s18, 0x420
	v_pk_fma_f16 v25, v0, v17, v25
	ds_load_2addr_b32 v[0:1], v1 offset1:1
	v_mov_b32_e32 v5, s3
	v_pk_add_f16 v4, v2, v3
	v_pack_b32_f16 v2, v38, v97
	v_perm_b32 v3, v97, v38, 0x7060302
	s_add_i32 s3, s18, 0x510
	s_delay_alu instid0(VALU_DEP_3) | instskip(SKIP_1) | instid1(VALU_DEP_3)
	v_pk_fma_f16 v24, v4, v18, v24
	v_mov_b32_e32 v4, s3
	v_pk_add_f16 v6, v2, v3
	ds_load_2addr_b32 v[2:3], v5 offset1:1
	s_add_i32 s3, s18, 0x428
	v_pk_fma_f16 v23, v6, v17, v23
	s_waitcnt lgkmcnt(1)
	v_pk_fma_f16 v5, v90, v0, v91
	v_pk_fma_f16 v7, v79, v0, v92
	v_pk_fma_f16 v38, v80, v0, v93
	v_pk_fma_f16 v0, v72, v0, v41
	v_perm_b32 v41, v99, v98, 0x7060302
	v_pk_fma_f16 v6, v89, v1, v5
	ds_load_2addr_b32 v[4:5], v4 offset1:1
	v_pk_fma_f16 v7, v73, v1, v7
	v_pk_fma_f16 v38, v74, v1, v38
	;; [unrolled: 1-line block ×3, first 2 shown]
	s_waitcnt lgkmcnt(1)
	v_pk_fma_f16 v6, v88, v2, v6
	v_mov_b32_e32 v1, s3
	s_add_i32 s3, s18, 0x430
	s_delay_alu instid0(VALU_DEP_2)
	v_pk_fma_f16 v91, v82, v3, v6
	v_pk_fma_f16 v6, v83, v2, v7
	v_pk_fma_f16 v7, v84, v2, v38
	v_pk_fma_f16 v2, v86, v2, v0
	ds_load_2addr_b32 v[0:1], v1 offset1:1
	v_pack_b32_f16 v38, v98, v99
	v_pk_fma_f16 v92, v70, v3, v6
	v_pk_fma_f16 v47, v71, v3, v7
	;; [unrolled: 1-line block ×3, first 2 shown]
	v_mov_b32_e32 v2, s3
	s_add_i32 s3, s18, 0x518
	s_delay_alu instid0(SALU_CYCLE_1)
	v_mov_b32_e32 v7, s3
	s_add_i32 s3, s18, 0x438
	ds_load_2addr_b32 v[2:3], v2 offset1:1
	s_waitcnt lgkmcnt(2)
	v_pk_fma_f16 v6, v78, v4, v76
	v_mov_b32_e32 v78, s3
	s_add_i32 s3, s18, 0x520
	v_pk_fma_f16 v65, v69, v4, v65
	v_pk_fma_f16 v60, v66, v4, v60
	;; [unrolled: 1-line block ×3, first 2 shown]
	ds_load_2addr_b32 v[6:7], v7 offset1:1
	v_pk_fma_f16 v4, v59, v4, v51
	s_waitcnt lgkmcnt(2)
	v_pk_fma_f16 v47, v68, v0, v47
	v_pk_fma_f16 v76, v87, v0, v91
	;; [unrolled: 1-line block ×10, first 2 shown]
	s_waitcnt lgkmcnt(1)
	v_pk_fma_f16 v47, v85, v2, v47
	v_pk_fma_f16 v76, v63, v2, v76
	;; [unrolled: 1-line block ×4, first 2 shown]
	s_delay_alu instid0(VALU_DEP_4)
	v_pk_fma_f16 v69, v49, v3, v47
	s_waitcnt lgkmcnt(0)
	v_pk_fma_f16 v48, v90, v6, v48
	v_pk_fma_f16 v90, v44, v3, v76
	v_pk_fma_f16 v91, v62, v3, v77
	ds_load_2addr_b32 v[76:77], v78 offset1:1
	v_pk_fma_f16 v42, v79, v6, v42
	v_pk_fma_f16 v89, v89, v7, v48
	v_mov_b32_e32 v48, s3
	s_add_i32 s3, s18, 0x528
	v_pk_fma_f16 v0, v50, v2, v0
	v_mov_b32_e32 v51, s3
	s_add_i32 s3, s18, 0x530
	ds_load_2addr_b32 v[47:48], v48 offset1:1
	v_pk_fma_f16 v42, v73, v7, v42
	v_pk_fma_f16 v0, v43, v3, v0
	ds_load_2addr_b32 v[4:5], v51 offset1:1
	v_pk_fma_f16 v51, v80, v6, v53
	v_pk_fma_f16 v6, v72, v6, v52
	v_mov_b32_e32 v52, s3
	s_add_i32 s3, s18, 0x538
	s_add_i32 s18, s18, 64
	v_pk_fma_f16 v51, v74, v7, v51
	v_pk_fma_f16 v54, v75, v7, v6
	ds_load_2addr_b32 v[6:7], v52 offset1:1
	s_waitcnt lgkmcnt(3)
	v_pk_fma_f16 v78, v8, v76, v90
	v_pk_fma_f16 v90, v10, v76, v91
	;; [unrolled: 1-line block ×4, first 2 shown]
	s_cmp_ge_i32 s15, s20
	v_pk_fma_f16 v78, v11, v77, v78
	v_pk_fma_f16 v90, v39, v77, v90
	;; [unrolled: 1-line block ×3, first 2 shown]
	s_waitcnt lgkmcnt(2)
	v_pk_fma_f16 v53, v88, v47, v89
	v_pk_fma_f16 v42, v83, v47, v42
	;; [unrolled: 1-line block ×6, first 2 shown]
	v_mov_b32_e32 v53, s3
	v_pk_fma_f16 v42, v70, v48, v42
	v_pk_fma_f16 v51, v71, v48, v51
	;; [unrolled: 1-line block ×3, first 2 shown]
	s_waitcnt lgkmcnt(1)
	v_pk_fma_f16 v52, v87, v4, v52
	ds_load_2addr_b32 v[47:48], v53 offset1:1
	v_pk_fma_f16 v42, v67, v4, v42
	v_pk_fma_f16 v51, v68, v4, v51
	;; [unrolled: 1-line block ×4, first 2 shown]
	v_pack_b32_f16 v91, v78, v90
	v_pk_fma_f16 v42, v57, v5, v42
	v_pk_fma_f16 v51, v58, v5, v51
	;; [unrolled: 1-line block ×3, first 2 shown]
	s_waitcnt lgkmcnt(1)
	v_pk_fma_f16 v1, v63, v6, v1
	v_perm_b32 v78, v90, v78, 0x7060302
	v_pk_fma_f16 v2, v64, v6, v42
	v_pk_fma_f16 v5, v85, v6, v51
	;; [unrolled: 1-line block ×4, first 2 shown]
	v_add_co_u32 v15, s3, v15, s22
	v_pk_fma_f16 v2, v62, v7, v2
	v_pk_fma_f16 v3, v49, v7, v5
	;; [unrolled: 1-line block ×3, first 2 shown]
	s_waitcnt lgkmcnt(0)
	v_pk_fma_f16 v1, v8, v47, v1
	v_pack_b32_f16 v5, v66, v0
	v_pk_fma_f16 v2, v10, v47, v2
	v_pk_fma_f16 v3, v46, v47, v3
	v_pk_fma_f16 v4, v45, v47, v4
	v_pk_fma_f16 v1, v11, v48, v1
	v_perm_b32 v0, v0, v66, 0x7060302
	v_pk_fma_f16 v2, v39, v48, v2
	v_pk_fma_f16 v3, v40, v48, v3
	;; [unrolled: 1-line block ×3, first 2 shown]
	v_pk_add_f16 v7, v91, v78
	v_pk_add_f16 v0, v5, v0
	v_pack_b32_f16 v6, v1, v2
	v_perm_b32 v1, v2, v1, 0x7060302
	v_pack_b32_f16 v2, v3, v4
	v_perm_b32 v3, v4, v3, 0x7060302
	v_pk_add_f16 v4, v38, v41
	v_pk_fma_f16 v21, v7, v17, v21
	v_pk_add_f16 v1, v6, v1
	v_pk_fma_f16 v20, v0, v18, v20
	;; [unrolled: 2-line block ×3, first 2 shown]
	v_add_co_ci_u32_e64 v16, s3, s19, v16, s3
	v_pk_fma_f16 v19, v1, v17, v19
	s_delay_alu instid0(VALU_DEP_4)
	v_pk_fma_f16 v13, v2, v18, v13
	s_cbranch_scc1 .LBB36_52
.LBB36_35:                              ; =>This Inner Loop Header: Depth=1
	s_cmp_lg_u32 s15, s21
	s_cbranch_scc1 .LBB36_34
; %bb.36:                               ;   in Loop: Header=BB36_35 Depth=1
	s_add_i32 s14, s14, 1
                                        ; implicit-def: $vgpr2
	s_delay_alu instid0(SALU_CYCLE_1) | instskip(NEXT) | instid1(SALU_CYCLE_1)
	s_mul_i32 s25, s14, s16
	s_ashr_i32 s3, s25, 31
	s_delay_alu instid0(SALU_CYCLE_1) | instskip(NEXT) | instid1(SALU_CYCLE_1)
	s_lshr_b32 s3, s3, 27
	s_add_i32 s3, s25, s3
	s_delay_alu instid0(SALU_CYCLE_1) | instskip(NEXT) | instid1(SALU_CYCLE_1)
	s_ashr_i32 s3, s3, 5
	v_mad_u64_u32 v[0:1], null, s3, 3, v[14:15]
	s_delay_alu instid0(VALU_DEP_1) | instskip(NEXT) | instid1(VALU_DEP_1)
	v_ashrrev_i32_e32 v1, 31, v0
	v_lshlrev_b64 v[0:1], 2, v[0:1]
	s_delay_alu instid0(VALU_DEP_1) | instskip(NEXT) | instid1(VALU_DEP_1)
	v_add_co_u32 v0, s3, s6, v0
	v_add_co_ci_u32_e64 v1, s3, s7, v1, s3
	global_load_b32 v3, v[0:1], off
	s_and_saveexec_b32 s3, vcc_lo
	s_delay_alu instid0(SALU_CYCLE_1)
	s_xor_b32 s3, exec_lo, s3
	s_cbranch_execz .LBB36_50
; %bb.37:                               ;   in Loop: Header=BB36_35 Depth=1
                                        ; implicit-def: $vgpr2
	s_and_saveexec_b32 s26, s0
	s_delay_alu instid0(SALU_CYCLE_1)
	s_xor_b32 s26, exec_lo, s26
	s_cbranch_execz .LBB36_47
; %bb.38:                               ;   in Loop: Header=BB36_35 Depth=1
                                        ; implicit-def: $vgpr2
	s_and_saveexec_b32 s27, s1
	;; [unrolled: 6-line block ×3, first 2 shown]
	s_delay_alu instid0(SALU_CYCLE_1)
	s_xor_b32 s28, exec_lo, s28
	s_cbranch_execz .LBB36_41
; %bb.40:                               ;   in Loop: Header=BB36_35 Depth=1
	s_waitcnt vmcnt(0)
	v_lshrrev_b32_e32 v2, v32, v3
                                        ; implicit-def: $vgpr0_vgpr1
                                        ; implicit-def: $vgpr3
.LBB36_41:                              ;   in Loop: Header=BB36_35 Depth=1
	s_and_not1_saveexec_b32 s28, s28
	s_cbranch_execz .LBB36_43
; %bb.42:                               ;   in Loop: Header=BB36_35 Depth=1
	global_load_b32 v0, v[0:1], off offset:4
	s_waitcnt vmcnt(0)
	v_alignbit_b32 v0, v0, v3, 28
	s_delay_alu instid0(VALU_DEP_1)
	v_and_b32_e32 v2, 0xfff, v0
.LBB36_43:                              ;   in Loop: Header=BB36_35 Depth=1
	s_or_b32 exec_lo, exec_lo, s28
                                        ; implicit-def: $vgpr3
.LBB36_44:                              ;   in Loop: Header=BB36_35 Depth=1
	s_and_not1_saveexec_b32 s27, s27
	s_cbranch_execz .LBB36_46
; %bb.45:                               ;   in Loop: Header=BB36_35 Depth=1
	s_waitcnt vmcnt(0)
	v_lshrrev_b32_e32 v2, v33, v3
.LBB36_46:                              ;   in Loop: Header=BB36_35 Depth=1
	s_or_b32 exec_lo, exec_lo, s27
                                        ; implicit-def: $vgpr0_vgpr1
                                        ; implicit-def: $vgpr3
.LBB36_47:                              ;   in Loop: Header=BB36_35 Depth=1
	s_and_not1_saveexec_b32 s26, s26
	s_cbranch_execz .LBB36_49
; %bb.48:                               ;   in Loop: Header=BB36_35 Depth=1
	global_load_b32 v0, v[0:1], off offset:4
	s_waitcnt vmcnt(0)
	v_perm_b32 v0, v3, v0, 0x2010007
	s_delay_alu instid0(VALU_DEP_1)
	v_and_b32_e32 v2, 0xfff, v0
.LBB36_49:                              ;   in Loop: Header=BB36_35 Depth=1
	s_or_b32 exec_lo, exec_lo, s26
                                        ; implicit-def: $vgpr3
.LBB36_50:                              ;   in Loop: Header=BB36_35 Depth=1
	s_and_not1_saveexec_b32 s3, s3
	s_cbranch_execz .LBB36_33
; %bb.51:                               ;   in Loop: Header=BB36_35 Depth=1
	s_waitcnt vmcnt(0)
	v_lshrrev_b32_e32 v2, v26, v3
	s_branch .LBB36_33
.LBB36_52:
	s_delay_alu instid0(VALU_DEP_1) | instskip(SKIP_1) | instid1(VALU_DEP_1)
	v_mad_u64_u32 v[0:1], null, s12, s16, v[12:13]
	s_mov_b32 s0, 0
	v_ashrrev_i32_e32 v1, 31, v0
	s_delay_alu instid0(VALU_DEP_1) | instskip(NEXT) | instid1(VALU_DEP_1)
	v_lshlrev_b64 v[1:2], 1, v[0:1]
	v_add_co_u32 v1, vcc_lo, s10, v1
	s_delay_alu instid0(VALU_DEP_2)
	v_add_co_ci_u32_e32 v2, vcc_lo, s11, v2, vcc_lo
	global_load_b32 v4, v[1:2], off
.LBB36_53:                              ; =>This Inner Loop Header: Depth=1
	s_waitcnt vmcnt(0)
	v_pk_add_f16 v3, v30, v4
	global_atomic_cmpswap_b32 v3, v[1:2], v[3:4], off glc
	s_waitcnt vmcnt(0)
	v_cmp_eq_u32_e32 vcc_lo, v4, v3
	v_mov_b32_e32 v4, v3
	s_or_b32 s0, vcc_lo, s0
	s_delay_alu instid0(SALU_CYCLE_1)
	s_and_not1_b32 exec_lo, exec_lo, s0
	s_cbranch_execnz .LBB36_53
; %bb.54:
	s_or_b32 exec_lo, exec_lo, s0
	global_load_b32 v4, v[1:2], off offset:4
	s_mov_b32 s0, 0
.LBB36_55:                              ; =>This Inner Loop Header: Depth=1
	s_waitcnt vmcnt(0)
	v_pk_add_f16 v3, v29, v4
	global_atomic_cmpswap_b32 v3, v[1:2], v[3:4], off offset:4 glc
	s_waitcnt vmcnt(0)
	v_cmp_eq_u32_e32 vcc_lo, v4, v3
	v_mov_b32_e32 v4, v3
	s_or_b32 s0, vcc_lo, s0
	s_delay_alu instid0(SALU_CYCLE_1)
	s_and_not1_b32 exec_lo, exec_lo, s0
	s_cbranch_execnz .LBB36_55
; %bb.56:
	s_or_b32 exec_lo, exec_lo, s0
	v_add_nc_u32_e32 v0, s16, v0
	s_mov_b32 s0, 0
	s_delay_alu instid0(VALU_DEP_1) | instskip(NEXT) | instid1(VALU_DEP_1)
	v_ashrrev_i32_e32 v1, 31, v0
	v_lshlrev_b64 v[1:2], 1, v[0:1]
	s_delay_alu instid0(VALU_DEP_1) | instskip(NEXT) | instid1(VALU_DEP_2)
	v_add_co_u32 v1, vcc_lo, s10, v1
	v_add_co_ci_u32_e32 v2, vcc_lo, s11, v2, vcc_lo
	global_load_b32 v4, v[1:2], off
.LBB36_57:                              ; =>This Inner Loop Header: Depth=1
	s_waitcnt vmcnt(0)
	v_pk_add_f16 v3, v28, v4
	global_atomic_cmpswap_b32 v3, v[1:2], v[3:4], off glc
	s_waitcnt vmcnt(0)
	v_cmp_eq_u32_e32 vcc_lo, v4, v3
	v_mov_b32_e32 v4, v3
	s_or_b32 s0, vcc_lo, s0
	s_delay_alu instid0(SALU_CYCLE_1)
	s_and_not1_b32 exec_lo, exec_lo, s0
	s_cbranch_execnz .LBB36_57
; %bb.58:
	s_or_b32 exec_lo, exec_lo, s0
	global_load_b32 v4, v[1:2], off offset:4
	s_mov_b32 s0, 0
.LBB36_59:                              ; =>This Inner Loop Header: Depth=1
	s_waitcnt vmcnt(0)
	v_pk_add_f16 v3, v27, v4
	global_atomic_cmpswap_b32 v3, v[1:2], v[3:4], off offset:4 glc
	s_waitcnt vmcnt(0)
	v_cmp_eq_u32_e32 vcc_lo, v4, v3
	v_mov_b32_e32 v4, v3
	s_or_b32 s0, vcc_lo, s0
	s_delay_alu instid0(SALU_CYCLE_1)
	s_and_not1_b32 exec_lo, exec_lo, s0
	s_cbranch_execnz .LBB36_59
; %bb.60:
	s_or_b32 exec_lo, exec_lo, s0
	v_add_nc_u32_e32 v0, s16, v0
	s_mov_b32 s0, 0
	s_delay_alu instid0(VALU_DEP_1) | instskip(NEXT) | instid1(VALU_DEP_1)
	v_ashrrev_i32_e32 v1, 31, v0
	v_lshlrev_b64 v[1:2], 1, v[0:1]
	s_delay_alu instid0(VALU_DEP_1) | instskip(NEXT) | instid1(VALU_DEP_2)
	v_add_co_u32 v1, vcc_lo, s10, v1
	;; [unrolled: 37-line block ×5, first 2 shown]
	v_add_co_ci_u32_e32 v1, vcc_lo, s11, v1, vcc_lo
	global_load_b32 v3, v[0:1], off
.LBB36_73:                              ; =>This Inner Loop Header: Depth=1
	s_waitcnt vmcnt(0)
	v_pk_add_f16 v2, v19, v3
	global_atomic_cmpswap_b32 v2, v[0:1], v[2:3], off glc
	s_waitcnt vmcnt(0)
	v_cmp_eq_u32_e32 vcc_lo, v3, v2
	v_mov_b32_e32 v3, v2
	s_or_b32 s0, vcc_lo, s0
	s_delay_alu instid0(SALU_CYCLE_1)
	s_and_not1_b32 exec_lo, exec_lo, s0
	s_cbranch_execnz .LBB36_73
; %bb.74:
	s_or_b32 exec_lo, exec_lo, s0
	global_load_b32 v3, v[0:1], off offset:4
	s_mov_b32 s0, 0
.LBB36_75:                              ; =>This Inner Loop Header: Depth=1
	s_waitcnt vmcnt(0)
	v_pk_add_f16 v2, v13, v3
	global_atomic_cmpswap_b32 v2, v[0:1], v[2:3], off offset:4 glc
	s_waitcnt vmcnt(0)
	v_cmp_eq_u32_e32 vcc_lo, v3, v2
	v_mov_b32_e32 v3, v2
	s_or_b32 s0, vcc_lo, s0
	s_delay_alu instid0(SALU_CYCLE_1)
	s_and_not1_b32 exec_lo, exec_lo, s0
	s_cbranch_execnz .LBB36_75
.LBB36_76:
	s_endpgm
	.section	.rodata,"a",@progbits
	.p2align	6, 0x0
	.amdhsa_kernel _ZN4vllm4gptq33gemm_half_q_half_gptq_3bit_kernelILb1ELi6EEEvPK6__halfPKjS6_S4_PS2_iiiibPKi
		.amdhsa_group_segment_fixed_size 1536
		.amdhsa_private_segment_fixed_size 0
		.amdhsa_kernarg_size 72
		.amdhsa_user_sgpr_count 13
		.amdhsa_user_sgpr_dispatch_ptr 0
		.amdhsa_user_sgpr_queue_ptr 0
		.amdhsa_user_sgpr_kernarg_segment_ptr 1
		.amdhsa_user_sgpr_dispatch_id 0
		.amdhsa_user_sgpr_private_segment_size 0
		.amdhsa_wavefront_size32 1
		.amdhsa_uses_dynamic_stack 0
		.amdhsa_enable_private_segment 0
		.amdhsa_system_sgpr_workgroup_id_x 1
		.amdhsa_system_sgpr_workgroup_id_y 1
		.amdhsa_system_sgpr_workgroup_id_z 1
		.amdhsa_system_sgpr_workgroup_info 0
		.amdhsa_system_vgpr_workitem_id 0
		.amdhsa_next_free_vgpr 121
		.amdhsa_next_free_sgpr 29
		.amdhsa_reserve_vcc 1
		.amdhsa_float_round_mode_32 0
		.amdhsa_float_round_mode_16_64 0
		.amdhsa_float_denorm_mode_32 3
		.amdhsa_float_denorm_mode_16_64 3
		.amdhsa_dx10_clamp 1
		.amdhsa_ieee_mode 1
		.amdhsa_fp16_overflow 0
		.amdhsa_workgroup_processor_mode 1
		.amdhsa_memory_ordered 1
		.amdhsa_forward_progress 0
		.amdhsa_shared_vgpr_count 0
		.amdhsa_exception_fp_ieee_invalid_op 0
		.amdhsa_exception_fp_denorm_src 0
		.amdhsa_exception_fp_ieee_div_zero 0
		.amdhsa_exception_fp_ieee_overflow 0
		.amdhsa_exception_fp_ieee_underflow 0
		.amdhsa_exception_fp_ieee_inexact 0
		.amdhsa_exception_int_div_zero 0
	.end_amdhsa_kernel
	.section	.text._ZN4vllm4gptq33gemm_half_q_half_gptq_3bit_kernelILb1ELi6EEEvPK6__halfPKjS6_S4_PS2_iiiibPKi,"axG",@progbits,_ZN4vllm4gptq33gemm_half_q_half_gptq_3bit_kernelILb1ELi6EEEvPK6__halfPKjS6_S4_PS2_iiiibPKi,comdat
.Lfunc_end36:
	.size	_ZN4vllm4gptq33gemm_half_q_half_gptq_3bit_kernelILb1ELi6EEEvPK6__halfPKjS6_S4_PS2_iiiibPKi, .Lfunc_end36-_ZN4vllm4gptq33gemm_half_q_half_gptq_3bit_kernelILb1ELi6EEEvPK6__halfPKjS6_S4_PS2_iiiibPKi
                                        ; -- End function
	.section	.AMDGPU.csdata,"",@progbits
; Kernel info:
; codeLenInByte = 9976
; NumSgprs: 31
; NumVgprs: 121
; ScratchSize: 0
; MemoryBound: 0
; FloatMode: 240
; IeeeMode: 1
; LDSByteSize: 1536 bytes/workgroup (compile time only)
; SGPRBlocks: 3
; VGPRBlocks: 15
; NumSGPRsForWavesPerEU: 31
; NumVGPRsForWavesPerEU: 121
; Occupancy: 10
; WaveLimiterHint : 0
; COMPUTE_PGM_RSRC2:SCRATCH_EN: 0
; COMPUTE_PGM_RSRC2:USER_SGPR: 13
; COMPUTE_PGM_RSRC2:TRAP_HANDLER: 0
; COMPUTE_PGM_RSRC2:TGID_X_EN: 1
; COMPUTE_PGM_RSRC2:TGID_Y_EN: 1
; COMPUTE_PGM_RSRC2:TGID_Z_EN: 1
; COMPUTE_PGM_RSRC2:TIDIG_COMP_CNT: 0
	.section	.text._ZN4vllm4gptq33gemm_half_q_half_gptq_4bit_kernelILb1ELi6EEEvPK6__halfPKjS6_S4_PS2_iiiibPKi,"axG",@progbits,_ZN4vllm4gptq33gemm_half_q_half_gptq_4bit_kernelILb1ELi6EEEvPK6__halfPKjS6_S4_PS2_iiiibPKi,comdat
	.protected	_ZN4vllm4gptq33gemm_half_q_half_gptq_4bit_kernelILb1ELi6EEEvPK6__halfPKjS6_S4_PS2_iiiibPKi ; -- Begin function _ZN4vllm4gptq33gemm_half_q_half_gptq_4bit_kernelILb1ELi6EEEvPK6__halfPKjS6_S4_PS2_iiiibPKi
	.globl	_ZN4vllm4gptq33gemm_half_q_half_gptq_4bit_kernelILb1ELi6EEEvPK6__halfPKjS6_S4_PS2_iiiibPKi
	.p2align	8
	.type	_ZN4vllm4gptq33gemm_half_q_half_gptq_4bit_kernelILb1ELi6EEEvPK6__halfPKjS6_S4_PS2_iiiibPKi,@function
_ZN4vllm4gptq33gemm_half_q_half_gptq_4bit_kernelILb1ELi6EEEvPK6__halfPKjS6_S4_PS2_iiiibPKi: ; @_ZN4vllm4gptq33gemm_half_q_half_gptq_4bit_kernelILb1ELi6EEEvPK6__halfPKjS6_S4_PS2_iiiibPKi
; %bb.0:
	s_load_b128 s[16:19], s[0:1], 0x2c
	s_lshl_b32 s15, s15, 7
	s_load_b256 s[4:11], s[0:1], 0x8
	s_add_i32 s2, s15, 0x80
	s_mul_i32 s12, s14, 6
	v_cvt_f64_u32_e32 v[1:2], s2
	s_mov_b32 s14, exec_lo
	s_waitcnt lgkmcnt(0)
	v_cvt_f64_i32_e32 v[3:4], s17
	s_delay_alu instid0(VALU_DEP_1) | instskip(NEXT) | instid1(VALU_DEP_1)
	v_min_f64 v[1:2], v[1:2], v[3:4]
	v_cvt_i32_f64_e32 v2, v[1:2]
	v_add_nc_u32_e32 v1, s15, v0
	s_delay_alu instid0(VALU_DEP_2) | instskip(NEXT) | instid1(VALU_DEP_2)
	v_readfirstlane_b32 s20, v2
	v_cmpx_lt_u32_e64 v1, v2
	s_cbranch_execz .LBB37_14
; %bb.1:
	s_clause 0x1
	s_load_b64 s[2:3], s[0:1], 0x40
	s_load_b64 s[0:1], s[0:1], 0x0
	v_mov_b32_e32 v2, 0
	s_delay_alu instid0(VALU_DEP_1) | instskip(SKIP_2) | instid1(VALU_DEP_2)
	v_lshlrev_b64 v[3:4], 2, v[1:2]
	v_dual_mov_b32 v6, v2 :: v_dual_mov_b32 v5, v1
	s_waitcnt lgkmcnt(0)
	v_add_co_u32 v3, vcc_lo, s2, v3
	s_delay_alu instid0(VALU_DEP_3)
	v_add_co_ci_u32_e32 v4, vcc_lo, s3, v4, vcc_lo
	s_cmp_lg_u64 s[2:3], 0
	s_cselect_b32 s21, -1, 0
	s_cmp_eq_u64 s[2:3], 0
	s_cbranch_scc1 .LBB37_3
; %bb.2:
	global_load_b32 v5, v[3:4], off
	s_waitcnt vmcnt(0)
	v_ashrrev_i32_e32 v6, 31, v5
.LBB37_3:
	s_mul_i32 s2, s12, s17
	s_delay_alu instid0(VALU_DEP_1)
	v_lshlrev_b64 v[5:6], 1, v[5:6]
	s_ashr_i32 s3, s2, 31
	v_lshlrev_b32_e32 v7, 1, v0
	s_lshl_b64 s[22:23], s[2:3], 1
	v_cndmask_b32_e64 v8, 0, 1, s21
	s_add_u32 s3, s0, s22
	s_addc_u32 s22, s1, s23
	v_add_co_u32 v5, vcc_lo, s3, v5
	v_add_co_ci_u32_e32 v6, vcc_lo, s22, v6, vcc_lo
	s_and_not1_b32 vcc_lo, exec_lo, s21
	global_load_u16 v9, v[5:6], off
	v_dual_mov_b32 v6, v2 :: v_dual_mov_b32 v5, v1
	s_waitcnt vmcnt(0)
	ds_store_b16 v7, v9
	s_cbranch_vccnz .LBB37_5
; %bb.4:
	global_load_b32 v5, v[3:4], off
	s_waitcnt vmcnt(0)
	v_ashrrev_i32_e32 v6, 31, v5
.LBB37_5:
	s_add_i32 s2, s2, s17
	s_delay_alu instid0(VALU_DEP_1) | instskip(SKIP_1) | instid1(SALU_CYCLE_1)
	v_lshlrev_b64 v[5:6], 1, v[5:6]
	s_ashr_i32 s3, s2, 31
	s_lshl_b64 s[22:23], s[2:3], 1
	s_delay_alu instid0(SALU_CYCLE_1) | instskip(SKIP_1) | instid1(VALU_DEP_1)
	s_add_u32 s3, s0, s22
	s_addc_u32 s21, s1, s23
	v_add_co_u32 v5, vcc_lo, s3, v5
	v_add_co_ci_u32_e32 v6, vcc_lo, s21, v6, vcc_lo
	v_cmp_ne_u32_e32 vcc_lo, 1, v8
	global_load_u16 v9, v[5:6], off
	v_dual_mov_b32 v6, v2 :: v_dual_mov_b32 v5, v1
	s_waitcnt vmcnt(0)
	ds_store_b16 v7, v9 offset:256
	s_cbranch_vccnz .LBB37_7
; %bb.6:
	global_load_b32 v5, v[3:4], off
	s_waitcnt vmcnt(0)
	v_ashrrev_i32_e32 v6, 31, v5
.LBB37_7:
	s_add_i32 s2, s2, s17
	s_delay_alu instid0(VALU_DEP_1) | instskip(SKIP_1) | instid1(SALU_CYCLE_1)
	v_lshlrev_b64 v[5:6], 1, v[5:6]
	s_ashr_i32 s3, s2, 31
	s_lshl_b64 s[22:23], s[2:3], 1
	s_delay_alu instid0(SALU_CYCLE_1) | instskip(SKIP_1) | instid1(VALU_DEP_1)
	s_add_u32 s3, s0, s22
	s_addc_u32 s21, s1, s23
	v_add_co_u32 v5, vcc_lo, s3, v5
	v_add_co_ci_u32_e32 v6, vcc_lo, s21, v6, vcc_lo
	v_cmp_ne_u32_e32 vcc_lo, 1, v8
	global_load_u16 v9, v[5:6], off
	v_dual_mov_b32 v6, v2 :: v_dual_mov_b32 v5, v1
	s_waitcnt vmcnt(0)
	ds_store_b16 v7, v9 offset:512
	;; [unrolled: 21-line block ×3, first 2 shown]
	s_cbranch_vccnz .LBB37_11
; %bb.10:
	global_load_b32 v5, v[3:4], off
	s_waitcnt vmcnt(0)
	v_ashrrev_i32_e32 v6, 31, v5
.LBB37_11:
	s_add_i32 s2, s2, s17
	s_delay_alu instid0(VALU_DEP_1) | instskip(SKIP_1) | instid1(SALU_CYCLE_1)
	v_lshlrev_b64 v[5:6], 1, v[5:6]
	s_ashr_i32 s3, s2, 31
	s_lshl_b64 s[22:23], s[2:3], 1
	s_delay_alu instid0(SALU_CYCLE_1) | instskip(SKIP_1) | instid1(VALU_DEP_1)
	s_add_u32 s3, s0, s22
	s_addc_u32 s21, s1, s23
	v_add_co_u32 v5, vcc_lo, s3, v5
	v_add_co_ci_u32_e32 v6, vcc_lo, s21, v6, vcc_lo
	v_cmp_ne_u32_e32 vcc_lo, 1, v8
	global_load_u16 v5, v[5:6], off
	s_waitcnt vmcnt(0)
	ds_store_b16 v7, v5 offset:1024
	s_cbranch_vccnz .LBB37_13
; %bb.12:
	global_load_b32 v1, v[3:4], off
	s_waitcnt vmcnt(0)
	v_ashrrev_i32_e32 v2, 31, v1
.LBB37_13:
	s_add_i32 s2, s2, s17
	s_delay_alu instid0(VALU_DEP_1) | instskip(SKIP_1) | instid1(SALU_CYCLE_1)
	v_lshlrev_b64 v[1:2], 1, v[1:2]
	s_ashr_i32 s3, s2, 31
	s_lshl_b64 s[2:3], s[2:3], 1
	s_delay_alu instid0(SALU_CYCLE_1) | instskip(SKIP_1) | instid1(VALU_DEP_1)
	s_add_u32 s0, s0, s2
	s_addc_u32 s1, s1, s3
	v_add_co_u32 v1, vcc_lo, s0, v1
	v_add_co_ci_u32_e32 v2, vcc_lo, s1, v2, vcc_lo
	global_load_u16 v1, v[1:2], off
	s_waitcnt vmcnt(0)
	ds_store_b16 v7, v1 offset:1280
.LBB37_14:
	s_or_b32 exec_lo, exec_lo, s14
	v_lshlrev_b32_e32 v1, 2, v0
	s_mov_b32 s0, exec_lo
	s_delay_alu instid0(VALU_DEP_1) | instskip(NEXT) | instid1(VALU_DEP_1)
	v_lshl_add_u32 v1, s13, 9, v1
	v_cmpx_gt_i32_e64 s16, v1
	s_cbranch_execz .LBB37_45
; %bb.15:
	s_abs_i32 s0, s18
	v_dual_mov_b32 v5, 0 :: v_dual_mov_b32 v6, 0
	v_cvt_f32_u32_e32 v2, s0
	v_dual_mov_b32 v7, 0 :: v_dual_mov_b32 v8, 0
	v_dual_mov_b32 v9, 0 :: v_dual_mov_b32 v10, 0
	s_delay_alu instid0(VALU_DEP_3)
	v_rcp_iflag_f32_e32 v2, v2
	v_mov_b32_e32 v17, 0
	v_dual_mov_b32 v11, 0 :: v_dual_mov_b32 v12, 0
	v_dual_mov_b32 v13, 0 :: v_dual_mov_b32 v14, 0
	;; [unrolled: 1-line block ×4, first 2 shown]
	s_waitcnt_depctr 0xfff
	v_mul_f32_e32 v2, 0x4f7ffffe, v2
	v_dual_mov_b32 v32, 0 :: v_dual_mov_b32 v33, 0
	v_dual_mov_b32 v34, 0 :: v_dual_mov_b32 v35, 0
	s_delay_alu instid0(VALU_DEP_3) | instskip(SKIP_2) | instid1(VALU_DEP_3)
	v_cvt_u32_f32_e32 v2, v2
	v_dual_mov_b32 v36, 0 :: v_dual_mov_b32 v37, 0
	v_dual_mov_b32 v38, 0 :: v_dual_mov_b32 v39, 0
	v_readfirstlane_b32 s1, v2
	v_mov_b32_e32 v40, 0
	s_cmp_ge_i32 s15, s20
	s_mov_b32 s13, 0
	s_waitcnt lgkmcnt(0)
	s_barrier
	buffer_gl0_inv
	s_cbranch_scc1 .LBB37_21
; %bb.16:
	s_sub_i32 s2, 0, s0
	s_abs_i32 s3, s17
	s_mul_i32 s2, s2, s1
	s_ashr_i32 s14, s18, 31
	s_mul_hi_u32 s2, s1, s2
	v_dual_mov_b32 v10, 0 :: v_dual_lshlrev_b32 v33, 4, v0
	s_add_i32 s1, s1, s2
	s_ashr_i32 s2, s17, 31
	s_mul_hi_u32 s1, s3, s1
	s_xor_b32 s2, s2, s14
	s_mul_i32 s17, s1, s0
	s_add_i32 s14, s1, 1
	s_sub_i32 s3, s3, s17
	v_and_b32_e32 v29, 16, v33
	s_sub_i32 s17, s3, s0
	s_cmp_ge_u32 s3, s0
	v_dual_mov_b32 v9, 0 :: v_dual_mov_b32 v14, 0
	s_cselect_b32 s1, s14, s1
	s_cselect_b32 s3, s17, s3
	s_add_i32 s14, s1, 1
	s_cmp_ge_u32 s3, s0
	v_dual_mov_b32 v11, 0 :: v_dual_mov_b32 v16, 0
	s_cselect_b32 s0, s14, s1
	v_dual_mov_b32 v13, 0 :: v_dual_mov_b32 v18, 0
	s_xor_b32 s0, s0, s2
	v_dual_mov_b32 v15, 0 :: v_dual_mov_b32 v20, 0
	s_sub_i32 s14, s0, s2
	s_bitcmp1_b32 s19, 0
	v_cvt_f32_u32_e32 v2, s14
	s_cselect_b32 s1, -1, 0
	s_sub_i32 s2, 0, s14
	s_xor_b32 s3, s1, -1
	v_dual_mov_b32 v17, 0 :: v_dual_mov_b32 v22, 0
	v_rcp_iflag_f32_e32 v2, v2
	v_cndmask_b32_e64 v30, 0, 1, s3
	v_dual_mov_b32 v19, 0 :: v_dual_mov_b32 v24, 0
	v_dual_mov_b32 v21, 0 :: v_dual_mov_b32 v26, 0
	;; [unrolled: 1-line block ×3, first 2 shown]
	v_mov_b32_e32 v0, 0
	v_mov_b32_e32 v12, 0
	s_delay_alu instid0(TRANS32_DEP_1) | instskip(NEXT) | instid1(VALU_DEP_1)
	v_mul_f32_e32 v2, 0x4f7ffffe, v2
	v_cvt_u32_f32_e32 v2, v2
	s_delay_alu instid0(VALU_DEP_1) | instskip(SKIP_1) | instid1(VALU_DEP_2)
	v_readfirstlane_b32 s0, v2
	v_ashrrev_i32_e32 v2, 31, v1
	s_mul_i32 s2, s2, s0
	s_delay_alu instid0(VALU_DEP_1) | instskip(SKIP_1) | instid1(SALU_CYCLE_1)
	v_lshrrev_b32_e32 v3, 29, v2
	s_mul_hi_u32 s2, s0, s2
	s_add_i32 s0, s0, s2
	s_delay_alu instid0(VALU_DEP_1) | instskip(SKIP_1) | instid1(SALU_CYCLE_1)
	v_add_nc_u32_e32 v3, v1, v3
	s_mul_hi_u32 s0, s15, s0
	s_mul_i32 s2, s0, s14
	s_delay_alu instid0(SALU_CYCLE_1)
	s_sub_i32 s1, s15, s2
	s_add_i32 s2, s0, 1
	s_sub_i32 s17, s1, s14
	s_cmp_ge_u32 s1, s14
	v_ashrrev_i32_e32 v6, 3, v3
	s_cselect_b32 s0, s2, s0
	s_cselect_b32 s1, s17, s1
	s_add_i32 s2, s0, 1
	s_cmp_ge_u32 s1, s14
	s_cselect_b32 s18, s2, s0
	s_delay_alu instid0(SALU_CYCLE_1) | instskip(NEXT) | instid1(SALU_CYCLE_1)
	s_mul_i32 s0, s18, s16
	s_ashr_i32 s1, s0, 31
	v_add_nc_u32_e32 v3, s0, v1
	s_lshr_b32 s1, s1, 29
	s_delay_alu instid0(SALU_CYCLE_1) | instskip(NEXT) | instid1(SALU_CYCLE_1)
	s_add_i32 s0, s0, s1
	s_ashr_i32 s0, s0, 3
	s_delay_alu instid0(VALU_DEP_1) | instskip(SKIP_2) | instid1(SALU_CYCLE_1)
	v_ashrrev_i32_e32 v4, 31, v3
	v_add_nc_u32_e32 v7, s0, v6
	s_lshr_b32 s0, s15, 3
	s_mul_i32 s0, s0, s16
	s_delay_alu instid0(VALU_DEP_2) | instskip(NEXT) | instid1(VALU_DEP_2)
	v_lshlrev_b64 v[3:4], 1, v[3:4]
	v_ashrrev_i32_e32 v8, 31, v7
	s_ashr_i32 s1, s0, 31
	s_delay_alu instid0(SALU_CYCLE_1) | instskip(NEXT) | instid1(VALU_DEP_1)
	s_lshl_b64 s[0:1], s[0:1], 2
	v_lshlrev_b64 v[7:8], 2, v[7:8]
	s_delay_alu instid0(VALU_DEP_3) | instskip(SKIP_2) | instid1(VALU_DEP_3)
	v_add_co_u32 v3, vcc_lo, s8, v3
	v_add_co_ci_u32_e32 v4, vcc_lo, s9, v4, vcc_lo
	s_add_u32 s0, s4, s0
	v_add_co_u32 v7, vcc_lo, s6, v7
	s_delay_alu instid0(VALU_DEP_4)
	v_add_co_ci_u32_e32 v8, vcc_lo, s7, v8, vcc_lo
	global_load_b64 v[4:5], v[3:4], off
	global_load_b32 v31, v[7:8], off
	v_mov_b32_e32 v8, 0
	v_lshlrev_b64 v[2:3], 2, v[1:2]
	s_addc_u32 s1, s5, s1
	v_mov_b32_e32 v7, 0
	s_ashr_i32 s17, s16, 31
	s_add_i32 s4, s14, s15
	s_lshl_b64 s[2:3], s[16:17], 2
	v_add_co_u32 v2, vcc_lo, s0, v2
	v_add_co_ci_u32_e32 v3, vcc_lo, s1, v3, vcc_lo
	s_lshl_b64 s[0:1], s[16:17], 4
	s_mov_b32 s5, 0xf000f
	s_mov_b32 s17, 0xf000f0
	s_waitcnt vmcnt(1)
	v_cvt_f32_f16_e32 v32, v4
	v_lshrrev_b32_e32 v4, 16, v4
	s_waitcnt vmcnt(0)
	v_lshrrev_b32_e32 v35, v33, v31
	v_cvt_f32_f16_e32 v33, v5
	v_lshrrev_b32_e32 v5, 16, v5
	v_bfe_u32 v31, v31, v29, 4
	v_cvt_f32_f16_e32 v34, v4
	v_bfe_u32 v4, v35, 12, 4
	v_bfe_u32 v36, v35, 8, 4
	;; [unrolled: 1-line block ×3, first 2 shown]
	v_mov_b32_e32 v25, 0
	v_mov_b32_e32 v27, 0
	v_add_nc_u32_e32 v31, v31, v30
	v_cvt_f32_f16_e32 v35, v5
	v_add_nc_u32_e32 v4, v4, v30
	v_add_nc_u32_e32 v5, v36, v30
	;; [unrolled: 1-line block ×3, first 2 shown]
	v_cvt_f32_ubyte0_e32 v37, v31
	v_or_b32_e32 v31, 0xffffe400, v31
	v_cvt_f32_ubyte0_e32 v38, v4
	v_or_b32_e32 v4, 0xffffe400, v4
	v_cvt_f32_ubyte0_e32 v39, v5
	v_cvt_f32_ubyte0_e32 v40, v36
	v_or_b32_e32 v5, 0xffffe400, v5
	v_or_b32_e32 v41, 0xffffe400, v36
	v_cvt_f16_f32_e32 v42, v37
	v_perm_b32 v36, v31, v31, 0x5040100
	v_cvt_f16_f32_e32 v31, v38
	v_perm_b32 v38, v4, v4, 0x5040100
	v_cvt_f16_f32_e32 v4, v39
	v_cvt_f16_f32_e32 v39, v40
	v_perm_b32 v37, v5, v5, 0x5040100
	v_sub_f16_e32 v5, 0xd400, v42
	v_sub_f16_e32 v31, 0xd400, v31
	;; [unrolled: 1-line block ×4, first 2 shown]
	v_perm_b32 v39, v41, v41, 0x5040100
	v_pack_b32_f16 v40, v5, v5
	v_pack_b32_f16 v41, v31, v31
	v_pack_b32_f16 v42, v4, v4
	v_pack_b32_f16 v43, v43, v43
	v_mov_b32_e32 v31, 0
	s_branch .LBB37_18
.LBB37_17:                              ;   in Loop: Header=BB37_18 Depth=1
	global_load_b128 v[44:47], v[2:3], off
	s_add_i32 s19, s13, 0x400
	s_add_i32 s15, s15, 32
	s_waitcnt vmcnt(0)
	v_and_or_b32 v4, v44, s5, 0x64006400
	v_and_or_b32 v5, v44, s17, 0x64006400
	v_lshrrev_b32_e32 v44, 8, v44
	s_delay_alu instid0(VALU_DEP_3) | instskip(NEXT) | instid1(VALU_DEP_3)
	v_pk_add_f16 v49, v36, v4
	v_pk_fma_f16 v50, 0x2c00, v5, v40 op_sel_hi:[0,1,1]
	s_delay_alu instid0(VALU_DEP_3) | instskip(SKIP_3) | instid1(VALU_DEP_4)
	v_and_or_b32 v48, v44, s5, 0x64006400
	v_and_or_b32 v44, v44, s17, 0x64006400
	;; [unrolled: 1-line block ×4, first 2 shown]
	v_pk_add_f16 v48, v36, v48
	s_delay_alu instid0(VALU_DEP_4)
	v_pk_fma_f16 v51, 0x2c00, v44, v40 op_sel_hi:[0,1,1]
	v_lshrrev_b32_e32 v44, 8, v45
	v_pk_add_f16 v52, v39, v4
	v_pk_fma_f16 v53, 0x2c00, v5, v43 op_sel_hi:[0,1,1]
	v_and_or_b32 v4, v46, s5, 0x64006400
	v_and_or_b32 v5, v46, s17, 0x64006400
	;; [unrolled: 1-line block ×4, first 2 shown]
	s_delay_alu instid0(VALU_DEP_4) | instskip(NEXT) | instid1(VALU_DEP_4)
	v_pk_add_f16 v56, v37, v4
	v_pk_fma_f16 v57, 0x2c00, v5, v42 op_sel_hi:[0,1,1]
	s_delay_alu instid0(VALU_DEP_4) | instskip(NEXT) | instid1(VALU_DEP_4)
	v_pk_add_f16 v54, v39, v45
	v_pk_fma_f16 v55, 0x2c00, v44, v43 op_sel_hi:[0,1,1]
	v_lshrrev_b32_e32 v44, 8, v46
	v_and_or_b32 v4, v47, s5, 0x64006400
	v_and_or_b32 v5, v47, s17, 0x64006400
	s_delay_alu instid0(VALU_DEP_3) | instskip(SKIP_1) | instid1(VALU_DEP_3)
	v_and_or_b32 v45, v44, s5, 0x64006400
	v_and_or_b32 v44, v44, s17, 0x64006400
	v_pk_fma_f16 v60, 0x2c00, v5, v41 op_sel_hi:[0,1,1]
	s_delay_alu instid0(VALU_DEP_3) | instskip(NEXT) | instid1(VALU_DEP_3)
	v_pk_add_f16 v58, v37, v45
	v_pk_fma_f16 v59, 0x2c00, v44, v42 op_sel_hi:[0,1,1]
	v_lshrrev_b32_e32 v44, 8, v47
	v_pk_add_f16 v47, v38, v4
	s_delay_alu instid0(VALU_DEP_2) | instskip(SKIP_1) | instid1(VALU_DEP_2)
	v_and_or_b32 v45, v44, s5, 0x64006400
	v_and_or_b32 v44, v44, s17, 0x64006400
	v_pk_add_f16 v61, v38, v45
	s_delay_alu instid0(VALU_DEP_2) | instskip(SKIP_4) | instid1(VALU_DEP_1)
	v_pk_fma_f16 v62, 0x2c00, v44, v41 op_sel_hi:[0,1,1]
	v_mov_b32_e32 v44, s13
	ds_load_2addr_b32 v[4:5], v44 offset1:1
	s_waitcnt lgkmcnt(0)
	v_pk_fma_f16 v45, v49, v4, 0
	v_pk_fma_f16 v63, v50, v5, v45
	ds_load_2addr_b32 v[45:46], v44 offset0:2 offset1:3
	s_waitcnt lgkmcnt(0)
	v_pk_fma_f16 v63, v48, v45, v63
	s_delay_alu instid0(VALU_DEP_1) | instskip(NEXT) | instid1(VALU_DEP_1)
	v_pk_fma_f16 v63, v51, v46, v63
	v_cvt_f32_f16_e32 v64, v63
	v_lshrrev_b32_e32 v63, 16, v63
	s_delay_alu instid0(VALU_DEP_1) | instskip(NEXT) | instid1(VALU_DEP_1)
	v_cvt_f32_f16_e32 v63, v63
	v_add_f32_e32 v63, v64, v63
	s_delay_alu instid0(VALU_DEP_1) | instskip(SKIP_1) | instid1(VALU_DEP_1)
	v_fmac_f32_e32 v0, v63, v32
	v_pk_fma_f16 v63, v52, v4, 0
	v_pk_fma_f16 v63, v53, v5, v63
	s_delay_alu instid0(VALU_DEP_1) | instskip(NEXT) | instid1(VALU_DEP_1)
	v_pk_fma_f16 v63, v54, v45, v63
	v_pk_fma_f16 v63, v55, v46, v63
	s_delay_alu instid0(VALU_DEP_1) | instskip(SKIP_1) | instid1(VALU_DEP_1)
	v_cvt_f32_f16_e32 v64, v63
	v_lshrrev_b32_e32 v63, 16, v63
	v_cvt_f32_f16_e32 v63, v63
	s_delay_alu instid0(VALU_DEP_1) | instskip(NEXT) | instid1(VALU_DEP_1)
	v_add_f32_e32 v63, v64, v63
	v_fmac_f32_e32 v7, v63, v34
	v_pk_fma_f16 v63, v56, v4, 0
	v_pk_fma_f16 v4, v47, v4, 0
	s_delay_alu instid0(VALU_DEP_2) | instskip(NEXT) | instid1(VALU_DEP_2)
	v_pk_fma_f16 v63, v57, v5, v63
	v_pk_fma_f16 v4, v60, v5, v4
	s_delay_alu instid0(VALU_DEP_2) | instskip(NEXT) | instid1(VALU_DEP_2)
	v_pk_fma_f16 v63, v58, v45, v63
	v_pk_fma_f16 v4, v61, v45, v4
	s_delay_alu instid0(VALU_DEP_2) | instskip(NEXT) | instid1(VALU_DEP_2)
	v_pk_fma_f16 v63, v59, v46, v63
	v_pk_fma_f16 v4, v62, v46, v4
	s_delay_alu instid0(VALU_DEP_2) | instskip(SKIP_1) | instid1(VALU_DEP_3)
	v_cvt_f32_f16_e32 v64, v63
	v_lshrrev_b32_e32 v63, 16, v63
	v_cvt_f32_f16_e32 v5, v4
	v_lshrrev_b32_e32 v4, 16, v4
	s_delay_alu instid0(VALU_DEP_3) | instskip(NEXT) | instid1(VALU_DEP_2)
	v_cvt_f32_f16_e32 v63, v63
	v_cvt_f32_f16_e32 v4, v4
	s_delay_alu instid0(VALU_DEP_1) | instskip(NEXT) | instid1(VALU_DEP_1)
	v_dual_add_f32 v63, v64, v63 :: v_dual_add_f32 v4, v5, v4
	v_dual_fmac_f32 v8, v63, v33 :: v_dual_fmac_f32 v9, v4, v35
	ds_load_2addr_b32 v[4:5], v44 offset0:64 offset1:65
	s_waitcnt lgkmcnt(0)
	v_pk_fma_f16 v45, v49, v4, 0
	s_delay_alu instid0(VALU_DEP_1) | instskip(SKIP_3) | instid1(VALU_DEP_1)
	v_pk_fma_f16 v63, v50, v5, v45
	ds_load_2addr_b32 v[45:46], v44 offset0:66 offset1:67
	s_waitcnt lgkmcnt(0)
	v_pk_fma_f16 v63, v48, v45, v63
	v_pk_fma_f16 v63, v51, v46, v63
	s_delay_alu instid0(VALU_DEP_1) | instskip(SKIP_1) | instid1(VALU_DEP_1)
	v_cvt_f32_f16_e32 v64, v63
	v_lshrrev_b32_e32 v63, 16, v63
	v_cvt_f32_f16_e32 v63, v63
	s_delay_alu instid0(VALU_DEP_1) | instskip(NEXT) | instid1(VALU_DEP_1)
	v_add_f32_e32 v63, v64, v63
	v_fmac_f32_e32 v10, v63, v32
	v_pk_fma_f16 v63, v52, v4, 0
	s_delay_alu instid0(VALU_DEP_1) | instskip(NEXT) | instid1(VALU_DEP_1)
	v_pk_fma_f16 v63, v53, v5, v63
	v_pk_fma_f16 v63, v54, v45, v63
	s_delay_alu instid0(VALU_DEP_1) | instskip(NEXT) | instid1(VALU_DEP_1)
	v_pk_fma_f16 v63, v55, v46, v63
	v_cvt_f32_f16_e32 v64, v63
	v_lshrrev_b32_e32 v63, 16, v63
	s_delay_alu instid0(VALU_DEP_1) | instskip(NEXT) | instid1(VALU_DEP_1)
	v_cvt_f32_f16_e32 v63, v63
	v_add_f32_e32 v63, v64, v63
	s_delay_alu instid0(VALU_DEP_1) | instskip(SKIP_2) | instid1(VALU_DEP_2)
	v_fmac_f32_e32 v11, v63, v34
	v_pk_fma_f16 v63, v56, v4, 0
	v_pk_fma_f16 v4, v47, v4, 0
	;; [unrolled: 1-line block ×3, first 2 shown]
	s_delay_alu instid0(VALU_DEP_2) | instskip(NEXT) | instid1(VALU_DEP_2)
	v_pk_fma_f16 v4, v60, v5, v4
	v_pk_fma_f16 v63, v58, v45, v63
	s_delay_alu instid0(VALU_DEP_2) | instskip(NEXT) | instid1(VALU_DEP_2)
	v_pk_fma_f16 v4, v61, v45, v4
	v_pk_fma_f16 v63, v59, v46, v63
	s_delay_alu instid0(VALU_DEP_2) | instskip(NEXT) | instid1(VALU_DEP_2)
	v_pk_fma_f16 v4, v62, v46, v4
	v_cvt_f32_f16_e32 v64, v63
	v_lshrrev_b32_e32 v63, 16, v63
	s_delay_alu instid0(VALU_DEP_3) | instskip(SKIP_1) | instid1(VALU_DEP_3)
	v_cvt_f32_f16_e32 v5, v4
	v_lshrrev_b32_e32 v4, 16, v4
	v_cvt_f32_f16_e32 v63, v63
	s_delay_alu instid0(VALU_DEP_2) | instskip(NEXT) | instid1(VALU_DEP_1)
	v_cvt_f32_f16_e32 v4, v4
	v_dual_add_f32 v63, v64, v63 :: v_dual_add_f32 v4, v5, v4
	s_delay_alu instid0(VALU_DEP_1) | instskip(SKIP_3) | instid1(VALU_DEP_1)
	v_dual_fmac_f32 v12, v63, v33 :: v_dual_fmac_f32 v13, v4, v35
	ds_load_2addr_b32 v[4:5], v44 offset0:128 offset1:129
	s_waitcnt lgkmcnt(0)
	v_pk_fma_f16 v45, v49, v4, 0
	v_pk_fma_f16 v63, v50, v5, v45
	ds_load_2addr_b32 v[45:46], v44 offset0:130 offset1:131
	s_waitcnt lgkmcnt(0)
	v_pk_fma_f16 v63, v48, v45, v63
	s_delay_alu instid0(VALU_DEP_1) | instskip(NEXT) | instid1(VALU_DEP_1)
	v_pk_fma_f16 v63, v51, v46, v63
	v_cvt_f32_f16_e32 v64, v63
	v_lshrrev_b32_e32 v63, 16, v63
	s_delay_alu instid0(VALU_DEP_1) | instskip(NEXT) | instid1(VALU_DEP_1)
	v_cvt_f32_f16_e32 v63, v63
	v_add_f32_e32 v63, v64, v63
	s_delay_alu instid0(VALU_DEP_1) | instskip(SKIP_1) | instid1(VALU_DEP_1)
	v_fmac_f32_e32 v14, v63, v32
	v_pk_fma_f16 v63, v52, v4, 0
	v_pk_fma_f16 v63, v53, v5, v63
	s_delay_alu instid0(VALU_DEP_1) | instskip(NEXT) | instid1(VALU_DEP_1)
	v_pk_fma_f16 v63, v54, v45, v63
	v_pk_fma_f16 v63, v55, v46, v63
	s_delay_alu instid0(VALU_DEP_1) | instskip(SKIP_1) | instid1(VALU_DEP_1)
	v_cvt_f32_f16_e32 v64, v63
	v_lshrrev_b32_e32 v63, 16, v63
	v_cvt_f32_f16_e32 v63, v63
	s_delay_alu instid0(VALU_DEP_1) | instskip(NEXT) | instid1(VALU_DEP_1)
	v_add_f32_e32 v63, v64, v63
	v_fmac_f32_e32 v15, v63, v34
	v_pk_fma_f16 v63, v56, v4, 0
	v_pk_fma_f16 v4, v47, v4, 0
	s_delay_alu instid0(VALU_DEP_2) | instskip(NEXT) | instid1(VALU_DEP_2)
	v_pk_fma_f16 v63, v57, v5, v63
	v_pk_fma_f16 v4, v60, v5, v4
	s_delay_alu instid0(VALU_DEP_2) | instskip(NEXT) | instid1(VALU_DEP_2)
	;; [unrolled: 3-line block ×3, first 2 shown]
	v_pk_fma_f16 v63, v59, v46, v63
	v_pk_fma_f16 v4, v62, v46, v4
	s_delay_alu instid0(VALU_DEP_2) | instskip(SKIP_1) | instid1(VALU_DEP_3)
	v_cvt_f32_f16_e32 v64, v63
	v_lshrrev_b32_e32 v63, 16, v63
	v_cvt_f32_f16_e32 v5, v4
	v_lshrrev_b32_e32 v4, 16, v4
	s_delay_alu instid0(VALU_DEP_3) | instskip(NEXT) | instid1(VALU_DEP_2)
	v_cvt_f32_f16_e32 v63, v63
	v_cvt_f32_f16_e32 v4, v4
	s_delay_alu instid0(VALU_DEP_1) | instskip(NEXT) | instid1(VALU_DEP_1)
	v_dual_add_f32 v63, v64, v63 :: v_dual_add_f32 v4, v5, v4
	v_dual_fmac_f32 v16, v63, v33 :: v_dual_fmac_f32 v17, v4, v35
	ds_load_2addr_b32 v[4:5], v44 offset0:192 offset1:193
	s_waitcnt lgkmcnt(0)
	v_pk_fma_f16 v45, v49, v4, 0
	s_delay_alu instid0(VALU_DEP_1) | instskip(SKIP_3) | instid1(VALU_DEP_1)
	v_pk_fma_f16 v63, v50, v5, v45
	ds_load_2addr_b32 v[45:46], v44 offset0:194 offset1:195
	s_waitcnt lgkmcnt(0)
	v_pk_fma_f16 v63, v48, v45, v63
	v_pk_fma_f16 v63, v51, v46, v63
	s_delay_alu instid0(VALU_DEP_1) | instskip(SKIP_1) | instid1(VALU_DEP_1)
	v_cvt_f32_f16_e32 v64, v63
	v_lshrrev_b32_e32 v63, 16, v63
	v_cvt_f32_f16_e32 v63, v63
	s_delay_alu instid0(VALU_DEP_1) | instskip(NEXT) | instid1(VALU_DEP_1)
	v_add_f32_e32 v63, v64, v63
	v_fmac_f32_e32 v18, v63, v32
	v_pk_fma_f16 v63, v52, v4, 0
	s_delay_alu instid0(VALU_DEP_1) | instskip(NEXT) | instid1(VALU_DEP_1)
	v_pk_fma_f16 v63, v53, v5, v63
	v_pk_fma_f16 v63, v54, v45, v63
	s_delay_alu instid0(VALU_DEP_1) | instskip(NEXT) | instid1(VALU_DEP_1)
	v_pk_fma_f16 v63, v55, v46, v63
	v_cvt_f32_f16_e32 v64, v63
	v_lshrrev_b32_e32 v63, 16, v63
	s_delay_alu instid0(VALU_DEP_1) | instskip(NEXT) | instid1(VALU_DEP_1)
	v_cvt_f32_f16_e32 v63, v63
	v_add_f32_e32 v63, v64, v63
	s_delay_alu instid0(VALU_DEP_1) | instskip(SKIP_2) | instid1(VALU_DEP_2)
	v_fmac_f32_e32 v19, v63, v34
	v_pk_fma_f16 v63, v56, v4, 0
	v_pk_fma_f16 v4, v47, v4, 0
	v_pk_fma_f16 v63, v57, v5, v63
	s_delay_alu instid0(VALU_DEP_2) | instskip(NEXT) | instid1(VALU_DEP_2)
	v_pk_fma_f16 v4, v60, v5, v4
	v_pk_fma_f16 v63, v58, v45, v63
	s_delay_alu instid0(VALU_DEP_2) | instskip(NEXT) | instid1(VALU_DEP_2)
	v_pk_fma_f16 v4, v61, v45, v4
	v_pk_fma_f16 v63, v59, v46, v63
	s_delay_alu instid0(VALU_DEP_2) | instskip(NEXT) | instid1(VALU_DEP_2)
	v_pk_fma_f16 v4, v62, v46, v4
	v_cvt_f32_f16_e32 v64, v63
	v_lshrrev_b32_e32 v63, 16, v63
	s_delay_alu instid0(VALU_DEP_3) | instskip(SKIP_1) | instid1(VALU_DEP_3)
	v_cvt_f32_f16_e32 v5, v4
	v_lshrrev_b32_e32 v4, 16, v4
	v_cvt_f32_f16_e32 v63, v63
	s_delay_alu instid0(VALU_DEP_2) | instskip(NEXT) | instid1(VALU_DEP_1)
	v_cvt_f32_f16_e32 v4, v4
	v_dual_add_f32 v63, v64, v63 :: v_dual_add_f32 v4, v5, v4
	s_delay_alu instid0(VALU_DEP_1)
	v_dual_fmac_f32 v20, v63, v33 :: v_dual_fmac_f32 v21, v4, v35
	v_mov_b32_e32 v4, s19
	s_add_i32 s19, s13, 0x408
	ds_load_2addr_b32 v[4:5], v4 offset1:1
	s_waitcnt lgkmcnt(0)
	v_pk_fma_f16 v45, v49, v4, 0
	s_delay_alu instid0(VALU_DEP_1)
	v_pk_fma_f16 v63, v50, v5, v45
	v_mov_b32_e32 v45, s19
	s_add_i32 s19, s13, 0x500
	ds_load_2addr_b32 v[45:46], v45 offset1:1
	s_waitcnt lgkmcnt(0)
	v_pk_fma_f16 v63, v48, v45, v63
	s_delay_alu instid0(VALU_DEP_1) | instskip(NEXT) | instid1(VALU_DEP_1)
	v_pk_fma_f16 v63, v51, v46, v63
	v_cvt_f32_f16_e32 v64, v63
	v_lshrrev_b32_e32 v63, 16, v63
	s_delay_alu instid0(VALU_DEP_1) | instskip(NEXT) | instid1(VALU_DEP_1)
	v_cvt_f32_f16_e32 v63, v63
	v_add_f32_e32 v63, v64, v63
	s_delay_alu instid0(VALU_DEP_1) | instskip(SKIP_1) | instid1(VALU_DEP_1)
	v_fmac_f32_e32 v22, v63, v32
	v_pk_fma_f16 v63, v52, v4, 0
	v_pk_fma_f16 v63, v53, v5, v63
	s_delay_alu instid0(VALU_DEP_1) | instskip(NEXT) | instid1(VALU_DEP_1)
	v_pk_fma_f16 v63, v54, v45, v63
	v_pk_fma_f16 v63, v55, v46, v63
	s_delay_alu instid0(VALU_DEP_1) | instskip(SKIP_1) | instid1(VALU_DEP_1)
	v_cvt_f32_f16_e32 v64, v63
	v_lshrrev_b32_e32 v63, 16, v63
	v_cvt_f32_f16_e32 v63, v63
	s_delay_alu instid0(VALU_DEP_1) | instskip(NEXT) | instid1(VALU_DEP_1)
	v_add_f32_e32 v63, v64, v63
	v_fmac_f32_e32 v23, v63, v34
	v_pk_fma_f16 v63, v56, v4, 0
	v_pk_fma_f16 v4, v47, v4, 0
	s_delay_alu instid0(VALU_DEP_2) | instskip(NEXT) | instid1(VALU_DEP_2)
	v_pk_fma_f16 v63, v57, v5, v63
	v_pk_fma_f16 v4, v60, v5, v4
	s_delay_alu instid0(VALU_DEP_2) | instskip(NEXT) | instid1(VALU_DEP_2)
	;; [unrolled: 3-line block ×3, first 2 shown]
	v_pk_fma_f16 v63, v59, v46, v63
	v_pk_fma_f16 v4, v62, v46, v4
	s_delay_alu instid0(VALU_DEP_2) | instskip(SKIP_1) | instid1(VALU_DEP_3)
	v_cvt_f32_f16_e32 v64, v63
	v_lshrrev_b32_e32 v63, 16, v63
	v_cvt_f32_f16_e32 v5, v4
	v_lshrrev_b32_e32 v4, 16, v4
	s_delay_alu instid0(VALU_DEP_3) | instskip(NEXT) | instid1(VALU_DEP_2)
	v_cvt_f32_f16_e32 v63, v63
	v_cvt_f32_f16_e32 v4, v4
	s_delay_alu instid0(VALU_DEP_1) | instskip(NEXT) | instid1(VALU_DEP_1)
	v_dual_add_f32 v63, v64, v63 :: v_dual_add_f32 v4, v5, v4
	v_dual_fmac_f32 v24, v63, v33 :: v_dual_fmac_f32 v25, v4, v35
	v_mov_b32_e32 v4, s19
	s_add_i32 s19, s13, 0x508
	ds_load_2addr_b32 v[4:5], v4 offset1:1
	s_waitcnt lgkmcnt(0)
	v_pk_fma_f16 v45, v49, v4, 0
	s_delay_alu instid0(VALU_DEP_1)
	v_pk_fma_f16 v49, v50, v5, v45
	v_mov_b32_e32 v45, s19
	s_add_i32 s19, s13, 0x410
	ds_load_2addr_b32 v[45:46], v45 offset1:1
	s_waitcnt lgkmcnt(0)
	v_pk_fma_f16 v48, v48, v45, v49
	s_delay_alu instid0(VALU_DEP_1) | instskip(NEXT) | instid1(VALU_DEP_1)
	v_pk_fma_f16 v48, v51, v46, v48
	v_cvt_f32_f16_e32 v49, v48
	v_lshrrev_b32_e32 v48, 16, v48
	s_delay_alu instid0(VALU_DEP_1) | instskip(NEXT) | instid1(VALU_DEP_1)
	v_cvt_f32_f16_e32 v48, v48
	v_add_f32_e32 v48, v49, v48
	s_delay_alu instid0(VALU_DEP_1) | instskip(SKIP_1) | instid1(VALU_DEP_1)
	v_fmac_f32_e32 v26, v48, v32
	v_pk_fma_f16 v48, v52, v4, 0
	v_pk_fma_f16 v48, v53, v5, v48
	s_delay_alu instid0(VALU_DEP_1) | instskip(NEXT) | instid1(VALU_DEP_1)
	v_pk_fma_f16 v48, v54, v45, v48
	v_pk_fma_f16 v48, v55, v46, v48
	s_delay_alu instid0(VALU_DEP_1) | instskip(SKIP_1) | instid1(VALU_DEP_1)
	v_cvt_f32_f16_e32 v49, v48
	v_lshrrev_b32_e32 v48, 16, v48
	v_cvt_f32_f16_e32 v48, v48
	s_delay_alu instid0(VALU_DEP_1) | instskip(NEXT) | instid1(VALU_DEP_1)
	v_add_f32_e32 v48, v49, v48
	v_fmac_f32_e32 v27, v48, v34
	v_pk_fma_f16 v48, v56, v4, 0
	v_pk_fma_f16 v4, v47, v4, 0
	s_delay_alu instid0(VALU_DEP_2) | instskip(NEXT) | instid1(VALU_DEP_2)
	v_pk_fma_f16 v48, v57, v5, v48
	v_pk_fma_f16 v4, v60, v5, v4
	s_delay_alu instid0(VALU_DEP_2) | instskip(NEXT) | instid1(VALU_DEP_2)
	;; [unrolled: 3-line block ×4, first 2 shown]
	v_cvt_f32_f16_e32 v49, v48
	v_cvt_f32_f16_e32 v5, v4
	v_lshrrev_b32_e32 v4, 16, v4
	v_lshrrev_b32_e32 v48, 16, v48
	s_delay_alu instid0(VALU_DEP_2) | instskip(NEXT) | instid1(VALU_DEP_2)
	v_cvt_f32_f16_e32 v4, v4
	v_cvt_f32_f16_e32 v48, v48
	s_delay_alu instid0(VALU_DEP_2) | instskip(NEXT) | instid1(VALU_DEP_1)
	v_add_f32_e32 v4, v5, v4
	v_dual_add_f32 v48, v49, v48 :: v_dual_fmac_f32 v31, v4, v35
	v_add_co_u32 v4, vcc_lo, v2, s2
	v_add_co_ci_u32_e32 v5, vcc_lo, s3, v3, vcc_lo
	s_delay_alu instid0(VALU_DEP_3)
	v_fmac_f32_e32 v28, v48, v33
	global_load_b128 v[52:55], v[4:5], off
	v_add_co_u32 v4, vcc_lo, v4, s2
	v_add_co_ci_u32_e32 v5, vcc_lo, s3, v5, vcc_lo
	s_waitcnt vmcnt(0)
	v_lshrrev_b32_e32 v47, 8, v52
	v_and_or_b32 v45, v52, s5, 0x64006400
	v_and_or_b32 v46, v52, s17, 0x64006400
	v_lshrrev_b32_e32 v49, 8, v53
	v_and_or_b32 v52, v54, s17, 0x64006400
	v_and_or_b32 v48, v47, s5, 0x64006400
	;; [unrolled: 1-line block ×3, first 2 shown]
	v_pk_add_f16 v60, v36, v45
	v_pk_fma_f16 v59, 0x2c00, v46, v40 op_sel_hi:[0,1,1]
	v_and_or_b32 v50, v49, s5, 0x64006400
	v_pk_add_f16 v45, v36, v48
	v_pk_fma_f16 v46, 0x2c00, v47, v40 op_sel_hi:[0,1,1]
	v_and_or_b32 v47, v53, s5, 0x64006400
	v_and_or_b32 v48, v53, s17, 0x64006400
	;; [unrolled: 1-line block ×3, first 2 shown]
	v_lshrrev_b32_e32 v53, 8, v54
	v_pk_add_f16 v49, v39, v50
	v_and_or_b32 v57, v55, s17, 0x64006400
	v_pk_add_f16 v47, v39, v47
	v_pk_fma_f16 v50, 0x2c00, v51, v43 op_sel_hi:[0,1,1]
	v_and_or_b32 v51, v54, s5, 0x64006400
	v_and_or_b32 v54, v53, s5, 0x64006400
	;; [unrolled: 1-line block ×3, first 2 shown]
	v_pk_fma_f16 v48, 0x2c00, v48, v43 op_sel_hi:[0,1,1]
	v_pk_fma_f16 v52, 0x2c00, v52, v42 op_sel_hi:[0,1,1]
	v_pk_add_f16 v51, v37, v51
	v_pk_add_f16 v53, v37, v54
	v_pk_fma_f16 v54, 0x2c00, v56, v42 op_sel_hi:[0,1,1]
	v_and_or_b32 v56, v55, s5, 0x64006400
	v_lshrrev_b32_e32 v55, 8, v55
	s_delay_alu instid0(VALU_DEP_1) | instskip(SKIP_1) | instid1(VALU_DEP_4)
	v_and_or_b32 v58, v55, s5, 0x64006400
	v_and_or_b32 v61, v55, s17, 0x64006400
	v_pk_add_f16 v55, v38, v56
	v_pk_fma_f16 v56, 0x2c00, v57, v41 op_sel_hi:[0,1,1]
	s_delay_alu instid0(VALU_DEP_4) | instskip(NEXT) | instid1(VALU_DEP_4)
	v_pk_add_f16 v57, v38, v58
	v_pk_fma_f16 v58, 0x2c00, v61, v41 op_sel_hi:[0,1,1]
	ds_load_2addr_b32 v[61:62], v44 offset0:4 offset1:5
	s_waitcnt lgkmcnt(0)
	v_pk_fma_f16 v63, v60, v61, 0
	s_delay_alu instid0(VALU_DEP_1) | instskip(SKIP_3) | instid1(VALU_DEP_1)
	v_pk_fma_f16 v65, v59, v62, v63
	ds_load_2addr_b32 v[63:64], v44 offset0:6 offset1:7
	s_waitcnt lgkmcnt(0)
	v_pk_fma_f16 v65, v45, v63, v65
	v_pk_fma_f16 v65, v46, v64, v65
	s_delay_alu instid0(VALU_DEP_1) | instskip(SKIP_1) | instid1(VALU_DEP_1)
	v_cvt_f32_f16_e32 v66, v65
	v_lshrrev_b32_e32 v65, 16, v65
	v_cvt_f32_f16_e32 v65, v65
	s_delay_alu instid0(VALU_DEP_1) | instskip(NEXT) | instid1(VALU_DEP_1)
	v_add_f32_e32 v65, v66, v65
	v_fmac_f32_e32 v0, v65, v32
	v_pk_fma_f16 v65, v47, v61, 0
	s_delay_alu instid0(VALU_DEP_1) | instskip(NEXT) | instid1(VALU_DEP_1)
	v_pk_fma_f16 v65, v48, v62, v65
	v_pk_fma_f16 v65, v49, v63, v65
	s_delay_alu instid0(VALU_DEP_1) | instskip(NEXT) | instid1(VALU_DEP_1)
	v_pk_fma_f16 v65, v50, v64, v65
	v_cvt_f32_f16_e32 v66, v65
	v_lshrrev_b32_e32 v65, 16, v65
	s_delay_alu instid0(VALU_DEP_1) | instskip(NEXT) | instid1(VALU_DEP_1)
	v_cvt_f32_f16_e32 v65, v65
	v_add_f32_e32 v65, v66, v65
	s_delay_alu instid0(VALU_DEP_1) | instskip(SKIP_2) | instid1(VALU_DEP_2)
	v_fmac_f32_e32 v7, v65, v34
	v_pk_fma_f16 v65, v51, v61, 0
	v_pk_fma_f16 v61, v55, v61, 0
	v_pk_fma_f16 v65, v52, v62, v65
	s_delay_alu instid0(VALU_DEP_2) | instskip(NEXT) | instid1(VALU_DEP_2)
	v_pk_fma_f16 v61, v56, v62, v61
	v_pk_fma_f16 v65, v53, v63, v65
	s_delay_alu instid0(VALU_DEP_2) | instskip(NEXT) | instid1(VALU_DEP_2)
	v_pk_fma_f16 v61, v57, v63, v61
	v_pk_fma_f16 v65, v54, v64, v65
	s_delay_alu instid0(VALU_DEP_2) | instskip(NEXT) | instid1(VALU_DEP_2)
	v_pk_fma_f16 v61, v58, v64, v61
	v_cvt_f32_f16_e32 v66, v65
	s_delay_alu instid0(VALU_DEP_2) | instskip(SKIP_2) | instid1(VALU_DEP_2)
	v_cvt_f32_f16_e32 v62, v61
	v_lshrrev_b32_e32 v61, 16, v61
	v_lshrrev_b32_e32 v65, 16, v65
	v_cvt_f32_f16_e32 v61, v61
	s_delay_alu instid0(VALU_DEP_2) | instskip(NEXT) | instid1(VALU_DEP_2)
	v_cvt_f32_f16_e32 v65, v65
	v_add_f32_e32 v61, v62, v61
	s_delay_alu instid0(VALU_DEP_2) | instskip(NEXT) | instid1(VALU_DEP_2)
	v_add_f32_e32 v65, v66, v65
	v_fmac_f32_e32 v9, v61, v35
	ds_load_2addr_b32 v[61:62], v44 offset0:68 offset1:69
	v_fmac_f32_e32 v8, v65, v33
	s_waitcnt lgkmcnt(0)
	v_pk_fma_f16 v63, v60, v61, 0
	s_delay_alu instid0(VALU_DEP_1) | instskip(SKIP_3) | instid1(VALU_DEP_1)
	v_pk_fma_f16 v65, v59, v62, v63
	ds_load_2addr_b32 v[63:64], v44 offset0:70 offset1:71
	s_waitcnt lgkmcnt(0)
	v_pk_fma_f16 v65, v45, v63, v65
	v_pk_fma_f16 v65, v46, v64, v65
	s_delay_alu instid0(VALU_DEP_1) | instskip(SKIP_1) | instid1(VALU_DEP_1)
	v_cvt_f32_f16_e32 v66, v65
	v_lshrrev_b32_e32 v65, 16, v65
	v_cvt_f32_f16_e32 v65, v65
	s_delay_alu instid0(VALU_DEP_1) | instskip(NEXT) | instid1(VALU_DEP_1)
	v_add_f32_e32 v65, v66, v65
	v_fmac_f32_e32 v10, v65, v32
	v_pk_fma_f16 v65, v47, v61, 0
	s_delay_alu instid0(VALU_DEP_1) | instskip(NEXT) | instid1(VALU_DEP_1)
	v_pk_fma_f16 v65, v48, v62, v65
	v_pk_fma_f16 v65, v49, v63, v65
	s_delay_alu instid0(VALU_DEP_1) | instskip(NEXT) | instid1(VALU_DEP_1)
	v_pk_fma_f16 v65, v50, v64, v65
	v_cvt_f32_f16_e32 v66, v65
	v_lshrrev_b32_e32 v65, 16, v65
	s_delay_alu instid0(VALU_DEP_1) | instskip(NEXT) | instid1(VALU_DEP_1)
	v_cvt_f32_f16_e32 v65, v65
	v_add_f32_e32 v65, v66, v65
	s_delay_alu instid0(VALU_DEP_1) | instskip(SKIP_2) | instid1(VALU_DEP_2)
	v_fmac_f32_e32 v11, v65, v34
	v_pk_fma_f16 v65, v51, v61, 0
	v_pk_fma_f16 v61, v55, v61, 0
	v_pk_fma_f16 v65, v52, v62, v65
	s_delay_alu instid0(VALU_DEP_2) | instskip(NEXT) | instid1(VALU_DEP_2)
	v_pk_fma_f16 v61, v56, v62, v61
	v_pk_fma_f16 v65, v53, v63, v65
	s_delay_alu instid0(VALU_DEP_2) | instskip(NEXT) | instid1(VALU_DEP_2)
	v_pk_fma_f16 v61, v57, v63, v61
	v_pk_fma_f16 v65, v54, v64, v65
	s_delay_alu instid0(VALU_DEP_2) | instskip(NEXT) | instid1(VALU_DEP_2)
	v_pk_fma_f16 v61, v58, v64, v61
	v_cvt_f32_f16_e32 v66, v65
	s_delay_alu instid0(VALU_DEP_2) | instskip(SKIP_2) | instid1(VALU_DEP_2)
	v_cvt_f32_f16_e32 v62, v61
	v_lshrrev_b32_e32 v61, 16, v61
	v_lshrrev_b32_e32 v65, 16, v65
	v_cvt_f32_f16_e32 v61, v61
	s_delay_alu instid0(VALU_DEP_2) | instskip(NEXT) | instid1(VALU_DEP_2)
	v_cvt_f32_f16_e32 v65, v65
	v_add_f32_e32 v61, v62, v61
	s_delay_alu instid0(VALU_DEP_2) | instskip(NEXT) | instid1(VALU_DEP_2)
	v_add_f32_e32 v65, v66, v65
	v_fmac_f32_e32 v13, v61, v35
	ds_load_2addr_b32 v[61:62], v44 offset0:132 offset1:133
	v_fmac_f32_e32 v12, v65, v33
	;; [unrolled: 53-line block ×3, first 2 shown]
	s_waitcnt lgkmcnt(0)
	v_pk_fma_f16 v63, v60, v61, 0
	s_delay_alu instid0(VALU_DEP_1) | instskip(SKIP_3) | instid1(VALU_DEP_1)
	v_pk_fma_f16 v65, v59, v62, v63
	ds_load_2addr_b32 v[63:64], v44 offset0:198 offset1:199
	s_waitcnt lgkmcnt(0)
	v_pk_fma_f16 v65, v45, v63, v65
	v_pk_fma_f16 v65, v46, v64, v65
	s_delay_alu instid0(VALU_DEP_1) | instskip(SKIP_1) | instid1(VALU_DEP_1)
	v_cvt_f32_f16_e32 v66, v65
	v_lshrrev_b32_e32 v65, 16, v65
	v_cvt_f32_f16_e32 v65, v65
	s_delay_alu instid0(VALU_DEP_1) | instskip(NEXT) | instid1(VALU_DEP_1)
	v_add_f32_e32 v65, v66, v65
	v_fmac_f32_e32 v18, v65, v32
	v_pk_fma_f16 v65, v47, v61, 0
	s_delay_alu instid0(VALU_DEP_1) | instskip(NEXT) | instid1(VALU_DEP_1)
	v_pk_fma_f16 v65, v48, v62, v65
	v_pk_fma_f16 v65, v49, v63, v65
	s_delay_alu instid0(VALU_DEP_1) | instskip(NEXT) | instid1(VALU_DEP_1)
	v_pk_fma_f16 v65, v50, v64, v65
	v_cvt_f32_f16_e32 v66, v65
	v_lshrrev_b32_e32 v65, 16, v65
	s_delay_alu instid0(VALU_DEP_1) | instskip(NEXT) | instid1(VALU_DEP_1)
	v_cvt_f32_f16_e32 v65, v65
	v_add_f32_e32 v65, v66, v65
	s_delay_alu instid0(VALU_DEP_1) | instskip(SKIP_2) | instid1(VALU_DEP_2)
	v_fmac_f32_e32 v19, v65, v34
	v_pk_fma_f16 v65, v51, v61, 0
	v_pk_fma_f16 v61, v55, v61, 0
	;; [unrolled: 1-line block ×3, first 2 shown]
	s_delay_alu instid0(VALU_DEP_2) | instskip(NEXT) | instid1(VALU_DEP_2)
	v_pk_fma_f16 v61, v56, v62, v61
	v_pk_fma_f16 v65, v53, v63, v65
	s_delay_alu instid0(VALU_DEP_2) | instskip(NEXT) | instid1(VALU_DEP_2)
	v_pk_fma_f16 v61, v57, v63, v61
	v_pk_fma_f16 v65, v54, v64, v65
	s_delay_alu instid0(VALU_DEP_2) | instskip(NEXT) | instid1(VALU_DEP_2)
	v_pk_fma_f16 v61, v58, v64, v61
	v_cvt_f32_f16_e32 v66, v65
	s_delay_alu instid0(VALU_DEP_2) | instskip(SKIP_2) | instid1(VALU_DEP_2)
	v_cvt_f32_f16_e32 v62, v61
	v_lshrrev_b32_e32 v61, 16, v61
	v_lshrrev_b32_e32 v65, 16, v65
	v_cvt_f32_f16_e32 v61, v61
	s_delay_alu instid0(VALU_DEP_2) | instskip(NEXT) | instid1(VALU_DEP_2)
	v_cvt_f32_f16_e32 v65, v65
	v_add_f32_e32 v61, v62, v61
	s_delay_alu instid0(VALU_DEP_2) | instskip(NEXT) | instid1(VALU_DEP_2)
	v_add_f32_e32 v65, v66, v65
	v_fmac_f32_e32 v21, v61, v35
	v_mov_b32_e32 v61, s19
	s_add_i32 s19, s13, 0x418
	s_delay_alu instid0(VALU_DEP_3) | instskip(SKIP_3) | instid1(VALU_DEP_1)
	v_fmac_f32_e32 v20, v65, v33
	ds_load_2addr_b32 v[61:62], v61 offset1:1
	s_waitcnt lgkmcnt(0)
	v_pk_fma_f16 v63, v60, v61, 0
	v_pk_fma_f16 v65, v59, v62, v63
	v_mov_b32_e32 v63, s19
	s_add_i32 s19, s13, 0x510
	ds_load_2addr_b32 v[63:64], v63 offset1:1
	s_waitcnt lgkmcnt(0)
	v_pk_fma_f16 v65, v45, v63, v65
	s_delay_alu instid0(VALU_DEP_1) | instskip(NEXT) | instid1(VALU_DEP_1)
	v_pk_fma_f16 v65, v46, v64, v65
	v_cvt_f32_f16_e32 v66, v65
	v_lshrrev_b32_e32 v65, 16, v65
	s_delay_alu instid0(VALU_DEP_1) | instskip(NEXT) | instid1(VALU_DEP_1)
	v_cvt_f32_f16_e32 v65, v65
	v_add_f32_e32 v65, v66, v65
	s_delay_alu instid0(VALU_DEP_1) | instskip(SKIP_1) | instid1(VALU_DEP_1)
	v_fmac_f32_e32 v22, v65, v32
	v_pk_fma_f16 v65, v47, v61, 0
	v_pk_fma_f16 v65, v48, v62, v65
	s_delay_alu instid0(VALU_DEP_1) | instskip(NEXT) | instid1(VALU_DEP_1)
	v_pk_fma_f16 v65, v49, v63, v65
	v_pk_fma_f16 v65, v50, v64, v65
	s_delay_alu instid0(VALU_DEP_1) | instskip(SKIP_1) | instid1(VALU_DEP_1)
	v_cvt_f32_f16_e32 v66, v65
	v_lshrrev_b32_e32 v65, 16, v65
	v_cvt_f32_f16_e32 v65, v65
	s_delay_alu instid0(VALU_DEP_1) | instskip(NEXT) | instid1(VALU_DEP_1)
	v_add_f32_e32 v65, v66, v65
	v_fmac_f32_e32 v23, v65, v34
	v_pk_fma_f16 v65, v51, v61, 0
	v_pk_fma_f16 v61, v55, v61, 0
	s_delay_alu instid0(VALU_DEP_2) | instskip(NEXT) | instid1(VALU_DEP_2)
	v_pk_fma_f16 v65, v52, v62, v65
	v_pk_fma_f16 v61, v56, v62, v61
	s_delay_alu instid0(VALU_DEP_2) | instskip(NEXT) | instid1(VALU_DEP_2)
	;; [unrolled: 3-line block ×3, first 2 shown]
	v_pk_fma_f16 v65, v54, v64, v65
	v_pk_fma_f16 v61, v58, v64, v61
	s_delay_alu instid0(VALU_DEP_2) | instskip(SKIP_1) | instid1(VALU_DEP_3)
	v_cvt_f32_f16_e32 v66, v65
	v_lshrrev_b32_e32 v65, 16, v65
	v_cvt_f32_f16_e32 v62, v61
	v_lshrrev_b32_e32 v61, 16, v61
	s_delay_alu instid0(VALU_DEP_3) | instskip(NEXT) | instid1(VALU_DEP_2)
	v_cvt_f32_f16_e32 v65, v65
	v_cvt_f32_f16_e32 v61, v61
	s_delay_alu instid0(VALU_DEP_2) | instskip(NEXT) | instid1(VALU_DEP_2)
	v_add_f32_e32 v65, v66, v65
	v_add_f32_e32 v61, v62, v61
	s_delay_alu instid0(VALU_DEP_2) | instskip(NEXT) | instid1(VALU_DEP_2)
	v_fmac_f32_e32 v24, v65, v33
	v_fmac_f32_e32 v25, v61, v35
	v_mov_b32_e32 v61, s19
	s_add_i32 s19, s13, 0x518
	ds_load_2addr_b32 v[61:62], v61 offset1:1
	s_waitcnt lgkmcnt(0)
	v_pk_fma_f16 v60, v60, v61, 0
	s_delay_alu instid0(VALU_DEP_1)
	v_pk_fma_f16 v63, v59, v62, v60
	v_mov_b32_e32 v59, s19
	s_add_i32 s19, s13, 0x420
	ds_load_2addr_b32 v[59:60], v59 offset1:1
	s_waitcnt lgkmcnt(0)
	v_pk_fma_f16 v45, v45, v59, v63
	s_delay_alu instid0(VALU_DEP_1) | instskip(NEXT) | instid1(VALU_DEP_1)
	v_pk_fma_f16 v45, v46, v60, v45
	v_cvt_f32_f16_e32 v46, v45
	v_lshrrev_b32_e32 v45, 16, v45
	s_delay_alu instid0(VALU_DEP_1) | instskip(NEXT) | instid1(VALU_DEP_1)
	v_cvt_f32_f16_e32 v45, v45
	v_add_f32_e32 v45, v46, v45
	s_delay_alu instid0(VALU_DEP_1) | instskip(SKIP_1) | instid1(VALU_DEP_1)
	v_fmac_f32_e32 v26, v45, v32
	v_pk_fma_f16 v45, v47, v61, 0
	v_pk_fma_f16 v45, v48, v62, v45
	s_delay_alu instid0(VALU_DEP_1) | instskip(NEXT) | instid1(VALU_DEP_1)
	v_pk_fma_f16 v45, v49, v59, v45
	v_pk_fma_f16 v45, v50, v60, v45
	s_delay_alu instid0(VALU_DEP_1) | instskip(SKIP_1) | instid1(VALU_DEP_1)
	v_cvt_f32_f16_e32 v46, v45
	v_lshrrev_b32_e32 v45, 16, v45
	v_cvt_f32_f16_e32 v45, v45
	s_delay_alu instid0(VALU_DEP_1) | instskip(NEXT) | instid1(VALU_DEP_1)
	v_add_f32_e32 v45, v46, v45
	v_fmac_f32_e32 v27, v45, v34
	v_pk_fma_f16 v45, v51, v61, 0
	s_delay_alu instid0(VALU_DEP_1) | instskip(NEXT) | instid1(VALU_DEP_1)
	v_pk_fma_f16 v45, v52, v62, v45
	v_pk_fma_f16 v45, v53, v59, v45
	s_delay_alu instid0(VALU_DEP_1) | instskip(NEXT) | instid1(VALU_DEP_1)
	v_pk_fma_f16 v45, v54, v60, v45
	v_cvt_f32_f16_e32 v46, v45
	v_lshrrev_b32_e32 v45, 16, v45
	s_delay_alu instid0(VALU_DEP_1) | instskip(NEXT) | instid1(VALU_DEP_1)
	v_cvt_f32_f16_e32 v45, v45
	v_add_f32_e32 v45, v46, v45
	s_delay_alu instid0(VALU_DEP_1) | instskip(SKIP_1) | instid1(VALU_DEP_1)
	v_fmac_f32_e32 v28, v45, v33
	v_pk_fma_f16 v45, v55, v61, 0
	v_pk_fma_f16 v45, v56, v62, v45
	s_delay_alu instid0(VALU_DEP_1) | instskip(NEXT) | instid1(VALU_DEP_1)
	v_pk_fma_f16 v45, v57, v59, v45
	v_pk_fma_f16 v45, v58, v60, v45
	s_delay_alu instid0(VALU_DEP_1) | instskip(SKIP_1) | instid1(VALU_DEP_1)
	v_cvt_f32_f16_e32 v46, v45
	v_lshrrev_b32_e32 v45, 16, v45
	v_cvt_f32_f16_e32 v45, v45
	s_delay_alu instid0(VALU_DEP_1) | instskip(NEXT) | instid1(VALU_DEP_1)
	v_add_f32_e32 v45, v46, v45
	v_fmac_f32_e32 v31, v45, v35
	global_load_b128 v[45:48], v[4:5], off
	v_add_co_u32 v4, vcc_lo, v4, s2
	v_add_co_ci_u32_e32 v5, vcc_lo, s3, v5, vcc_lo
	v_add_co_u32 v2, vcc_lo, v2, s0
	v_add_co_ci_u32_e32 v3, vcc_lo, s1, v3, vcc_lo
	s_waitcnt vmcnt(0)
	v_and_or_b32 v49, v45, s5, 0x64006400
	v_and_or_b32 v50, v45, s17, 0x64006400
	v_lshrrev_b32_e32 v45, 8, v45
	v_and_or_b32 v53, v46, s17, 0x64006400
	s_delay_alu instid0(VALU_DEP_4) | instskip(NEXT) | instid1(VALU_DEP_4)
	v_pk_add_f16 v49, v36, v49
	v_pk_fma_f16 v50, 0x2c00, v50, v40 op_sel_hi:[0,1,1]
	s_delay_alu instid0(VALU_DEP_4) | instskip(SKIP_2) | instid1(VALU_DEP_3)
	v_and_or_b32 v51, v45, s5, 0x64006400
	v_and_or_b32 v45, v45, s17, 0x64006400
	v_pk_fma_f16 v53, 0x2c00, v53, v43 op_sel_hi:[0,1,1]
	v_pk_add_f16 v51, v36, v51
	s_delay_alu instid0(VALU_DEP_3) | instskip(SKIP_2) | instid1(VALU_DEP_2)
	v_pk_fma_f16 v52, 0x2c00, v45, v40 op_sel_hi:[0,1,1]
	v_and_or_b32 v45, v46, s5, 0x64006400
	v_lshrrev_b32_e32 v46, 8, v46
	v_pk_add_f16 v55, v39, v45
	s_delay_alu instid0(VALU_DEP_2) | instskip(SKIP_2) | instid1(VALU_DEP_3)
	v_and_or_b32 v54, v46, s5, 0x64006400
	v_and_or_b32 v46, v46, s17, 0x64006400
	;; [unrolled: 1-line block ×3, first 2 shown]
	v_pk_add_f16 v54, v39, v54
	s_delay_alu instid0(VALU_DEP_3) | instskip(SKIP_1) | instid1(VALU_DEP_4)
	v_pk_fma_f16 v56, 0x2c00, v46, v43 op_sel_hi:[0,1,1]
	v_and_or_b32 v46, v47, s17, 0x64006400
	v_pk_add_f16 v58, v37, v45
	v_and_or_b32 v45, v48, s5, 0x64006400
	v_lshrrev_b32_e32 v47, 8, v47
	s_delay_alu instid0(VALU_DEP_4) | instskip(SKIP_1) | instid1(VALU_DEP_4)
	v_pk_fma_f16 v59, 0x2c00, v46, v42 op_sel_hi:[0,1,1]
	v_and_or_b32 v46, v48, s17, 0x64006400
	v_pk_add_f16 v61, v38, v45
	s_delay_alu instid0(VALU_DEP_4) | instskip(SKIP_1) | instid1(VALU_DEP_4)
	v_and_or_b32 v57, v47, s5, 0x64006400
	v_and_or_b32 v47, v47, s17, 0x64006400
	v_pk_fma_f16 v62, 0x2c00, v46, v41 op_sel_hi:[0,1,1]
	ds_load_2addr_b32 v[45:46], v44 offset0:8 offset1:9
	v_pk_add_f16 v57, v37, v57
	v_pk_fma_f16 v60, 0x2c00, v47, v42 op_sel_hi:[0,1,1]
	v_lshrrev_b32_e32 v47, 8, v48
	s_delay_alu instid0(VALU_DEP_1) | instskip(SKIP_1) | instid1(VALU_DEP_2)
	v_and_or_b32 v48, v47, s5, 0x64006400
	v_and_or_b32 v47, v47, s17, 0x64006400
	v_pk_add_f16 v63, v38, v48
	s_delay_alu instid0(VALU_DEP_2) | instskip(SKIP_2) | instid1(VALU_DEP_1)
	v_pk_fma_f16 v64, 0x2c00, v47, v41 op_sel_hi:[0,1,1]
	s_waitcnt lgkmcnt(0)
	v_pk_fma_f16 v47, v49, v45, 0
	v_pk_fma_f16 v65, v50, v46, v47
	ds_load_2addr_b32 v[47:48], v44 offset0:10 offset1:11
	s_waitcnt lgkmcnt(0)
	v_pk_fma_f16 v65, v51, v47, v65
	s_delay_alu instid0(VALU_DEP_1) | instskip(NEXT) | instid1(VALU_DEP_1)
	v_pk_fma_f16 v65, v52, v48, v65
	v_cvt_f32_f16_e32 v66, v65
	v_lshrrev_b32_e32 v65, 16, v65
	s_delay_alu instid0(VALU_DEP_1) | instskip(NEXT) | instid1(VALU_DEP_1)
	v_cvt_f32_f16_e32 v65, v65
	v_add_f32_e32 v65, v66, v65
	s_delay_alu instid0(VALU_DEP_1) | instskip(SKIP_1) | instid1(VALU_DEP_1)
	v_fmac_f32_e32 v0, v65, v32
	v_pk_fma_f16 v65, v55, v45, 0
	v_pk_fma_f16 v65, v53, v46, v65
	s_delay_alu instid0(VALU_DEP_1) | instskip(NEXT) | instid1(VALU_DEP_1)
	v_pk_fma_f16 v65, v54, v47, v65
	v_pk_fma_f16 v65, v56, v48, v65
	s_delay_alu instid0(VALU_DEP_1) | instskip(SKIP_1) | instid1(VALU_DEP_1)
	v_cvt_f32_f16_e32 v66, v65
	v_lshrrev_b32_e32 v65, 16, v65
	v_cvt_f32_f16_e32 v65, v65
	s_delay_alu instid0(VALU_DEP_1) | instskip(NEXT) | instid1(VALU_DEP_1)
	v_add_f32_e32 v65, v66, v65
	v_fmac_f32_e32 v7, v65, v34
	v_pk_fma_f16 v65, v58, v45, 0
	v_pk_fma_f16 v45, v61, v45, 0
	s_delay_alu instid0(VALU_DEP_2) | instskip(NEXT) | instid1(VALU_DEP_2)
	v_pk_fma_f16 v65, v59, v46, v65
	v_pk_fma_f16 v45, v62, v46, v45
	s_delay_alu instid0(VALU_DEP_2) | instskip(NEXT) | instid1(VALU_DEP_2)
	v_pk_fma_f16 v65, v57, v47, v65
	v_pk_fma_f16 v45, v63, v47, v45
	s_delay_alu instid0(VALU_DEP_2) | instskip(NEXT) | instid1(VALU_DEP_2)
	v_pk_fma_f16 v65, v60, v48, v65
	v_pk_fma_f16 v45, v64, v48, v45
	s_delay_alu instid0(VALU_DEP_2) | instskip(NEXT) | instid1(VALU_DEP_2)
	v_cvt_f32_f16_e32 v66, v65
	v_cvt_f32_f16_e32 v46, v45
	v_lshrrev_b32_e32 v45, 16, v45
	v_lshrrev_b32_e32 v65, 16, v65
	s_delay_alu instid0(VALU_DEP_2) | instskip(NEXT) | instid1(VALU_DEP_2)
	v_cvt_f32_f16_e32 v45, v45
	v_cvt_f32_f16_e32 v65, v65
	s_delay_alu instid0(VALU_DEP_2) | instskip(NEXT) | instid1(VALU_DEP_2)
	v_add_f32_e32 v45, v46, v45
	v_add_f32_e32 v65, v66, v65
	s_delay_alu instid0(VALU_DEP_2) | instskip(SKIP_4) | instid1(VALU_DEP_1)
	v_fmac_f32_e32 v9, v45, v35
	ds_load_2addr_b32 v[45:46], v44 offset0:72 offset1:73
	v_fmac_f32_e32 v8, v65, v33
	s_waitcnt lgkmcnt(0)
	v_pk_fma_f16 v47, v49, v45, 0
	v_pk_fma_f16 v65, v50, v46, v47
	ds_load_2addr_b32 v[47:48], v44 offset0:74 offset1:75
	s_waitcnt lgkmcnt(0)
	v_pk_fma_f16 v65, v51, v47, v65
	s_delay_alu instid0(VALU_DEP_1) | instskip(NEXT) | instid1(VALU_DEP_1)
	v_pk_fma_f16 v65, v52, v48, v65
	v_cvt_f32_f16_e32 v66, v65
	v_lshrrev_b32_e32 v65, 16, v65
	s_delay_alu instid0(VALU_DEP_1) | instskip(NEXT) | instid1(VALU_DEP_1)
	v_cvt_f32_f16_e32 v65, v65
	v_add_f32_e32 v65, v66, v65
	s_delay_alu instid0(VALU_DEP_1) | instskip(SKIP_1) | instid1(VALU_DEP_1)
	v_fmac_f32_e32 v10, v65, v32
	v_pk_fma_f16 v65, v55, v45, 0
	v_pk_fma_f16 v65, v53, v46, v65
	s_delay_alu instid0(VALU_DEP_1) | instskip(NEXT) | instid1(VALU_DEP_1)
	v_pk_fma_f16 v65, v54, v47, v65
	v_pk_fma_f16 v65, v56, v48, v65
	s_delay_alu instid0(VALU_DEP_1) | instskip(SKIP_1) | instid1(VALU_DEP_1)
	v_cvt_f32_f16_e32 v66, v65
	v_lshrrev_b32_e32 v65, 16, v65
	v_cvt_f32_f16_e32 v65, v65
	s_delay_alu instid0(VALU_DEP_1) | instskip(NEXT) | instid1(VALU_DEP_1)
	v_add_f32_e32 v65, v66, v65
	v_fmac_f32_e32 v11, v65, v34
	v_pk_fma_f16 v65, v58, v45, 0
	v_pk_fma_f16 v45, v61, v45, 0
	s_delay_alu instid0(VALU_DEP_2) | instskip(NEXT) | instid1(VALU_DEP_2)
	v_pk_fma_f16 v65, v59, v46, v65
	v_pk_fma_f16 v45, v62, v46, v45
	s_delay_alu instid0(VALU_DEP_2) | instskip(NEXT) | instid1(VALU_DEP_2)
	v_pk_fma_f16 v65, v57, v47, v65
	v_pk_fma_f16 v45, v63, v47, v45
	s_delay_alu instid0(VALU_DEP_2) | instskip(NEXT) | instid1(VALU_DEP_2)
	v_pk_fma_f16 v65, v60, v48, v65
	v_pk_fma_f16 v45, v64, v48, v45
	s_delay_alu instid0(VALU_DEP_2) | instskip(NEXT) | instid1(VALU_DEP_2)
	v_cvt_f32_f16_e32 v66, v65
	v_cvt_f32_f16_e32 v46, v45
	v_lshrrev_b32_e32 v45, 16, v45
	v_lshrrev_b32_e32 v65, 16, v65
	s_delay_alu instid0(VALU_DEP_2) | instskip(NEXT) | instid1(VALU_DEP_2)
	v_cvt_f32_f16_e32 v45, v45
	v_cvt_f32_f16_e32 v65, v65
	s_delay_alu instid0(VALU_DEP_2) | instskip(NEXT) | instid1(VALU_DEP_2)
	v_add_f32_e32 v45, v46, v45
	v_add_f32_e32 v65, v66, v65
	s_delay_alu instid0(VALU_DEP_2) | instskip(SKIP_4) | instid1(VALU_DEP_1)
	v_fmac_f32_e32 v13, v45, v35
	ds_load_2addr_b32 v[45:46], v44 offset0:136 offset1:137
	v_fmac_f32_e32 v12, v65, v33
	;; [unrolled: 53-line block ×3, first 2 shown]
	s_waitcnt lgkmcnt(0)
	v_pk_fma_f16 v47, v49, v45, 0
	v_pk_fma_f16 v65, v50, v46, v47
	ds_load_2addr_b32 v[47:48], v44 offset0:202 offset1:203
	s_waitcnt lgkmcnt(0)
	v_pk_fma_f16 v65, v51, v47, v65
	s_delay_alu instid0(VALU_DEP_1) | instskip(NEXT) | instid1(VALU_DEP_1)
	v_pk_fma_f16 v65, v52, v48, v65
	v_cvt_f32_f16_e32 v66, v65
	v_lshrrev_b32_e32 v65, 16, v65
	s_delay_alu instid0(VALU_DEP_1) | instskip(NEXT) | instid1(VALU_DEP_1)
	v_cvt_f32_f16_e32 v65, v65
	v_add_f32_e32 v65, v66, v65
	s_delay_alu instid0(VALU_DEP_1) | instskip(SKIP_1) | instid1(VALU_DEP_1)
	v_fmac_f32_e32 v18, v65, v32
	v_pk_fma_f16 v65, v55, v45, 0
	v_pk_fma_f16 v65, v53, v46, v65
	s_delay_alu instid0(VALU_DEP_1) | instskip(NEXT) | instid1(VALU_DEP_1)
	v_pk_fma_f16 v65, v54, v47, v65
	v_pk_fma_f16 v65, v56, v48, v65
	s_delay_alu instid0(VALU_DEP_1) | instskip(SKIP_1) | instid1(VALU_DEP_1)
	v_cvt_f32_f16_e32 v66, v65
	v_lshrrev_b32_e32 v65, 16, v65
	v_cvt_f32_f16_e32 v65, v65
	s_delay_alu instid0(VALU_DEP_1) | instskip(NEXT) | instid1(VALU_DEP_1)
	v_add_f32_e32 v65, v66, v65
	v_fmac_f32_e32 v19, v65, v34
	v_pk_fma_f16 v65, v58, v45, 0
	v_pk_fma_f16 v45, v61, v45, 0
	s_delay_alu instid0(VALU_DEP_2) | instskip(NEXT) | instid1(VALU_DEP_2)
	v_pk_fma_f16 v65, v59, v46, v65
	v_pk_fma_f16 v45, v62, v46, v45
	s_delay_alu instid0(VALU_DEP_2) | instskip(NEXT) | instid1(VALU_DEP_2)
	;; [unrolled: 3-line block ×4, first 2 shown]
	v_cvt_f32_f16_e32 v66, v65
	v_cvt_f32_f16_e32 v46, v45
	v_lshrrev_b32_e32 v45, 16, v45
	v_lshrrev_b32_e32 v65, 16, v65
	s_delay_alu instid0(VALU_DEP_2) | instskip(NEXT) | instid1(VALU_DEP_2)
	v_cvt_f32_f16_e32 v45, v45
	v_cvt_f32_f16_e32 v65, v65
	s_delay_alu instid0(VALU_DEP_2) | instskip(NEXT) | instid1(VALU_DEP_2)
	v_add_f32_e32 v45, v46, v45
	v_add_f32_e32 v65, v66, v65
	s_delay_alu instid0(VALU_DEP_2) | instskip(SKIP_2) | instid1(VALU_DEP_3)
	v_fmac_f32_e32 v21, v45, v35
	v_mov_b32_e32 v45, s19
	s_add_i32 s19, s13, 0x428
	v_fmac_f32_e32 v20, v65, v33
	ds_load_2addr_b32 v[45:46], v45 offset1:1
	s_waitcnt lgkmcnt(0)
	v_pk_fma_f16 v47, v49, v45, 0
	s_delay_alu instid0(VALU_DEP_1)
	v_pk_fma_f16 v65, v50, v46, v47
	v_mov_b32_e32 v47, s19
	s_add_i32 s19, s13, 0x520
	ds_load_2addr_b32 v[47:48], v47 offset1:1
	s_waitcnt lgkmcnt(0)
	v_pk_fma_f16 v65, v51, v47, v65
	s_delay_alu instid0(VALU_DEP_1) | instskip(NEXT) | instid1(VALU_DEP_1)
	v_pk_fma_f16 v65, v52, v48, v65
	v_cvt_f32_f16_e32 v66, v65
	v_lshrrev_b32_e32 v65, 16, v65
	s_delay_alu instid0(VALU_DEP_1) | instskip(NEXT) | instid1(VALU_DEP_1)
	v_cvt_f32_f16_e32 v65, v65
	v_add_f32_e32 v65, v66, v65
	s_delay_alu instid0(VALU_DEP_1) | instskip(SKIP_1) | instid1(VALU_DEP_1)
	v_fmac_f32_e32 v22, v65, v32
	v_pk_fma_f16 v65, v55, v45, 0
	v_pk_fma_f16 v65, v53, v46, v65
	s_delay_alu instid0(VALU_DEP_1) | instskip(NEXT) | instid1(VALU_DEP_1)
	v_pk_fma_f16 v65, v54, v47, v65
	v_pk_fma_f16 v65, v56, v48, v65
	s_delay_alu instid0(VALU_DEP_1) | instskip(SKIP_1) | instid1(VALU_DEP_1)
	v_cvt_f32_f16_e32 v66, v65
	v_lshrrev_b32_e32 v65, 16, v65
	v_cvt_f32_f16_e32 v65, v65
	s_delay_alu instid0(VALU_DEP_1) | instskip(NEXT) | instid1(VALU_DEP_1)
	v_add_f32_e32 v65, v66, v65
	v_fmac_f32_e32 v23, v65, v34
	v_pk_fma_f16 v65, v58, v45, 0
	v_pk_fma_f16 v45, v61, v45, 0
	s_delay_alu instid0(VALU_DEP_2) | instskip(NEXT) | instid1(VALU_DEP_2)
	v_pk_fma_f16 v65, v59, v46, v65
	v_pk_fma_f16 v45, v62, v46, v45
	s_delay_alu instid0(VALU_DEP_2) | instskip(NEXT) | instid1(VALU_DEP_2)
	;; [unrolled: 3-line block ×4, first 2 shown]
	v_cvt_f32_f16_e32 v66, v65
	v_cvt_f32_f16_e32 v46, v45
	v_lshrrev_b32_e32 v45, 16, v45
	v_lshrrev_b32_e32 v65, 16, v65
	s_delay_alu instid0(VALU_DEP_2) | instskip(NEXT) | instid1(VALU_DEP_2)
	v_cvt_f32_f16_e32 v45, v45
	v_cvt_f32_f16_e32 v65, v65
	s_delay_alu instid0(VALU_DEP_2) | instskip(NEXT) | instid1(VALU_DEP_2)
	v_add_f32_e32 v45, v46, v45
	v_add_f32_e32 v65, v66, v65
	s_delay_alu instid0(VALU_DEP_2)
	v_fmac_f32_e32 v25, v45, v35
	v_mov_b32_e32 v45, s19
	s_add_i32 s19, s13, 0x528
	ds_load_2addr_b32 v[45:46], v45 offset1:1
	s_waitcnt lgkmcnt(0)
	v_pk_fma_f16 v47, v49, v45, 0
	s_delay_alu instid0(VALU_DEP_1)
	v_pk_fma_f16 v49, v50, v46, v47
	v_mov_b32_e32 v47, s19
	s_add_i32 s19, s13, 0x430
	ds_load_2addr_b32 v[47:48], v47 offset1:1
	s_waitcnt lgkmcnt(0)
	v_pk_fma_f16 v49, v51, v47, v49
	s_delay_alu instid0(VALU_DEP_1) | instskip(NEXT) | instid1(VALU_DEP_1)
	v_pk_fma_f16 v49, v52, v48, v49
	v_cvt_f32_f16_e32 v50, v49
	v_lshrrev_b32_e32 v49, 16, v49
	s_delay_alu instid0(VALU_DEP_1) | instskip(NEXT) | instid1(VALU_DEP_1)
	v_cvt_f32_f16_e32 v49, v49
	v_add_f32_e32 v49, v50, v49
	s_delay_alu instid0(VALU_DEP_1) | instskip(SKIP_1) | instid1(VALU_DEP_1)
	v_fmac_f32_e32 v26, v49, v32
	v_pk_fma_f16 v49, v55, v45, 0
	v_pk_fma_f16 v49, v53, v46, v49
	s_delay_alu instid0(VALU_DEP_1) | instskip(NEXT) | instid1(VALU_DEP_1)
	v_pk_fma_f16 v49, v54, v47, v49
	v_pk_fma_f16 v49, v56, v48, v49
	s_delay_alu instid0(VALU_DEP_1) | instskip(SKIP_1) | instid1(VALU_DEP_1)
	v_cvt_f32_f16_e32 v50, v49
	v_lshrrev_b32_e32 v49, 16, v49
	v_cvt_f32_f16_e32 v49, v49
	s_delay_alu instid0(VALU_DEP_1) | instskip(NEXT) | instid1(VALU_DEP_1)
	v_add_f32_e32 v49, v50, v49
	v_fmac_f32_e32 v27, v49, v34
	v_pk_fma_f16 v49, v58, v45, 0
	v_pk_fma_f16 v45, v61, v45, 0
	s_delay_alu instid0(VALU_DEP_2) | instskip(NEXT) | instid1(VALU_DEP_2)
	v_pk_fma_f16 v49, v59, v46, v49
	v_pk_fma_f16 v45, v62, v46, v45
	s_delay_alu instid0(VALU_DEP_2) | instskip(NEXT) | instid1(VALU_DEP_2)
	v_pk_fma_f16 v49, v57, v47, v49
	v_pk_fma_f16 v45, v63, v47, v45
	s_delay_alu instid0(VALU_DEP_2) | instskip(SKIP_4) | instid1(VALU_DEP_3)
	v_pk_fma_f16 v49, v60, v48, v49
	global_load_b128 v[58:61], v[4:5], off
	v_pk_fma_f16 v45, v64, v48, v45
	v_cvt_f32_f16_e32 v50, v49
	v_lshrrev_b32_e32 v49, 16, v49
	v_cvt_f32_f16_e32 v46, v45
	v_lshrrev_b32_e32 v45, 16, v45
	s_delay_alu instid0(VALU_DEP_3) | instskip(NEXT) | instid1(VALU_DEP_2)
	v_cvt_f32_f16_e32 v49, v49
	v_cvt_f32_f16_e32 v45, v45
	s_delay_alu instid0(VALU_DEP_2) | instskip(NEXT) | instid1(VALU_DEP_2)
	v_add_f32_e32 v49, v50, v49
	v_add_f32_e32 v45, v46, v45
	s_delay_alu instid0(VALU_DEP_2) | instskip(NEXT) | instid1(VALU_DEP_2)
	v_fmac_f32_e32 v28, v49, v33
	v_fmac_f32_e32 v31, v45, v35
	s_waitcnt vmcnt(0)
	v_lshrrev_b32_e32 v45, 8, v58
	v_and_or_b32 v4, v58, s5, 0x64006400
	v_and_or_b32 v5, v58, s17, 0x64006400
	s_delay_alu instid0(VALU_DEP_3) | instskip(SKIP_1) | instid1(VALU_DEP_4)
	v_and_or_b32 v46, v45, s5, 0x64006400
	v_and_or_b32 v45, v45, s17, 0x64006400
	v_pk_add_f16 v58, v36, v4
	s_delay_alu instid0(VALU_DEP_4)
	v_pk_fma_f16 v57, 0x2c00, v5, v40 op_sel_hi:[0,1,1]
	v_and_or_b32 v4, v59, s5, 0x64006400
	v_pk_add_f16 v55, v36, v46
	v_pk_fma_f16 v56, 0x2c00, v45, v40 op_sel_hi:[0,1,1]
	v_lshrrev_b32_e32 v45, 8, v59
	v_and_or_b32 v5, v59, s17, 0x64006400
	v_pk_add_f16 v51, v39, v4
	v_and_or_b32 v4, v60, s5, 0x64006400
	s_delay_alu instid0(VALU_DEP_4)
	v_and_or_b32 v46, v45, s5, 0x64006400
	v_and_or_b32 v45, v45, s17, 0x64006400
	v_pk_fma_f16 v52, 0x2c00, v5, v43 op_sel_hi:[0,1,1]
	v_and_or_b32 v5, v60, s17, 0x64006400
	v_pk_add_f16 v47, v37, v4
	v_pk_add_f16 v53, v39, v46
	v_pk_fma_f16 v54, 0x2c00, v45, v43 op_sel_hi:[0,1,1]
	v_lshrrev_b32_e32 v45, 8, v60
	v_pk_fma_f16 v48, 0x2c00, v5, v42 op_sel_hi:[0,1,1]
	v_and_or_b32 v4, v61, s5, 0x64006400
	v_and_or_b32 v5, v61, s17, 0x64006400
	s_delay_alu instid0(VALU_DEP_4) | instskip(SKIP_1) | instid1(VALU_DEP_2)
	v_and_or_b32 v46, v45, s5, 0x64006400
	v_and_or_b32 v45, v45, s17, 0x64006400
	v_pk_add_f16 v49, v37, v46
	s_delay_alu instid0(VALU_DEP_2) | instskip(SKIP_2) | instid1(VALU_DEP_2)
	v_pk_fma_f16 v50, 0x2c00, v45, v42 op_sel_hi:[0,1,1]
	v_lshrrev_b32_e32 v45, 8, v61
	v_pk_add_f16 v46, v38, v4
	v_and_or_b32 v59, v45, s5, 0x64006400
	v_and_or_b32 v60, v45, s17, 0x64006400
	v_pk_fma_f16 v45, 0x2c00, v5, v41 op_sel_hi:[0,1,1]
	s_delay_alu instid0(VALU_DEP_3) | instskip(NEXT) | instid1(VALU_DEP_3)
	v_pk_add_f16 v5, v38, v59
	v_pk_fma_f16 v4, 0x2c00, v60, v41 op_sel_hi:[0,1,1]
	ds_load_2addr_b32 v[59:60], v44 offset0:12 offset1:13
	s_waitcnt lgkmcnt(0)
	v_pk_fma_f16 v61, v58, v59, 0
	s_delay_alu instid0(VALU_DEP_1) | instskip(SKIP_3) | instid1(VALU_DEP_1)
	v_pk_fma_f16 v63, v57, v60, v61
	ds_load_2addr_b32 v[61:62], v44 offset0:14 offset1:15
	s_waitcnt lgkmcnt(0)
	v_pk_fma_f16 v63, v55, v61, v63
	v_pk_fma_f16 v63, v56, v62, v63
	s_delay_alu instid0(VALU_DEP_1) | instskip(SKIP_1) | instid1(VALU_DEP_1)
	v_cvt_f32_f16_e32 v64, v63
	v_lshrrev_b32_e32 v63, 16, v63
	v_cvt_f32_f16_e32 v63, v63
	s_delay_alu instid0(VALU_DEP_1) | instskip(NEXT) | instid1(VALU_DEP_1)
	v_dual_fmac_f32 v24, v65, v33 :: v_dual_add_f32 v63, v64, v63
	v_fmac_f32_e32 v0, v63, v32
	v_pk_fma_f16 v63, v51, v59, 0
	s_delay_alu instid0(VALU_DEP_1) | instskip(NEXT) | instid1(VALU_DEP_1)
	v_pk_fma_f16 v63, v52, v60, v63
	v_pk_fma_f16 v63, v53, v61, v63
	s_delay_alu instid0(VALU_DEP_1) | instskip(NEXT) | instid1(VALU_DEP_1)
	v_pk_fma_f16 v63, v54, v62, v63
	v_cvt_f32_f16_e32 v64, v63
	v_lshrrev_b32_e32 v63, 16, v63
	s_delay_alu instid0(VALU_DEP_1) | instskip(NEXT) | instid1(VALU_DEP_1)
	v_cvt_f32_f16_e32 v63, v63
	v_add_f32_e32 v63, v64, v63
	s_delay_alu instid0(VALU_DEP_1) | instskip(SKIP_2) | instid1(VALU_DEP_2)
	v_fmac_f32_e32 v7, v63, v34
	v_pk_fma_f16 v63, v47, v59, 0
	v_pk_fma_f16 v59, v46, v59, 0
	v_pk_fma_f16 v63, v48, v60, v63
	s_delay_alu instid0(VALU_DEP_2) | instskip(NEXT) | instid1(VALU_DEP_2)
	v_pk_fma_f16 v59, v45, v60, v59
	v_pk_fma_f16 v63, v49, v61, v63
	s_delay_alu instid0(VALU_DEP_2) | instskip(NEXT) | instid1(VALU_DEP_2)
	v_pk_fma_f16 v59, v5, v61, v59
	v_pk_fma_f16 v63, v50, v62, v63
	s_delay_alu instid0(VALU_DEP_2) | instskip(NEXT) | instid1(VALU_DEP_2)
	v_pk_fma_f16 v59, v4, v62, v59
	v_cvt_f32_f16_e32 v64, v63
	s_delay_alu instid0(VALU_DEP_2) | instskip(SKIP_2) | instid1(VALU_DEP_2)
	v_cvt_f32_f16_e32 v60, v59
	v_lshrrev_b32_e32 v59, 16, v59
	v_lshrrev_b32_e32 v63, 16, v63
	v_cvt_f32_f16_e32 v59, v59
	s_delay_alu instid0(VALU_DEP_2) | instskip(NEXT) | instid1(VALU_DEP_2)
	v_cvt_f32_f16_e32 v63, v63
	v_add_f32_e32 v59, v60, v59
	s_delay_alu instid0(VALU_DEP_2) | instskip(NEXT) | instid1(VALU_DEP_2)
	v_add_f32_e32 v63, v64, v63
	v_fmac_f32_e32 v9, v59, v35
	ds_load_2addr_b32 v[59:60], v44 offset0:76 offset1:77
	v_fmac_f32_e32 v8, v63, v33
	s_waitcnt lgkmcnt(0)
	v_pk_fma_f16 v61, v58, v59, 0
	s_delay_alu instid0(VALU_DEP_1) | instskip(SKIP_3) | instid1(VALU_DEP_1)
	v_pk_fma_f16 v63, v57, v60, v61
	ds_load_2addr_b32 v[61:62], v44 offset0:78 offset1:79
	s_waitcnt lgkmcnt(0)
	v_pk_fma_f16 v63, v55, v61, v63
	v_pk_fma_f16 v63, v56, v62, v63
	s_delay_alu instid0(VALU_DEP_1) | instskip(SKIP_1) | instid1(VALU_DEP_1)
	v_cvt_f32_f16_e32 v64, v63
	v_lshrrev_b32_e32 v63, 16, v63
	v_cvt_f32_f16_e32 v63, v63
	s_delay_alu instid0(VALU_DEP_1) | instskip(NEXT) | instid1(VALU_DEP_1)
	v_add_f32_e32 v63, v64, v63
	v_fmac_f32_e32 v10, v63, v32
	v_pk_fma_f16 v63, v51, v59, 0
	s_delay_alu instid0(VALU_DEP_1) | instskip(NEXT) | instid1(VALU_DEP_1)
	v_pk_fma_f16 v63, v52, v60, v63
	v_pk_fma_f16 v63, v53, v61, v63
	s_delay_alu instid0(VALU_DEP_1) | instskip(NEXT) | instid1(VALU_DEP_1)
	v_pk_fma_f16 v63, v54, v62, v63
	v_cvt_f32_f16_e32 v64, v63
	v_lshrrev_b32_e32 v63, 16, v63
	s_delay_alu instid0(VALU_DEP_1) | instskip(NEXT) | instid1(VALU_DEP_1)
	v_cvt_f32_f16_e32 v63, v63
	v_add_f32_e32 v63, v64, v63
	s_delay_alu instid0(VALU_DEP_1) | instskip(SKIP_2) | instid1(VALU_DEP_2)
	v_fmac_f32_e32 v11, v63, v34
	v_pk_fma_f16 v63, v47, v59, 0
	v_pk_fma_f16 v59, v46, v59, 0
	v_pk_fma_f16 v63, v48, v60, v63
	s_delay_alu instid0(VALU_DEP_2) | instskip(NEXT) | instid1(VALU_DEP_2)
	v_pk_fma_f16 v59, v45, v60, v59
	v_pk_fma_f16 v63, v49, v61, v63
	s_delay_alu instid0(VALU_DEP_2) | instskip(NEXT) | instid1(VALU_DEP_2)
	v_pk_fma_f16 v59, v5, v61, v59
	v_pk_fma_f16 v63, v50, v62, v63
	s_delay_alu instid0(VALU_DEP_2) | instskip(NEXT) | instid1(VALU_DEP_2)
	v_pk_fma_f16 v59, v4, v62, v59
	v_cvt_f32_f16_e32 v64, v63
	s_delay_alu instid0(VALU_DEP_2) | instskip(SKIP_2) | instid1(VALU_DEP_2)
	v_cvt_f32_f16_e32 v60, v59
	v_lshrrev_b32_e32 v59, 16, v59
	v_lshrrev_b32_e32 v63, 16, v63
	v_cvt_f32_f16_e32 v59, v59
	s_delay_alu instid0(VALU_DEP_2) | instskip(NEXT) | instid1(VALU_DEP_2)
	v_cvt_f32_f16_e32 v63, v63
	v_add_f32_e32 v59, v60, v59
	s_delay_alu instid0(VALU_DEP_2) | instskip(NEXT) | instid1(VALU_DEP_2)
	v_add_f32_e32 v63, v64, v63
	v_fmac_f32_e32 v13, v59, v35
	ds_load_2addr_b32 v[59:60], v44 offset0:140 offset1:141
	v_fmac_f32_e32 v12, v63, v33
	s_waitcnt lgkmcnt(0)
	v_pk_fma_f16 v61, v58, v59, 0
	s_delay_alu instid0(VALU_DEP_1) | instskip(SKIP_3) | instid1(VALU_DEP_1)
	v_pk_fma_f16 v63, v57, v60, v61
	ds_load_2addr_b32 v[61:62], v44 offset0:142 offset1:143
	s_waitcnt lgkmcnt(0)
	v_pk_fma_f16 v63, v55, v61, v63
	v_pk_fma_f16 v63, v56, v62, v63
	s_delay_alu instid0(VALU_DEP_1) | instskip(SKIP_1) | instid1(VALU_DEP_1)
	v_cvt_f32_f16_e32 v64, v63
	v_lshrrev_b32_e32 v63, 16, v63
	v_cvt_f32_f16_e32 v63, v63
	s_delay_alu instid0(VALU_DEP_1) | instskip(NEXT) | instid1(VALU_DEP_1)
	v_add_f32_e32 v63, v64, v63
	;; [unrolled: 53-line block ×3, first 2 shown]
	v_fmac_f32_e32 v18, v44, v32
	v_pk_fma_f16 v44, v51, v59, 0
	s_delay_alu instid0(VALU_DEP_1) | instskip(NEXT) | instid1(VALU_DEP_1)
	v_pk_fma_f16 v44, v52, v60, v44
	v_pk_fma_f16 v44, v53, v61, v44
	s_delay_alu instid0(VALU_DEP_1) | instskip(NEXT) | instid1(VALU_DEP_1)
	v_pk_fma_f16 v44, v54, v62, v44
	v_cvt_f32_f16_e32 v63, v44
	v_lshrrev_b32_e32 v44, 16, v44
	s_delay_alu instid0(VALU_DEP_1) | instskip(NEXT) | instid1(VALU_DEP_1)
	v_cvt_f32_f16_e32 v44, v44
	v_add_f32_e32 v44, v63, v44
	s_delay_alu instid0(VALU_DEP_1) | instskip(SKIP_1) | instid1(VALU_DEP_1)
	v_fmac_f32_e32 v19, v44, v34
	v_pk_fma_f16 v44, v47, v59, 0
	v_pk_fma_f16 v44, v48, v60, v44
	s_delay_alu instid0(VALU_DEP_1) | instskip(NEXT) | instid1(VALU_DEP_1)
	v_pk_fma_f16 v44, v49, v61, v44
	v_pk_fma_f16 v44, v50, v62, v44
	s_delay_alu instid0(VALU_DEP_1) | instskip(SKIP_1) | instid1(VALU_DEP_1)
	v_cvt_f32_f16_e32 v63, v44
	v_lshrrev_b32_e32 v44, 16, v44
	v_cvt_f32_f16_e32 v44, v44
	s_delay_alu instid0(VALU_DEP_1) | instskip(NEXT) | instid1(VALU_DEP_1)
	v_add_f32_e32 v44, v63, v44
	v_fmac_f32_e32 v20, v44, v33
	v_pk_fma_f16 v44, v46, v59, 0
	s_delay_alu instid0(VALU_DEP_1) | instskip(NEXT) | instid1(VALU_DEP_1)
	v_pk_fma_f16 v44, v45, v60, v44
	v_pk_fma_f16 v44, v5, v61, v44
	s_delay_alu instid0(VALU_DEP_1) | instskip(NEXT) | instid1(VALU_DEP_1)
	v_pk_fma_f16 v44, v4, v62, v44
	v_cvt_f32_f16_e32 v59, v44
	v_lshrrev_b32_e32 v44, 16, v44
	s_delay_alu instid0(VALU_DEP_1) | instskip(NEXT) | instid1(VALU_DEP_1)
	v_cvt_f32_f16_e32 v44, v44
	v_add_f32_e32 v44, v59, v44
	s_delay_alu instid0(VALU_DEP_1) | instskip(SKIP_1) | instid1(SALU_CYCLE_1)
	v_dual_fmac_f32 v21, v44, v35 :: v_dual_mov_b32 v44, s19
	s_add_i32 s19, s13, 0x438
	v_mov_b32_e32 v61, s19
	s_add_i32 s19, s13, 0x530
	ds_load_2addr_b32 v[59:60], v44 offset1:1
	ds_load_2addr_b32 v[61:62], v61 offset1:1
	s_waitcnt lgkmcnt(1)
	v_pk_fma_f16 v44, v58, v59, 0
	s_delay_alu instid0(VALU_DEP_1) | instskip(SKIP_1) | instid1(VALU_DEP_1)
	v_pk_fma_f16 v44, v57, v60, v44
	s_waitcnt lgkmcnt(0)
	v_pk_fma_f16 v44, v55, v61, v44
	s_delay_alu instid0(VALU_DEP_1) | instskip(NEXT) | instid1(VALU_DEP_1)
	v_pk_fma_f16 v44, v56, v62, v44
	v_cvt_f32_f16_e32 v63, v44
	v_lshrrev_b32_e32 v44, 16, v44
	s_delay_alu instid0(VALU_DEP_1) | instskip(NEXT) | instid1(VALU_DEP_1)
	v_cvt_f32_f16_e32 v44, v44
	v_add_f32_e32 v44, v63, v44
	s_delay_alu instid0(VALU_DEP_1) | instskip(SKIP_1) | instid1(VALU_DEP_1)
	v_fmac_f32_e32 v22, v44, v32
	v_pk_fma_f16 v44, v51, v59, 0
	v_pk_fma_f16 v44, v52, v60, v44
	s_delay_alu instid0(VALU_DEP_1) | instskip(NEXT) | instid1(VALU_DEP_1)
	v_pk_fma_f16 v44, v53, v61, v44
	v_pk_fma_f16 v44, v54, v62, v44
	s_delay_alu instid0(VALU_DEP_1) | instskip(SKIP_1) | instid1(VALU_DEP_1)
	v_cvt_f32_f16_e32 v63, v44
	v_lshrrev_b32_e32 v44, 16, v44
	v_cvt_f32_f16_e32 v44, v44
	s_delay_alu instid0(VALU_DEP_1) | instskip(NEXT) | instid1(VALU_DEP_1)
	v_add_f32_e32 v44, v63, v44
	v_fmac_f32_e32 v23, v44, v34
	v_pk_fma_f16 v44, v47, v59, 0
	s_delay_alu instid0(VALU_DEP_1) | instskip(NEXT) | instid1(VALU_DEP_1)
	v_pk_fma_f16 v44, v48, v60, v44
	v_pk_fma_f16 v44, v49, v61, v44
	s_delay_alu instid0(VALU_DEP_1) | instskip(NEXT) | instid1(VALU_DEP_1)
	v_pk_fma_f16 v44, v50, v62, v44
	v_cvt_f32_f16_e32 v63, v44
	v_lshrrev_b32_e32 v44, 16, v44
	s_delay_alu instid0(VALU_DEP_1) | instskip(NEXT) | instid1(VALU_DEP_1)
	v_cvt_f32_f16_e32 v44, v44
	v_add_f32_e32 v44, v63, v44
	s_delay_alu instid0(VALU_DEP_1) | instskip(SKIP_1) | instid1(VALU_DEP_1)
	v_fmac_f32_e32 v24, v44, v33
	v_pk_fma_f16 v44, v46, v59, 0
	v_pk_fma_f16 v44, v45, v60, v44
	s_delay_alu instid0(VALU_DEP_1) | instskip(NEXT) | instid1(VALU_DEP_1)
	v_pk_fma_f16 v44, v5, v61, v44
	v_pk_fma_f16 v44, v4, v62, v44
	s_delay_alu instid0(VALU_DEP_1) | instskip(SKIP_1) | instid1(VALU_DEP_1)
	v_cvt_f32_f16_e32 v59, v44
	v_lshrrev_b32_e32 v44, 16, v44
	v_cvt_f32_f16_e32 v44, v44
	s_delay_alu instid0(VALU_DEP_1) | instskip(NEXT) | instid1(VALU_DEP_1)
	v_add_f32_e32 v44, v59, v44
	v_dual_fmac_f32 v25, v44, v35 :: v_dual_mov_b32 v44, s19
	s_add_i32 s19, s13, 0x538
	s_add_i32 s13, s13, 64
	s_cmp_ge_i32 s15, s20
	ds_load_2addr_b32 v[59:60], v44 offset1:1
	s_waitcnt lgkmcnt(0)
	v_pk_fma_f16 v44, v58, v59, 0
	s_delay_alu instid0(VALU_DEP_1) | instskip(SKIP_4) | instid1(VALU_DEP_1)
	v_pk_fma_f16 v44, v57, v60, v44
	v_mov_b32_e32 v57, s19
	ds_load_2addr_b32 v[57:58], v57 offset1:1
	s_waitcnt lgkmcnt(0)
	v_pk_fma_f16 v44, v55, v57, v44
	v_pk_fma_f16 v44, v56, v58, v44
	s_delay_alu instid0(VALU_DEP_1) | instskip(SKIP_1) | instid1(VALU_DEP_1)
	v_cvt_f32_f16_e32 v55, v44
	v_lshrrev_b32_e32 v44, 16, v44
	v_cvt_f32_f16_e32 v44, v44
	s_delay_alu instid0(VALU_DEP_1) | instskip(NEXT) | instid1(VALU_DEP_1)
	v_add_f32_e32 v44, v55, v44
	v_fmac_f32_e32 v26, v44, v32
	v_pk_fma_f16 v44, v51, v59, 0
	s_delay_alu instid0(VALU_DEP_1) | instskip(NEXT) | instid1(VALU_DEP_1)
	v_pk_fma_f16 v44, v52, v60, v44
	v_pk_fma_f16 v44, v53, v57, v44
	s_delay_alu instid0(VALU_DEP_1) | instskip(NEXT) | instid1(VALU_DEP_1)
	v_pk_fma_f16 v44, v54, v58, v44
	v_cvt_f32_f16_e32 v51, v44
	v_lshrrev_b32_e32 v44, 16, v44
	s_delay_alu instid0(VALU_DEP_1) | instskip(NEXT) | instid1(VALU_DEP_1)
	v_cvt_f32_f16_e32 v44, v44
	v_add_f32_e32 v44, v51, v44
	s_delay_alu instid0(VALU_DEP_1) | instskip(SKIP_1) | instid1(VALU_DEP_1)
	v_fmac_f32_e32 v27, v44, v34
	v_pk_fma_f16 v44, v47, v59, 0
	v_pk_fma_f16 v44, v48, v60, v44
	s_delay_alu instid0(VALU_DEP_1) | instskip(NEXT) | instid1(VALU_DEP_1)
	v_pk_fma_f16 v44, v49, v57, v44
	v_pk_fma_f16 v44, v50, v58, v44
	s_delay_alu instid0(VALU_DEP_1) | instskip(SKIP_1) | instid1(VALU_DEP_1)
	v_cvt_f32_f16_e32 v47, v44
	v_lshrrev_b32_e32 v44, 16, v44
	v_cvt_f32_f16_e32 v44, v44
	s_delay_alu instid0(VALU_DEP_1) | instskip(NEXT) | instid1(VALU_DEP_1)
	v_add_f32_e32 v44, v47, v44
	v_fmac_f32_e32 v28, v44, v33
	v_pk_fma_f16 v44, v46, v59, 0
	s_delay_alu instid0(VALU_DEP_1) | instskip(NEXT) | instid1(VALU_DEP_1)
	v_pk_fma_f16 v44, v45, v60, v44
	v_pk_fma_f16 v5, v5, v57, v44
	s_delay_alu instid0(VALU_DEP_1) | instskip(NEXT) | instid1(VALU_DEP_1)
	v_pk_fma_f16 v4, v4, v58, v5
	v_cvt_f32_f16_e32 v5, v4
	v_lshrrev_b32_e32 v4, 16, v4
	s_delay_alu instid0(VALU_DEP_1) | instskip(NEXT) | instid1(VALU_DEP_1)
	v_cvt_f32_f16_e32 v4, v4
	v_add_f32_e32 v4, v5, v4
	s_delay_alu instid0(VALU_DEP_1)
	v_fmac_f32_e32 v31, v4, v35
	s_cbranch_scc1 .LBB37_20
.LBB37_18:                              ; =>This Inner Loop Header: Depth=1
	s_cmp_lg_u32 s15, s4
	s_cbranch_scc1 .LBB37_17
; %bb.19:                               ;   in Loop: Header=BB37_18 Depth=1
	s_add_i32 s18, s18, 1
	s_add_i32 s4, s4, s14
	s_mul_i32 s19, s18, s16
	s_delay_alu instid0(SALU_CYCLE_1) | instskip(SKIP_2) | instid1(SALU_CYCLE_1)
	s_ashr_i32 s21, s19, 31
	v_add_nc_u32_e32 v4, s19, v1
	s_lshr_b32 s21, s21, 29
	s_add_i32 s19, s19, s21
	s_delay_alu instid0(VALU_DEP_1) | instskip(SKIP_1) | instid1(SALU_CYCLE_1)
	v_ashrrev_i32_e32 v5, 31, v4
	s_ashr_i32 s19, s19, 3
	v_add_nc_u32_e32 v32, s19, v6
	s_delay_alu instid0(VALU_DEP_2) | instskip(NEXT) | instid1(VALU_DEP_2)
	v_lshlrev_b64 v[4:5], 1, v[4:5]
	v_ashrrev_i32_e32 v33, 31, v32
	s_delay_alu instid0(VALU_DEP_2) | instskip(NEXT) | instid1(VALU_DEP_2)
	v_add_co_u32 v4, vcc_lo, s8, v4
	v_lshlrev_b64 v[32:33], 2, v[32:33]
	s_delay_alu instid0(VALU_DEP_4) | instskip(NEXT) | instid1(VALU_DEP_2)
	v_add_co_ci_u32_e32 v5, vcc_lo, s9, v5, vcc_lo
	v_add_co_u32 v32, vcc_lo, s6, v32
	s_delay_alu instid0(VALU_DEP_3)
	v_add_co_ci_u32_e32 v33, vcc_lo, s7, v33, vcc_lo
	global_load_b64 v[4:5], v[4:5], off
	global_load_b32 v33, v[32:33], off
	s_waitcnt vmcnt(1)
	v_cvt_f32_f16_e32 v32, v4
	v_lshrrev_b32_e32 v4, 16, v4
	s_waitcnt vmcnt(0)
	v_bfe_u32 v35, v33, v29, 4
	v_lshrrev_b32_e32 v36, 16, v5
	v_lshrrev_b32_e32 v37, v29, v33
	v_cvt_f32_f16_e32 v33, v5
	v_cvt_f32_f16_e32 v34, v4
	v_add_nc_u32_e32 v4, v35, v30
	v_cvt_f32_f16_e32 v35, v36
	v_bfe_u32 v5, v37, 4, 4
	v_bfe_u32 v36, v37, 8, 4
	;; [unrolled: 1-line block ×3, first 2 shown]
	v_cvt_f32_ubyte0_e32 v38, v4
	v_or_b32_e32 v4, 0xffffe400, v4
	v_add_nc_u32_e32 v5, v5, v30
	v_add_nc_u32_e32 v39, v36, v30
	v_add_nc_u32_e32 v37, v37, v30
	v_cvt_f16_f32_e32 v38, v38
	v_perm_b32 v36, v4, v4, 0x5040100
	v_or_b32_e32 v4, 0xffffe400, v5
	v_cvt_f32_ubyte0_e32 v5, v5
	v_or_b32_e32 v40, 0xffffe400, v39
	v_cvt_f32_ubyte0_e32 v39, v39
	v_cvt_f32_ubyte0_e32 v41, v37
	v_sub_f16_e32 v43, 0xd400, v38
	v_cvt_f16_f32_e32 v5, v5
	v_or_b32_e32 v42, 0xffffe400, v37
	v_cvt_f16_f32_e32 v38, v39
	v_cvt_f16_f32_e32 v41, v41
	v_perm_b32 v39, v4, v4, 0x5040100
	v_sub_f16_e32 v4, 0xd400, v5
	v_perm_b32 v37, v40, v40, 0x5040100
	v_sub_f16_e32 v5, 0xd400, v38
	v_sub_f16_e32 v41, 0xd400, v41
	v_perm_b32 v38, v42, v42, 0x5040100
	v_pack_b32_f16 v40, v43, v43
	v_pack_b32_f16 v43, v4, v4
	;; [unrolled: 1-line block ×4, first 2 shown]
	s_branch .LBB37_17
.LBB37_20:
	v_cvt_f16_f32_e32 v40, v0
	v_cvt_f16_f32_e32 v39, v7
	;; [unrolled: 1-line block ×24, first 2 shown]
.LBB37_21:
	v_mad_u64_u32 v[2:3], null, s12, s16, v[1:2]
	v_perm_b32 v18, v39, v40, 0x5040100
	s_mov_b32 s0, 0
	s_delay_alu instid0(VALU_DEP_2) | instskip(NEXT) | instid1(VALU_DEP_1)
	v_ashrrev_i32_e32 v3, 31, v2
	v_lshlrev_b64 v[0:1], 1, v[2:3]
	s_delay_alu instid0(VALU_DEP_1) | instskip(NEXT) | instid1(VALU_DEP_2)
	v_add_co_u32 v0, vcc_lo, s10, v0
	v_add_co_ci_u32_e32 v1, vcc_lo, s11, v1, vcc_lo
	global_load_b32 v4, v[0:1], off
.LBB37_22:                              ; =>This Inner Loop Header: Depth=1
	s_waitcnt vmcnt(0)
	v_pk_add_f16 v3, v18, v4
	global_atomic_cmpswap_b32 v3, v[0:1], v[3:4], off glc
	s_waitcnt vmcnt(0)
	v_cmp_eq_u32_e32 vcc_lo, v4, v3
	v_mov_b32_e32 v4, v3
	s_or_b32 s0, vcc_lo, s0
	s_delay_alu instid0(SALU_CYCLE_1)
	s_and_not1_b32 exec_lo, exec_lo, s0
	s_cbranch_execnz .LBB37_22
; %bb.23:
	s_or_b32 exec_lo, exec_lo, s0
	global_load_b32 v4, v[0:1], off offset:4
	v_perm_b32 v18, v37, v38, 0x5040100
	s_mov_b32 s0, 0
.LBB37_24:                              ; =>This Inner Loop Header: Depth=1
	s_waitcnt vmcnt(0)
	s_delay_alu instid0(VALU_DEP_1)
	v_pk_add_f16 v3, v18, v4
	global_atomic_cmpswap_b32 v3, v[0:1], v[3:4], off offset:4 glc
	s_waitcnt vmcnt(0)
	v_cmp_eq_u32_e32 vcc_lo, v4, v3
	v_mov_b32_e32 v4, v3
	s_or_b32 s0, vcc_lo, s0
	s_delay_alu instid0(SALU_CYCLE_1)
	s_and_not1_b32 exec_lo, exec_lo, s0
	s_cbranch_execnz .LBB37_24
; %bb.25:
	s_or_b32 exec_lo, exec_lo, s0
	v_add_nc_u32_e32 v0, s16, v2
	v_perm_b32 v18, v35, v36, 0x5040100
	s_mov_b32 s0, 0
	s_delay_alu instid0(VALU_DEP_2) | instskip(NEXT) | instid1(VALU_DEP_1)
	v_ashrrev_i32_e32 v1, 31, v0
	v_lshlrev_b64 v[1:2], 1, v[0:1]
	s_delay_alu instid0(VALU_DEP_1) | instskip(NEXT) | instid1(VALU_DEP_2)
	v_add_co_u32 v1, vcc_lo, s10, v1
	v_add_co_ci_u32_e32 v2, vcc_lo, s11, v2, vcc_lo
	global_load_b32 v4, v[1:2], off
.LBB37_26:                              ; =>This Inner Loop Header: Depth=1
	s_waitcnt vmcnt(0)
	v_pk_add_f16 v3, v18, v4
	global_atomic_cmpswap_b32 v3, v[1:2], v[3:4], off glc
	s_waitcnt vmcnt(0)
	v_cmp_eq_u32_e32 vcc_lo, v4, v3
	v_mov_b32_e32 v4, v3
	s_or_b32 s0, vcc_lo, s0
	s_delay_alu instid0(SALU_CYCLE_1)
	s_and_not1_b32 exec_lo, exec_lo, s0
	s_cbranch_execnz .LBB37_26
; %bb.27:
	s_or_b32 exec_lo, exec_lo, s0
	global_load_b32 v4, v[1:2], off offset:4
	v_perm_b32 v18, v33, v34, 0x5040100
	s_mov_b32 s0, 0
.LBB37_28:                              ; =>This Inner Loop Header: Depth=1
	s_waitcnt vmcnt(0)
	s_delay_alu instid0(VALU_DEP_1)
	v_pk_add_f16 v3, v18, v4
	global_atomic_cmpswap_b32 v3, v[1:2], v[3:4], off offset:4 glc
	s_waitcnt vmcnt(0)
	v_cmp_eq_u32_e32 vcc_lo, v4, v3
	v_mov_b32_e32 v4, v3
	s_or_b32 s0, vcc_lo, s0
	s_delay_alu instid0(SALU_CYCLE_1)
	s_and_not1_b32 exec_lo, exec_lo, s0
	s_cbranch_execnz .LBB37_28
; %bb.29:
	s_or_b32 exec_lo, exec_lo, s0
	v_add_nc_u32_e32 v0, s16, v0
	v_perm_b32 v18, v30, v32, 0x5040100
	s_mov_b32 s0, 0
	s_delay_alu instid0(VALU_DEP_2) | instskip(NEXT) | instid1(VALU_DEP_1)
	v_ashrrev_i32_e32 v1, 31, v0
	v_lshlrev_b64 v[1:2], 1, v[0:1]
	s_delay_alu instid0(VALU_DEP_1) | instskip(NEXT) | instid1(VALU_DEP_2)
	v_add_co_u32 v1, vcc_lo, s10, v1
	v_add_co_ci_u32_e32 v2, vcc_lo, s11, v2, vcc_lo
	global_load_b32 v4, v[1:2], off
.LBB37_30:                              ; =>This Inner Loop Header: Depth=1
	s_waitcnt vmcnt(0)
	v_pk_add_f16 v3, v18, v4
	global_atomic_cmpswap_b32 v3, v[1:2], v[3:4], off glc
	s_waitcnt vmcnt(0)
	v_cmp_eq_u32_e32 vcc_lo, v4, v3
	v_mov_b32_e32 v4, v3
	s_or_b32 s0, vcc_lo, s0
	s_delay_alu instid0(SALU_CYCLE_1)
	s_and_not1_b32 exec_lo, exec_lo, s0
	s_cbranch_execnz .LBB37_30
; %bb.31:
	s_or_b32 exec_lo, exec_lo, s0
	global_load_b32 v4, v[1:2], off offset:4
	v_perm_b32 v17, v17, v29, 0x5040100
	s_mov_b32 s0, 0
.LBB37_32:                              ; =>This Inner Loop Header: Depth=1
	s_waitcnt vmcnt(0)
	s_delay_alu instid0(VALU_DEP_1)
	v_pk_add_f16 v3, v17, v4
	global_atomic_cmpswap_b32 v3, v[1:2], v[3:4], off offset:4 glc
	s_waitcnt vmcnt(0)
	v_cmp_eq_u32_e32 vcc_lo, v4, v3
	v_mov_b32_e32 v4, v3
	s_or_b32 s0, vcc_lo, s0
	s_delay_alu instid0(SALU_CYCLE_1)
	s_and_not1_b32 exec_lo, exec_lo, s0
	s_cbranch_execnz .LBB37_32
; %bb.33:
	s_or_b32 exec_lo, exec_lo, s0
	v_add_nc_u32_e32 v0, s16, v0
	v_perm_b32 v15, v15, v16, 0x5040100
	s_mov_b32 s0, 0
	s_delay_alu instid0(VALU_DEP_2) | instskip(NEXT) | instid1(VALU_DEP_1)
	v_ashrrev_i32_e32 v1, 31, v0
	v_lshlrev_b64 v[1:2], 1, v[0:1]
	s_delay_alu instid0(VALU_DEP_1) | instskip(NEXT) | instid1(VALU_DEP_2)
	v_add_co_u32 v1, vcc_lo, s10, v1
	v_add_co_ci_u32_e32 v2, vcc_lo, s11, v2, vcc_lo
	global_load_b32 v4, v[1:2], off
.LBB37_34:                              ; =>This Inner Loop Header: Depth=1
	s_waitcnt vmcnt(0)
	v_pk_add_f16 v3, v15, v4
	global_atomic_cmpswap_b32 v3, v[1:2], v[3:4], off glc
	s_waitcnt vmcnt(0)
	v_cmp_eq_u32_e32 vcc_lo, v4, v3
	v_mov_b32_e32 v4, v3
	s_or_b32 s0, vcc_lo, s0
	s_delay_alu instid0(SALU_CYCLE_1)
	s_and_not1_b32 exec_lo, exec_lo, s0
	s_cbranch_execnz .LBB37_34
; %bb.35:
	s_or_b32 exec_lo, exec_lo, s0
	global_load_b32 v4, v[1:2], off offset:4
	v_perm_b32 v13, v13, v14, 0x5040100
	s_mov_b32 s0, 0
.LBB37_36:                              ; =>This Inner Loop Header: Depth=1
	s_waitcnt vmcnt(0)
	s_delay_alu instid0(VALU_DEP_1)
	v_pk_add_f16 v3, v13, v4
	global_atomic_cmpswap_b32 v3, v[1:2], v[3:4], off offset:4 glc
	s_waitcnt vmcnt(0)
	v_cmp_eq_u32_e32 vcc_lo, v4, v3
	v_mov_b32_e32 v4, v3
	s_or_b32 s0, vcc_lo, s0
	s_delay_alu instid0(SALU_CYCLE_1)
	s_and_not1_b32 exec_lo, exec_lo, s0
	s_cbranch_execnz .LBB37_36
; %bb.37:
	s_or_b32 exec_lo, exec_lo, s0
	v_add_nc_u32_e32 v0, s16, v0
	v_perm_b32 v11, v11, v12, 0x5040100
	s_mov_b32 s0, 0
	s_delay_alu instid0(VALU_DEP_2) | instskip(NEXT) | instid1(VALU_DEP_1)
	v_ashrrev_i32_e32 v1, 31, v0
	v_lshlrev_b64 v[1:2], 1, v[0:1]
	s_delay_alu instid0(VALU_DEP_1) | instskip(NEXT) | instid1(VALU_DEP_2)
	v_add_co_u32 v1, vcc_lo, s10, v1
	v_add_co_ci_u32_e32 v2, vcc_lo, s11, v2, vcc_lo
	global_load_b32 v4, v[1:2], off
.LBB37_38:                              ; =>This Inner Loop Header: Depth=1
	s_waitcnt vmcnt(0)
	v_pk_add_f16 v3, v11, v4
	global_atomic_cmpswap_b32 v3, v[1:2], v[3:4], off glc
	s_waitcnt vmcnt(0)
	v_cmp_eq_u32_e32 vcc_lo, v4, v3
	v_mov_b32_e32 v4, v3
	s_or_b32 s0, vcc_lo, s0
	s_delay_alu instid0(SALU_CYCLE_1)
	s_and_not1_b32 exec_lo, exec_lo, s0
	s_cbranch_execnz .LBB37_38
; %bb.39:
	s_or_b32 exec_lo, exec_lo, s0
	global_load_b32 v4, v[1:2], off offset:4
	v_perm_b32 v9, v9, v10, 0x5040100
	s_mov_b32 s0, 0
.LBB37_40:                              ; =>This Inner Loop Header: Depth=1
	s_waitcnt vmcnt(0)
	s_delay_alu instid0(VALU_DEP_1)
	v_pk_add_f16 v3, v9, v4
	global_atomic_cmpswap_b32 v3, v[1:2], v[3:4], off offset:4 glc
	s_waitcnt vmcnt(0)
	v_cmp_eq_u32_e32 vcc_lo, v4, v3
	v_mov_b32_e32 v4, v3
	s_or_b32 s0, vcc_lo, s0
	s_delay_alu instid0(SALU_CYCLE_1)
	s_and_not1_b32 exec_lo, exec_lo, s0
	s_cbranch_execnz .LBB37_40
; %bb.41:
	s_or_b32 exec_lo, exec_lo, s0
	v_add_nc_u32_e32 v0, s16, v0
	v_perm_b32 v4, v7, v8, 0x5040100
	s_mov_b32 s0, 0
	s_delay_alu instid0(VALU_DEP_2) | instskip(NEXT) | instid1(VALU_DEP_1)
	v_ashrrev_i32_e32 v1, 31, v0
	v_lshlrev_b64 v[0:1], 1, v[0:1]
	s_delay_alu instid0(VALU_DEP_1) | instskip(NEXT) | instid1(VALU_DEP_2)
	v_add_co_u32 v0, vcc_lo, s10, v0
	v_add_co_ci_u32_e32 v1, vcc_lo, s11, v1, vcc_lo
	global_load_b32 v3, v[0:1], off
.LBB37_42:                              ; =>This Inner Loop Header: Depth=1
	s_waitcnt vmcnt(0)
	v_pk_add_f16 v2, v4, v3
	global_atomic_cmpswap_b32 v2, v[0:1], v[2:3], off glc
	s_waitcnt vmcnt(0)
	v_cmp_eq_u32_e32 vcc_lo, v3, v2
	v_mov_b32_e32 v3, v2
	s_or_b32 s0, vcc_lo, s0
	s_delay_alu instid0(SALU_CYCLE_1)
	s_and_not1_b32 exec_lo, exec_lo, s0
	s_cbranch_execnz .LBB37_42
; %bb.43:
	s_or_b32 exec_lo, exec_lo, s0
	global_load_b32 v3, v[0:1], off offset:4
	v_perm_b32 v4, v5, v6, 0x5040100
	s_mov_b32 s0, 0
.LBB37_44:                              ; =>This Inner Loop Header: Depth=1
	s_waitcnt vmcnt(0)
	s_delay_alu instid0(VALU_DEP_1)
	v_pk_add_f16 v2, v4, v3
	global_atomic_cmpswap_b32 v2, v[0:1], v[2:3], off offset:4 glc
	s_waitcnt vmcnt(0)
	v_cmp_eq_u32_e32 vcc_lo, v3, v2
	v_mov_b32_e32 v3, v2
	s_or_b32 s0, vcc_lo, s0
	s_delay_alu instid0(SALU_CYCLE_1)
	s_and_not1_b32 exec_lo, exec_lo, s0
	s_cbranch_execnz .LBB37_44
.LBB37_45:
	s_endpgm
	.section	.rodata,"a",@progbits
	.p2align	6, 0x0
	.amdhsa_kernel _ZN4vllm4gptq33gemm_half_q_half_gptq_4bit_kernelILb1ELi6EEEvPK6__halfPKjS6_S4_PS2_iiiibPKi
		.amdhsa_group_segment_fixed_size 1536
		.amdhsa_private_segment_fixed_size 0
		.amdhsa_kernarg_size 72
		.amdhsa_user_sgpr_count 13
		.amdhsa_user_sgpr_dispatch_ptr 0
		.amdhsa_user_sgpr_queue_ptr 0
		.amdhsa_user_sgpr_kernarg_segment_ptr 1
		.amdhsa_user_sgpr_dispatch_id 0
		.amdhsa_user_sgpr_private_segment_size 0
		.amdhsa_wavefront_size32 1
		.amdhsa_uses_dynamic_stack 0
		.amdhsa_enable_private_segment 0
		.amdhsa_system_sgpr_workgroup_id_x 1
		.amdhsa_system_sgpr_workgroup_id_y 1
		.amdhsa_system_sgpr_workgroup_id_z 1
		.amdhsa_system_sgpr_workgroup_info 0
		.amdhsa_system_vgpr_workitem_id 0
		.amdhsa_next_free_vgpr 67
		.amdhsa_next_free_sgpr 24
		.amdhsa_reserve_vcc 1
		.amdhsa_float_round_mode_32 0
		.amdhsa_float_round_mode_16_64 0
		.amdhsa_float_denorm_mode_32 3
		.amdhsa_float_denorm_mode_16_64 3
		.amdhsa_dx10_clamp 1
		.amdhsa_ieee_mode 1
		.amdhsa_fp16_overflow 0
		.amdhsa_workgroup_processor_mode 1
		.amdhsa_memory_ordered 1
		.amdhsa_forward_progress 0
		.amdhsa_shared_vgpr_count 0
		.amdhsa_exception_fp_ieee_invalid_op 0
		.amdhsa_exception_fp_denorm_src 0
		.amdhsa_exception_fp_ieee_div_zero 0
		.amdhsa_exception_fp_ieee_overflow 0
		.amdhsa_exception_fp_ieee_underflow 0
		.amdhsa_exception_fp_ieee_inexact 0
		.amdhsa_exception_int_div_zero 0
	.end_amdhsa_kernel
	.section	.text._ZN4vllm4gptq33gemm_half_q_half_gptq_4bit_kernelILb1ELi6EEEvPK6__halfPKjS6_S4_PS2_iiiibPKi,"axG",@progbits,_ZN4vllm4gptq33gemm_half_q_half_gptq_4bit_kernelILb1ELi6EEEvPK6__halfPKjS6_S4_PS2_iiiibPKi,comdat
.Lfunc_end37:
	.size	_ZN4vllm4gptq33gemm_half_q_half_gptq_4bit_kernelILb1ELi6EEEvPK6__halfPKjS6_S4_PS2_iiiibPKi, .Lfunc_end37-_ZN4vllm4gptq33gemm_half_q_half_gptq_4bit_kernelILb1ELi6EEEvPK6__halfPKjS6_S4_PS2_iiiibPKi
                                        ; -- End function
	.section	.AMDGPU.csdata,"",@progbits
; Kernel info:
; codeLenInByte = 12108
; NumSgprs: 26
; NumVgprs: 67
; ScratchSize: 0
; MemoryBound: 0
; FloatMode: 240
; IeeeMode: 1
; LDSByteSize: 1536 bytes/workgroup (compile time only)
; SGPRBlocks: 3
; VGPRBlocks: 8
; NumSGPRsForWavesPerEU: 26
; NumVGPRsForWavesPerEU: 67
; Occupancy: 16
; WaveLimiterHint : 0
; COMPUTE_PGM_RSRC2:SCRATCH_EN: 0
; COMPUTE_PGM_RSRC2:USER_SGPR: 13
; COMPUTE_PGM_RSRC2:TRAP_HANDLER: 0
; COMPUTE_PGM_RSRC2:TGID_X_EN: 1
; COMPUTE_PGM_RSRC2:TGID_Y_EN: 1
; COMPUTE_PGM_RSRC2:TGID_Z_EN: 1
; COMPUTE_PGM_RSRC2:TIDIG_COMP_CNT: 0
	.section	.text._ZN4vllm4gptq33gemm_half_q_half_gptq_8bit_kernelILb1ELi6EEEvPK6__halfPKjS6_S4_PS2_iiiibPKi,"axG",@progbits,_ZN4vllm4gptq33gemm_half_q_half_gptq_8bit_kernelILb1ELi6EEEvPK6__halfPKjS6_S4_PS2_iiiibPKi,comdat
	.protected	_ZN4vllm4gptq33gemm_half_q_half_gptq_8bit_kernelILb1ELi6EEEvPK6__halfPKjS6_S4_PS2_iiiibPKi ; -- Begin function _ZN4vllm4gptq33gemm_half_q_half_gptq_8bit_kernelILb1ELi6EEEvPK6__halfPKjS6_S4_PS2_iiiibPKi
	.globl	_ZN4vllm4gptq33gemm_half_q_half_gptq_8bit_kernelILb1ELi6EEEvPK6__halfPKjS6_S4_PS2_iiiibPKi
	.p2align	8
	.type	_ZN4vllm4gptq33gemm_half_q_half_gptq_8bit_kernelILb1ELi6EEEvPK6__halfPKjS6_S4_PS2_iiiibPKi,@function
_ZN4vllm4gptq33gemm_half_q_half_gptq_8bit_kernelILb1ELi6EEEvPK6__halfPKjS6_S4_PS2_iiiibPKi: ; @_ZN4vllm4gptq33gemm_half_q_half_gptq_8bit_kernelILb1ELi6EEEvPK6__halfPKjS6_S4_PS2_iiiibPKi
; %bb.0:
	s_load_b128 s[16:19], s[0:1], 0x2c
	s_lshl_b32 s15, s15, 7
	s_load_b256 s[4:11], s[0:1], 0x8
	s_add_i32 s2, s15, 0x80
	s_mul_i32 s12, s14, 6
	v_cvt_f64_u32_e32 v[1:2], s2
	s_mov_b32 s14, exec_lo
	s_waitcnt lgkmcnt(0)
	v_cvt_f64_i32_e32 v[3:4], s17
	s_delay_alu instid0(VALU_DEP_1) | instskip(NEXT) | instid1(VALU_DEP_1)
	v_min_f64 v[1:2], v[1:2], v[3:4]
	v_cvt_i32_f64_e32 v2, v[1:2]
	v_add_nc_u32_e32 v1, s15, v0
	s_delay_alu instid0(VALU_DEP_2) | instskip(NEXT) | instid1(VALU_DEP_2)
	v_readfirstlane_b32 s20, v2
	v_cmpx_lt_u32_e64 v1, v2
	s_cbranch_execz .LBB38_14
; %bb.1:
	s_clause 0x1
	s_load_b64 s[2:3], s[0:1], 0x40
	s_load_b64 s[0:1], s[0:1], 0x0
	v_mov_b32_e32 v2, 0
	s_delay_alu instid0(VALU_DEP_1) | instskip(SKIP_2) | instid1(VALU_DEP_2)
	v_lshlrev_b64 v[3:4], 2, v[1:2]
	v_dual_mov_b32 v6, v2 :: v_dual_mov_b32 v5, v1
	s_waitcnt lgkmcnt(0)
	v_add_co_u32 v3, vcc_lo, s2, v3
	s_delay_alu instid0(VALU_DEP_3)
	v_add_co_ci_u32_e32 v4, vcc_lo, s3, v4, vcc_lo
	s_cmp_lg_u64 s[2:3], 0
	s_cselect_b32 s21, -1, 0
	s_cmp_eq_u64 s[2:3], 0
	s_cbranch_scc1 .LBB38_3
; %bb.2:
	global_load_b32 v5, v[3:4], off
	s_waitcnt vmcnt(0)
	v_ashrrev_i32_e32 v6, 31, v5
.LBB38_3:
	s_mul_i32 s2, s12, s17
	s_delay_alu instid0(VALU_DEP_1)
	v_lshlrev_b64 v[5:6], 1, v[5:6]
	s_ashr_i32 s3, s2, 31
	v_lshlrev_b32_e32 v7, 1, v0
	s_lshl_b64 s[22:23], s[2:3], 1
	v_cndmask_b32_e64 v8, 0, 1, s21
	s_add_u32 s3, s0, s22
	s_addc_u32 s22, s1, s23
	v_add_co_u32 v5, vcc_lo, s3, v5
	v_add_co_ci_u32_e32 v6, vcc_lo, s22, v6, vcc_lo
	s_and_not1_b32 vcc_lo, exec_lo, s21
	global_load_u16 v9, v[5:6], off
	v_dual_mov_b32 v6, v2 :: v_dual_mov_b32 v5, v1
	s_waitcnt vmcnt(0)
	ds_store_b16 v7, v9
	s_cbranch_vccnz .LBB38_5
; %bb.4:
	global_load_b32 v5, v[3:4], off
	s_waitcnt vmcnt(0)
	v_ashrrev_i32_e32 v6, 31, v5
.LBB38_5:
	s_add_i32 s2, s2, s17
	s_delay_alu instid0(VALU_DEP_1) | instskip(SKIP_1) | instid1(SALU_CYCLE_1)
	v_lshlrev_b64 v[5:6], 1, v[5:6]
	s_ashr_i32 s3, s2, 31
	s_lshl_b64 s[22:23], s[2:3], 1
	s_delay_alu instid0(SALU_CYCLE_1) | instskip(SKIP_1) | instid1(VALU_DEP_1)
	s_add_u32 s3, s0, s22
	s_addc_u32 s21, s1, s23
	v_add_co_u32 v5, vcc_lo, s3, v5
	v_add_co_ci_u32_e32 v6, vcc_lo, s21, v6, vcc_lo
	v_cmp_ne_u32_e32 vcc_lo, 1, v8
	global_load_u16 v9, v[5:6], off
	v_dual_mov_b32 v6, v2 :: v_dual_mov_b32 v5, v1
	s_waitcnt vmcnt(0)
	ds_store_b16 v7, v9 offset:256
	s_cbranch_vccnz .LBB38_7
; %bb.6:
	global_load_b32 v5, v[3:4], off
	s_waitcnt vmcnt(0)
	v_ashrrev_i32_e32 v6, 31, v5
.LBB38_7:
	s_add_i32 s2, s2, s17
	s_delay_alu instid0(VALU_DEP_1) | instskip(SKIP_1) | instid1(SALU_CYCLE_1)
	v_lshlrev_b64 v[5:6], 1, v[5:6]
	s_ashr_i32 s3, s2, 31
	s_lshl_b64 s[22:23], s[2:3], 1
	s_delay_alu instid0(SALU_CYCLE_1) | instskip(SKIP_1) | instid1(VALU_DEP_1)
	s_add_u32 s3, s0, s22
	s_addc_u32 s21, s1, s23
	v_add_co_u32 v5, vcc_lo, s3, v5
	v_add_co_ci_u32_e32 v6, vcc_lo, s21, v6, vcc_lo
	v_cmp_ne_u32_e32 vcc_lo, 1, v8
	global_load_u16 v9, v[5:6], off
	v_dual_mov_b32 v6, v2 :: v_dual_mov_b32 v5, v1
	s_waitcnt vmcnt(0)
	ds_store_b16 v7, v9 offset:512
	;; [unrolled: 21-line block ×3, first 2 shown]
	s_cbranch_vccnz .LBB38_11
; %bb.10:
	global_load_b32 v5, v[3:4], off
	s_waitcnt vmcnt(0)
	v_ashrrev_i32_e32 v6, 31, v5
.LBB38_11:
	s_add_i32 s2, s2, s17
	s_delay_alu instid0(VALU_DEP_1) | instskip(SKIP_1) | instid1(SALU_CYCLE_1)
	v_lshlrev_b64 v[5:6], 1, v[5:6]
	s_ashr_i32 s3, s2, 31
	s_lshl_b64 s[22:23], s[2:3], 1
	s_delay_alu instid0(SALU_CYCLE_1) | instskip(SKIP_1) | instid1(VALU_DEP_1)
	s_add_u32 s3, s0, s22
	s_addc_u32 s21, s1, s23
	v_add_co_u32 v5, vcc_lo, s3, v5
	v_add_co_ci_u32_e32 v6, vcc_lo, s21, v6, vcc_lo
	v_cmp_ne_u32_e32 vcc_lo, 1, v8
	global_load_u16 v5, v[5:6], off
	s_waitcnt vmcnt(0)
	ds_store_b16 v7, v5 offset:1024
	s_cbranch_vccnz .LBB38_13
; %bb.12:
	global_load_b32 v1, v[3:4], off
	s_waitcnt vmcnt(0)
	v_ashrrev_i32_e32 v2, 31, v1
.LBB38_13:
	s_add_i32 s2, s2, s17
	s_delay_alu instid0(VALU_DEP_1) | instskip(SKIP_1) | instid1(SALU_CYCLE_1)
	v_lshlrev_b64 v[1:2], 1, v[1:2]
	s_ashr_i32 s3, s2, 31
	s_lshl_b64 s[2:3], s[2:3], 1
	s_delay_alu instid0(SALU_CYCLE_1) | instskip(SKIP_1) | instid1(VALU_DEP_1)
	s_add_u32 s0, s0, s2
	s_addc_u32 s1, s1, s3
	v_add_co_u32 v1, vcc_lo, s0, v1
	v_add_co_ci_u32_e32 v2, vcc_lo, s1, v2, vcc_lo
	global_load_u16 v1, v[1:2], off
	s_waitcnt vmcnt(0)
	ds_store_b16 v7, v1 offset:1280
.LBB38_14:
	s_or_b32 exec_lo, exec_lo, s14
	v_lshlrev_b32_e32 v0, 2, v0
	s_mov_b32 s0, exec_lo
	s_delay_alu instid0(VALU_DEP_1) | instskip(NEXT) | instid1(VALU_DEP_1)
	v_lshl_add_u32 v12, s13, 9, v0
	v_cmpx_gt_i32_e64 s16, v12
	s_cbranch_execz .LBB38_44
; %bb.15:
	s_abs_i32 s0, s18
	v_dual_mov_b32 v53, 0 :: v_dual_mov_b32 v50, 0
	v_cvt_f32_u32_e32 v0, s0
	v_dual_mov_b32 v52, 0 :: v_dual_mov_b32 v51, 0
	v_dual_mov_b32 v44, 0 :: v_dual_mov_b32 v45, 0
	s_delay_alu instid0(VALU_DEP_3)
	v_rcp_iflag_f32_e32 v0, v0
	v_dual_mov_b32 v48, 0 :: v_dual_mov_b32 v49, 0
	v_dual_mov_b32 v40, 0 :: v_dual_mov_b32 v41, 0
	;; [unrolled: 1-line block ×4, first 2 shown]
	s_waitcnt_depctr 0xfff
	v_dual_mov_b32 v43, 0 :: v_dual_mul_f32 v0, 0x4f7ffffe, v0
	v_dual_mov_b32 v42, 0 :: v_dual_mov_b32 v35, 0
	v_dual_mov_b32 v34, 0 :: v_dual_mov_b32 v39, 0
	s_delay_alu instid0(VALU_DEP_3) | instskip(SKIP_2) | instid1(VALU_DEP_3)
	v_cvt_u32_f32_e32 v0, v0
	v_dual_mov_b32 v38, 0 :: v_dual_mov_b32 v31, 0
	v_dual_mov_b32 v30, 0 :: v_dual_mov_b32 v33, 0
	v_readfirstlane_b32 s1, v0
	v_mov_b32_e32 v32, 0
	s_cmp_ge_i32 s15, s20
	s_mov_b32 s2, 0
	s_waitcnt lgkmcnt(0)
	s_barrier
	buffer_gl0_inv
	s_cbranch_scc1 .LBB38_20
; %bb.16:
	s_sub_i32 s3, 0, s0
	s_abs_i32 s13, s17
	s_mul_i32 s3, s3, s1
	s_ashr_i32 s14, s18, 31
	s_mul_hi_u32 s3, s1, s3
	v_ashrrev_i32_e32 v18, 2, v12
	s_add_i32 s1, s1, s3
	s_ashr_i32 s3, s17, 31
	s_mul_hi_u32 s1, s13, s1
	s_xor_b32 s3, s3, s14
	s_mul_i32 s17, s1, s0
	s_add_i32 s14, s1, 1
	s_sub_i32 s13, s13, s17
	v_ashrrev_i32_e32 v13, 31, v12
	s_sub_i32 s17, s13, s0
	s_cmp_ge_u32 s13, s0
	v_dual_mov_b32 v32, 0 :: v_dual_mov_b32 v35, 0
	s_cselect_b32 s1, s14, s1
	s_cselect_b32 s13, s17, s13
	s_add_i32 s14, s1, 1
	s_cmp_ge_u32 s13, s0
	v_dual_mov_b32 v30, 0 :: v_dual_mov_b32 v43, 0
	s_cselect_b32 s0, s14, s1
	v_dual_mov_b32 v38, 0 :: v_dual_mov_b32 v37, 0
	s_xor_b32 s0, s0, s3
	v_dual_mov_b32 v34, 0 :: v_dual_mov_b32 v47, 0
	s_sub_i32 s3, s0, s3
	s_bitcmp1_b32 s19, 0
	v_cvt_f32_u32_e32 v0, s3
	s_cselect_b32 s1, -1, 0
	s_sub_i32 s13, 0, s3
	s_xor_b32 s14, s1, -1
	v_dual_mov_b32 v42, 0 :: v_dual_mov_b32 v41, 0
	v_rcp_iflag_f32_e32 v0, v0
	v_dual_mov_b32 v36, 0 :: v_dual_mov_b32 v49, 0
	v_dual_mov_b32 v46, 0 :: v_dual_mov_b32 v45, 0
	;; [unrolled: 1-line block ×4, first 2 shown]
	s_waitcnt_depctr 0xfff
	v_dual_mov_b32 v53, 0 :: v_dual_mul_f32 v0, 0x4f7ffffe, v0
	v_mov_b32_e32 v44, 0
	v_mov_b32_e32 v52, 0
	v_dual_mov_b32 v50, 0 :: v_dual_mov_b32 v31, 0
	s_delay_alu instid0(VALU_DEP_4) | instskip(SKIP_1) | instid1(VALU_DEP_2)
	v_cvt_u32_f32_e32 v0, v0
	v_mov_b32_e32 v39, 0
	v_readfirstlane_b32 s0, v0
	s_delay_alu instid0(VALU_DEP_1) | instskip(NEXT) | instid1(SALU_CYCLE_1)
	s_mul_i32 s13, s13, s0
	s_mul_hi_u32 s13, s0, s13
	s_delay_alu instid0(SALU_CYCLE_1) | instskip(NEXT) | instid1(SALU_CYCLE_1)
	s_add_i32 s0, s0, s13
	s_mul_hi_u32 s0, s15, s0
	s_delay_alu instid0(SALU_CYCLE_1) | instskip(NEXT) | instid1(SALU_CYCLE_1)
	s_mul_i32 s13, s0, s3
	s_sub_i32 s1, s15, s13
	s_add_i32 s13, s0, 1
	s_sub_i32 s17, s1, s3
	s_cmp_ge_u32 s1, s3
	s_cselect_b32 s0, s13, s0
	s_cselect_b32 s1, s17, s1
	s_add_i32 s13, s0, 1
	s_cmp_ge_u32 s1, s3
	s_cselect_b32 s13, s13, s0
	s_delay_alu instid0(SALU_CYCLE_1) | instskip(NEXT) | instid1(SALU_CYCLE_1)
	s_mul_i32 s0, s13, s16
	s_ashr_i32 s1, s0, 31
	v_add_nc_u32_e32 v0, s0, v12
	s_lshr_b32 s1, s1, 30
	s_delay_alu instid0(SALU_CYCLE_1) | instskip(NEXT) | instid1(SALU_CYCLE_1)
	s_add_i32 s0, s0, s1
	s_ashr_i32 s0, s0, 2
	s_delay_alu instid0(VALU_DEP_1) | instskip(SKIP_2) | instid1(SALU_CYCLE_1)
	v_ashrrev_i32_e32 v1, 31, v0
	v_add_nc_u32_e32 v2, s0, v18
	s_lshr_b32 s0, s15, 2
	s_mul_i32 s0, s0, s16
	s_delay_alu instid0(VALU_DEP_2) | instskip(NEXT) | instid1(VALU_DEP_2)
	v_lshlrev_b64 v[0:1], 1, v[0:1]
	v_ashrrev_i32_e32 v3, 31, v2
	s_ashr_i32 s1, s0, 31
	s_delay_alu instid0(SALU_CYCLE_1) | instskip(NEXT) | instid1(VALU_DEP_1)
	s_lshl_b64 s[0:1], s[0:1], 2
	v_lshlrev_b64 v[2:3], 2, v[2:3]
	s_delay_alu instid0(VALU_DEP_3) | instskip(SKIP_2) | instid1(VALU_DEP_3)
	v_add_co_u32 v0, vcc_lo, s8, v0
	v_add_co_ci_u32_e32 v1, vcc_lo, s9, v1, vcc_lo
	s_add_u32 s0, s4, s0
	v_add_co_u32 v2, vcc_lo, s6, v2
	s_delay_alu instid0(VALU_DEP_4)
	v_add_co_ci_u32_e32 v3, vcc_lo, s7, v3, vcc_lo
	global_load_b64 v[14:15], v[0:1], off
	global_load_b32 v2, v[2:3], off
	v_lshlrev_b64 v[0:1], 2, v[12:13]
	s_addc_u32 s1, s5, s1
	v_cndmask_b32_e64 v13, 0, 1, s14
	s_ashr_i32 s17, s16, 31
	s_add_i32 s4, s3, s15
	s_delay_alu instid0(VALU_DEP_2)
	v_add_co_u32 v0, vcc_lo, s0, v0
	v_add_co_ci_u32_e32 v1, vcc_lo, s1, v1, vcc_lo
	s_lshl_b64 s[0:1], s[16:17], 2
	s_waitcnt vmcnt(1)
	v_lshrrev_b32_e32 v22, 16, v15
	v_lshrrev_b32_e32 v19, 16, v14
	s_waitcnt vmcnt(0)
	v_and_b32_e32 v20, 0xff, v2
	v_bfe_u32 v21, v2, 8, 8
	v_bfe_u32 v23, v2, 16, 8
	v_lshrrev_b32_e32 v24, 24, v2
	s_branch .LBB38_18
.LBB38_17:                              ;   in Loop: Header=BB38_18 Depth=1
	global_load_b128 v[2:5], v[0:1], off
	v_add_co_u32 v16, vcc_lo, v0, s0
	v_add_co_ci_u32_e32 v17, vcc_lo, s1, v1, vcc_lo
	v_add_nc_u32_e32 v29, v20, v13
	v_dual_mov_b32 v25, s2 :: v_dual_add_nc_u32 v28, v21, v13
	global_load_b128 v[6:9], v[16:17], off
	v_add_nc_u32_e32 v27, v23, v13
	v_add_nc_u32_e32 v26, v24, v13
	v_add_co_u32 v16, vcc_lo, v16, s0
	v_add_co_ci_u32_e32 v17, vcc_lo, s1, v17, vcc_lo
	s_add_i32 s15, s15, 32
	s_add_i32 s2, s2, 64
	s_cmp_ge_i32 s15, s20
	s_waitcnt vmcnt(1)
	v_and_b32_e32 v0, 0xff, v2
	s_delay_alu instid0(VALU_DEP_1) | instskip(NEXT) | instid1(VALU_DEP_1)
	v_sub_nc_u32_e32 v0, v0, v29
	v_cvt_f32_i32_e32 v0, v0
	s_delay_alu instid0(VALU_DEP_1) | instskip(SKIP_1) | instid1(VALU_DEP_1)
	v_cvt_f16_f32_e32 v54, v0
	v_bfe_u32 v0, v2, 8, 8
	v_sub_nc_u32_e32 v0, v0, v29
	s_delay_alu instid0(VALU_DEP_1) | instskip(NEXT) | instid1(VALU_DEP_1)
	v_cvt_f32_i32_e32 v0, v0
	v_cvt_f16_f32_e32 v55, v0
	v_bfe_u32 v0, v2, 16, 8
	s_delay_alu instid0(VALU_DEP_1) | instskip(NEXT) | instid1(VALU_DEP_1)
	v_sub_nc_u32_e32 v0, v0, v29
	v_cvt_f32_i32_e32 v0, v0
	s_delay_alu instid0(VALU_DEP_1) | instskip(SKIP_1) | instid1(VALU_DEP_1)
	v_cvt_f16_f32_e32 v56, v0
	v_lshrrev_b32_e32 v0, 24, v2
	v_sub_nc_u32_e32 v0, v0, v29
	s_delay_alu instid0(VALU_DEP_1) | instskip(NEXT) | instid1(VALU_DEP_1)
	v_cvt_f32_i32_e32 v0, v0
	v_cvt_f16_f32_e32 v61, v0
	s_waitcnt vmcnt(0)
	v_and_b32_e32 v0, 0xff, v6
	s_delay_alu instid0(VALU_DEP_1) | instskip(NEXT) | instid1(VALU_DEP_1)
	v_sub_nc_u32_e32 v0, v0, v29
	v_cvt_f32_i32_e32 v0, v0
	s_delay_alu instid0(VALU_DEP_1) | instskip(SKIP_1) | instid1(VALU_DEP_1)
	v_cvt_f16_f32_e32 v62, v0
	v_bfe_u32 v0, v6, 8, 8
	v_sub_nc_u32_e32 v0, v0, v29
	s_delay_alu instid0(VALU_DEP_1) | instskip(NEXT) | instid1(VALU_DEP_1)
	v_cvt_f32_i32_e32 v0, v0
	v_cvt_f16_f32_e32 v63, v0
	v_bfe_u32 v0, v6, 16, 8
	s_delay_alu instid0(VALU_DEP_1) | instskip(NEXT) | instid1(VALU_DEP_1)
	v_sub_nc_u32_e32 v0, v0, v29
	v_cvt_f32_i32_e32 v0, v0
	s_delay_alu instid0(VALU_DEP_1) | instskip(SKIP_1) | instid1(VALU_DEP_1)
	v_cvt_f16_f32_e32 v64, v0
	v_lshrrev_b32_e32 v0, 24, v6
	v_sub_nc_u32_e32 v0, v0, v29
	s_delay_alu instid0(VALU_DEP_1) | instskip(NEXT) | instid1(VALU_DEP_1)
	v_cvt_f32_i32_e32 v0, v0
	v_cvt_f16_f32_e32 v65, v0
	v_and_b32_e32 v0, 0xff, v3
	s_delay_alu instid0(VALU_DEP_1) | instskip(NEXT) | instid1(VALU_DEP_1)
	v_sub_nc_u32_e32 v0, v0, v28
	v_cvt_f32_i32_e32 v0, v0
	s_delay_alu instid0(VALU_DEP_1) | instskip(SKIP_1) | instid1(VALU_DEP_1)
	v_cvt_f16_f32_e32 v66, v0
	v_bfe_u32 v0, v3, 8, 8
	v_sub_nc_u32_e32 v0, v0, v28
	s_delay_alu instid0(VALU_DEP_1) | instskip(NEXT) | instid1(VALU_DEP_1)
	v_cvt_f32_i32_e32 v0, v0
	v_cvt_f16_f32_e32 v67, v0
	v_bfe_u32 v0, v3, 16, 8
	s_delay_alu instid0(VALU_DEP_1) | instskip(NEXT) | instid1(VALU_DEP_1)
	v_sub_nc_u32_e32 v0, v0, v28
	v_cvt_f32_i32_e32 v0, v0
	s_delay_alu instid0(VALU_DEP_1) | instskip(SKIP_1) | instid1(VALU_DEP_1)
	v_cvt_f16_f32_e32 v68, v0
	v_lshrrev_b32_e32 v0, 24, v3
	v_sub_nc_u32_e32 v0, v0, v28
	s_delay_alu instid0(VALU_DEP_1) | instskip(NEXT) | instid1(VALU_DEP_1)
	v_cvt_f32_i32_e32 v0, v0
	v_cvt_f16_f32_e32 v69, v0
	;; [unrolled: 22-line block ×7, first 2 shown]
	ds_load_b128 v[57:60], v25
	ds_load_b128 v[8:11], v25 offset:16
	ds_load_b128 v[4:7], v25 offset:32
	;; [unrolled: 1-line block ×3, first 2 shown]
	s_waitcnt lgkmcnt(3)
	v_fma_mix_f32 v74, v54, v57, 0 op_sel_hi:[1,1,0]
	s_delay_alu instid0(VALU_DEP_1) | instskip(NEXT) | instid1(VALU_DEP_1)
	v_fma_mix_f32 v74, v55, v57, v74 op_sel:[0,1,0] op_sel_hi:[1,1,0]
	v_fma_mix_f32 v74, v56, v58, v74 op_sel_hi:[1,1,0]
	s_delay_alu instid0(VALU_DEP_1) | instskip(NEXT) | instid1(VALU_DEP_1)
	v_fma_mix_f32 v74, v61, v58, v74 op_sel:[0,1,0] op_sel_hi:[1,1,0]
	;; [unrolled: 3-line block ×4, first 2 shown]
	v_fma_mixlo_f16 v74, v74, v14, 0 op_sel_hi:[0,1,0]
	s_delay_alu instid0(VALU_DEP_1) | instskip(SKIP_1) | instid1(VALU_DEP_1)
	v_add_f16_e32 v33, v33, v74
	v_fma_mix_f32 v74, v66, v57, 0 op_sel_hi:[1,1,0]
	v_fma_mix_f32 v74, v67, v57, v74 op_sel:[0,1,0] op_sel_hi:[1,1,0]
	s_delay_alu instid0(VALU_DEP_1) | instskip(NEXT) | instid1(VALU_DEP_1)
	v_fma_mix_f32 v74, v68, v58, v74 op_sel_hi:[1,1,0]
	v_fma_mix_f32 v74, v69, v58, v74 op_sel:[0,1,0] op_sel_hi:[1,1,0]
	s_delay_alu instid0(VALU_DEP_1) | instskip(NEXT) | instid1(VALU_DEP_1)
	;; [unrolled: 3-line block ×4, first 2 shown]
	v_fma_mixlo_f16 v74, v74, v19, 0 op_sel_hi:[0,1,0]
	v_add_f16_e32 v32, v32, v74
	v_fma_mix_f32 v74, v86, v57, 0 op_sel_hi:[1,1,0]
	s_delay_alu instid0(VALU_DEP_1) | instskip(NEXT) | instid1(VALU_DEP_1)
	v_fma_mix_f32 v74, v87, v57, v74 op_sel:[0,1,0] op_sel_hi:[1,1,0]
	v_fma_mix_f32 v74, v88, v58, v74 op_sel_hi:[1,1,0]
	s_delay_alu instid0(VALU_DEP_1) | instskip(NEXT) | instid1(VALU_DEP_1)
	v_fma_mix_f32 v74, v89, v58, v74 op_sel:[0,1,0] op_sel_hi:[1,1,0]
	;; [unrolled: 3-line block ×4, first 2 shown]
	v_fma_mixlo_f16 v74, v74, v15, 0 op_sel_hi:[0,1,0]
	s_delay_alu instid0(VALU_DEP_1) | instskip(SKIP_1) | instid1(VALU_DEP_1)
	v_add_f16_e32 v31, v31, v74
	v_fma_mix_f32 v74, v94, v57, 0 op_sel_hi:[1,1,0]
	v_fma_mix_f32 v57, v95, v57, v74 op_sel:[0,1,0] op_sel_hi:[1,1,0]
	ds_load_b128 v[74:77], v25 offset:256
	v_fma_mix_f32 v57, v96, v58, v57 op_sel_hi:[1,1,0]
	s_delay_alu instid0(VALU_DEP_1) | instskip(NEXT) | instid1(VALU_DEP_1)
	v_fma_mix_f32 v57, v97, v58, v57 op_sel:[0,1,0] op_sel_hi:[1,1,0]
	v_fma_mix_f32 v57, v98, v59, v57 op_sel_hi:[1,1,0]
	s_delay_alu instid0(VALU_DEP_1) | instskip(NEXT) | instid1(VALU_DEP_1)
	v_fma_mix_f32 v57, v99, v59, v57 op_sel:[0,1,0] op_sel_hi:[1,1,0]
	v_fma_mix_f32 v57, v100, v60, v57 op_sel_hi:[1,1,0]
	s_delay_alu instid0(VALU_DEP_1) | instskip(NEXT) | instid1(VALU_DEP_1)
	v_fma_mix_f32 v57, v101, v60, v57 op_sel:[0,1,0] op_sel_hi:[1,1,0]
	v_fma_mixlo_f16 v57, v57, v22, 0 op_sel_hi:[0,1,0]
	s_delay_alu instid0(VALU_DEP_1) | instskip(SKIP_2) | instid1(VALU_DEP_1)
	v_add_f16_e32 v30, v30, v57
	s_waitcnt lgkmcnt(0)
	v_fma_mix_f32 v57, v54, v74, 0 op_sel_hi:[1,1,0]
	v_fma_mix_f32 v57, v55, v74, v57 op_sel:[0,1,0] op_sel_hi:[1,1,0]
	s_delay_alu instid0(VALU_DEP_1) | instskip(NEXT) | instid1(VALU_DEP_1)
	v_fma_mix_f32 v57, v56, v75, v57 op_sel_hi:[1,1,0]
	v_fma_mix_f32 v57, v61, v75, v57 op_sel:[0,1,0] op_sel_hi:[1,1,0]
	s_delay_alu instid0(VALU_DEP_1) | instskip(NEXT) | instid1(VALU_DEP_1)
	v_fma_mix_f32 v57, v62, v76, v57 op_sel_hi:[1,1,0]
	v_fma_mix_f32 v57, v63, v76, v57 op_sel:[0,1,0] op_sel_hi:[1,1,0]
	s_delay_alu instid0(VALU_DEP_1) | instskip(NEXT) | instid1(VALU_DEP_1)
	v_fma_mix_f32 v57, v64, v77, v57 op_sel_hi:[1,1,0]
	v_fma_mix_f32 v57, v65, v77, v57 op_sel:[0,1,0] op_sel_hi:[1,1,0]
	s_delay_alu instid0(VALU_DEP_1) | instskip(NEXT) | instid1(VALU_DEP_1)
	v_fma_mixlo_f16 v57, v57, v14, 0 op_sel_hi:[0,1,0]
	v_add_f16_e32 v57, v39, v57
	v_fma_mix_f32 v39, v66, v74, 0 op_sel_hi:[1,1,0]
	s_delay_alu instid0(VALU_DEP_1) | instskip(NEXT) | instid1(VALU_DEP_1)
	v_fma_mix_f32 v39, v67, v74, v39 op_sel:[0,1,0] op_sel_hi:[1,1,0]
	v_fma_mix_f32 v39, v68, v75, v39 op_sel_hi:[1,1,0]
	s_delay_alu instid0(VALU_DEP_1) | instskip(NEXT) | instid1(VALU_DEP_1)
	v_fma_mix_f32 v39, v69, v75, v39 op_sel:[0,1,0] op_sel_hi:[1,1,0]
	;; [unrolled: 3-line block ×4, first 2 shown]
	v_fma_mixlo_f16 v39, v39, v19, 0 op_sel_hi:[0,1,0]
	s_delay_alu instid0(VALU_DEP_1) | instskip(SKIP_1) | instid1(VALU_DEP_1)
	v_add_f16_e32 v58, v38, v39
	v_fma_mix_f32 v38, v86, v74, 0 op_sel_hi:[1,1,0]
	v_fma_mix_f32 v38, v87, v74, v38 op_sel:[0,1,0] op_sel_hi:[1,1,0]
	s_delay_alu instid0(VALU_DEP_1) | instskip(NEXT) | instid1(VALU_DEP_1)
	v_fma_mix_f32 v38, v88, v75, v38 op_sel_hi:[1,1,0]
	v_fma_mix_f32 v38, v89, v75, v38 op_sel:[0,1,0] op_sel_hi:[1,1,0]
	s_delay_alu instid0(VALU_DEP_1) | instskip(NEXT) | instid1(VALU_DEP_1)
	;; [unrolled: 3-line block ×4, first 2 shown]
	v_fma_mixlo_f16 v38, v38, v15, 0 op_sel_hi:[0,1,0]
	v_add_f16_e32 v59, v35, v38
	v_fma_mix_f32 v35, v94, v74, 0 op_sel_hi:[1,1,0]
	s_delay_alu instid0(VALU_DEP_1) | instskip(NEXT) | instid1(VALU_DEP_1)
	v_fma_mix_f32 v35, v95, v74, v35 op_sel:[0,1,0] op_sel_hi:[1,1,0]
	v_fma_mix_f32 v35, v96, v75, v35 op_sel_hi:[1,1,0]
	s_delay_alu instid0(VALU_DEP_1) | instskip(NEXT) | instid1(VALU_DEP_1)
	v_fma_mix_f32 v35, v97, v75, v35 op_sel:[0,1,0] op_sel_hi:[1,1,0]
	;; [unrolled: 3-line block ×3, first 2 shown]
	v_fma_mix_f32 v35, v100, v77, v35 op_sel_hi:[1,1,0]
	s_delay_alu instid0(VALU_DEP_1) | instskip(SKIP_2) | instid1(VALU_DEP_1)
	v_fma_mix_f32 v35, v101, v77, v35 op_sel:[0,1,0] op_sel_hi:[1,1,0]
	ds_load_b128 v[77:80], v25 offset:512
	v_fma_mixlo_f16 v35, v35, v22, 0 op_sel_hi:[0,1,0]
	v_add_f16_e32 v60, v34, v35
	s_waitcnt lgkmcnt(0)
	v_fma_mix_f32 v34, v54, v77, 0 op_sel_hi:[1,1,0]
	s_delay_alu instid0(VALU_DEP_1) | instskip(NEXT) | instid1(VALU_DEP_1)
	v_fma_mix_f32 v34, v55, v77, v34 op_sel:[0,1,0] op_sel_hi:[1,1,0]
	v_fma_mix_f32 v34, v56, v78, v34 op_sel_hi:[1,1,0]
	s_delay_alu instid0(VALU_DEP_1) | instskip(NEXT) | instid1(VALU_DEP_1)
	v_fma_mix_f32 v34, v61, v78, v34 op_sel:[0,1,0] op_sel_hi:[1,1,0]
	;; [unrolled: 3-line block ×4, first 2 shown]
	v_fma_mixlo_f16 v34, v34, v14, 0 op_sel_hi:[0,1,0]
	s_delay_alu instid0(VALU_DEP_1) | instskip(SKIP_1) | instid1(VALU_DEP_1)
	v_add_f16_e32 v74, v43, v34
	v_fma_mix_f32 v34, v66, v77, 0 op_sel_hi:[1,1,0]
	v_fma_mix_f32 v34, v67, v77, v34 op_sel:[0,1,0] op_sel_hi:[1,1,0]
	s_delay_alu instid0(VALU_DEP_1) | instskip(NEXT) | instid1(VALU_DEP_1)
	v_fma_mix_f32 v34, v68, v78, v34 op_sel_hi:[1,1,0]
	v_fma_mix_f32 v34, v69, v78, v34 op_sel:[0,1,0] op_sel_hi:[1,1,0]
	s_delay_alu instid0(VALU_DEP_1) | instskip(NEXT) | instid1(VALU_DEP_1)
	;; [unrolled: 3-line block ×4, first 2 shown]
	v_fma_mixlo_f16 v34, v34, v19, 0 op_sel_hi:[0,1,0]
	v_add_f16_e32 v75, v42, v34
	v_fma_mix_f32 v34, v86, v77, 0 op_sel_hi:[1,1,0]
	s_delay_alu instid0(VALU_DEP_1) | instskip(NEXT) | instid1(VALU_DEP_1)
	v_fma_mix_f32 v34, v87, v77, v34 op_sel:[0,1,0] op_sel_hi:[1,1,0]
	v_fma_mix_f32 v34, v88, v78, v34 op_sel_hi:[1,1,0]
	s_delay_alu instid0(VALU_DEP_1) | instskip(NEXT) | instid1(VALU_DEP_1)
	v_fma_mix_f32 v34, v89, v78, v34 op_sel:[0,1,0] op_sel_hi:[1,1,0]
	;; [unrolled: 3-line block ×4, first 2 shown]
	v_fma_mixlo_f16 v34, v34, v15, 0 op_sel_hi:[0,1,0]
	s_delay_alu instid0(VALU_DEP_1) | instskip(SKIP_1) | instid1(VALU_DEP_1)
	v_add_f16_e32 v76, v37, v34
	v_fma_mix_f32 v34, v94, v77, 0 op_sel_hi:[1,1,0]
	v_fma_mix_f32 v34, v95, v77, v34 op_sel:[0,1,0] op_sel_hi:[1,1,0]
	s_delay_alu instid0(VALU_DEP_1) | instskip(NEXT) | instid1(VALU_DEP_1)
	v_fma_mix_f32 v34, v96, v78, v34 op_sel_hi:[1,1,0]
	v_fma_mix_f32 v34, v97, v78, v34 op_sel:[0,1,0] op_sel_hi:[1,1,0]
	s_delay_alu instid0(VALU_DEP_1) | instskip(NEXT) | instid1(VALU_DEP_1)
	;; [unrolled: 3-line block ×4, first 2 shown]
	v_fma_mixlo_f16 v34, v34, v22, 0 op_sel_hi:[0,1,0]
	v_add_f16_e32 v77, v36, v34
	ds_load_b128 v[34:37], v25 offset:768
	s_waitcnt lgkmcnt(0)
	v_fma_mix_f32 v38, v54, v34, 0 op_sel_hi:[1,1,0]
	s_delay_alu instid0(VALU_DEP_1) | instskip(NEXT) | instid1(VALU_DEP_1)
	v_fma_mix_f32 v38, v55, v34, v38 op_sel:[0,1,0] op_sel_hi:[1,1,0]
	v_fma_mix_f32 v38, v56, v35, v38 op_sel_hi:[1,1,0]
	s_delay_alu instid0(VALU_DEP_1) | instskip(NEXT) | instid1(VALU_DEP_1)
	v_fma_mix_f32 v38, v61, v35, v38 op_sel:[0,1,0] op_sel_hi:[1,1,0]
	;; [unrolled: 3-line block ×4, first 2 shown]
	v_fma_mixlo_f16 v38, v38, v14, 0 op_sel_hi:[0,1,0]
	s_delay_alu instid0(VALU_DEP_1) | instskip(SKIP_1) | instid1(VALU_DEP_1)
	v_add_f16_e32 v78, v47, v38
	v_fma_mix_f32 v38, v66, v34, 0 op_sel_hi:[1,1,0]
	v_fma_mix_f32 v38, v67, v34, v38 op_sel:[0,1,0] op_sel_hi:[1,1,0]
	s_delay_alu instid0(VALU_DEP_1) | instskip(NEXT) | instid1(VALU_DEP_1)
	v_fma_mix_f32 v38, v68, v35, v38 op_sel_hi:[1,1,0]
	v_fma_mix_f32 v38, v69, v35, v38 op_sel:[0,1,0] op_sel_hi:[1,1,0]
	s_delay_alu instid0(VALU_DEP_1) | instskip(NEXT) | instid1(VALU_DEP_1)
	v_fma_mix_f32 v38, v70, v36, v38 op_sel_hi:[1,1,0]
	v_fma_mix_f32 v38, v71, v36, v38 op_sel:[0,1,0] op_sel_hi:[1,1,0]
	s_delay_alu instid0(VALU_DEP_1) | instskip(NEXT) | instid1(VALU_DEP_1)
	v_fma_mix_f32 v38, v72, v37, v38 op_sel_hi:[1,1,0]
	v_fma_mix_f32 v38, v73, v37, v38 op_sel:[0,1,0] op_sel_hi:[1,1,0]
	s_delay_alu instid0(VALU_DEP_1) | instskip(NEXT) | instid1(VALU_DEP_1)
	v_fma_mixlo_f16 v38, v38, v19, 0 op_sel_hi:[0,1,0]
	v_add_f16_e32 v79, v46, v38
	v_fma_mix_f32 v38, v86, v34, 0 op_sel_hi:[1,1,0]
	s_delay_alu instid0(VALU_DEP_1) | instskip(NEXT) | instid1(VALU_DEP_1)
	v_fma_mix_f32 v38, v87, v34, v38 op_sel:[0,1,0] op_sel_hi:[1,1,0]
	v_fma_mix_f32 v38, v88, v35, v38 op_sel_hi:[1,1,0]
	s_delay_alu instid0(VALU_DEP_1) | instskip(NEXT) | instid1(VALU_DEP_1)
	v_fma_mix_f32 v38, v89, v35, v38 op_sel:[0,1,0] op_sel_hi:[1,1,0]
	;; [unrolled: 3-line block ×4, first 2 shown]
	v_fma_mixlo_f16 v38, v38, v15, 0 op_sel_hi:[0,1,0]
	s_delay_alu instid0(VALU_DEP_1) | instskip(SKIP_1) | instid1(VALU_DEP_1)
	v_add_f16_e32 v80, v41, v38
	v_fma_mix_f32 v38, v94, v34, 0 op_sel_hi:[1,1,0]
	v_fma_mix_f32 v34, v95, v34, v38 op_sel:[0,1,0] op_sel_hi:[1,1,0]
	s_delay_alu instid0(VALU_DEP_1) | instskip(NEXT) | instid1(VALU_DEP_1)
	v_fma_mix_f32 v34, v96, v35, v34 op_sel_hi:[1,1,0]
	v_fma_mix_f32 v34, v97, v35, v34 op_sel:[0,1,0] op_sel_hi:[1,1,0]
	s_delay_alu instid0(VALU_DEP_1) | instskip(NEXT) | instid1(VALU_DEP_1)
	;; [unrolled: 3-line block ×4, first 2 shown]
	v_fma_mixlo_f16 v34, v34, v22, 0 op_sel_hi:[0,1,0]
	v_add_f16_e32 v81, v40, v34
	ds_load_b128 v[34:37], v25 offset:1024
	s_waitcnt lgkmcnt(0)
	v_fma_mix_f32 v38, v54, v34, 0 op_sel_hi:[1,1,0]
	s_delay_alu instid0(VALU_DEP_1) | instskip(NEXT) | instid1(VALU_DEP_1)
	v_fma_mix_f32 v38, v55, v34, v38 op_sel:[0,1,0] op_sel_hi:[1,1,0]
	v_fma_mix_f32 v38, v56, v35, v38 op_sel_hi:[1,1,0]
	s_delay_alu instid0(VALU_DEP_1) | instskip(NEXT) | instid1(VALU_DEP_1)
	v_fma_mix_f32 v38, v61, v35, v38 op_sel:[0,1,0] op_sel_hi:[1,1,0]
	;; [unrolled: 3-line block ×4, first 2 shown]
	v_fma_mixlo_f16 v38, v38, v14, 0 op_sel_hi:[0,1,0]
	s_delay_alu instid0(VALU_DEP_1) | instskip(SKIP_1) | instid1(VALU_DEP_1)
	v_add_f16_e32 v82, v49, v38
	v_fma_mix_f32 v38, v66, v34, 0 op_sel_hi:[1,1,0]
	v_fma_mix_f32 v38, v67, v34, v38 op_sel:[0,1,0] op_sel_hi:[1,1,0]
	s_delay_alu instid0(VALU_DEP_1) | instskip(NEXT) | instid1(VALU_DEP_1)
	v_fma_mix_f32 v38, v68, v35, v38 op_sel_hi:[1,1,0]
	v_fma_mix_f32 v38, v69, v35, v38 op_sel:[0,1,0] op_sel_hi:[1,1,0]
	s_delay_alu instid0(VALU_DEP_1) | instskip(NEXT) | instid1(VALU_DEP_1)
	;; [unrolled: 3-line block ×4, first 2 shown]
	v_fma_mixlo_f16 v38, v38, v19, 0 op_sel_hi:[0,1,0]
	v_add_f16_e32 v83, v48, v38
	v_fma_mix_f32 v38, v86, v34, 0 op_sel_hi:[1,1,0]
	s_delay_alu instid0(VALU_DEP_1) | instskip(NEXT) | instid1(VALU_DEP_1)
	v_fma_mix_f32 v38, v87, v34, v38 op_sel:[0,1,0] op_sel_hi:[1,1,0]
	v_fma_mix_f32 v38, v88, v35, v38 op_sel_hi:[1,1,0]
	s_delay_alu instid0(VALU_DEP_1) | instskip(NEXT) | instid1(VALU_DEP_1)
	v_fma_mix_f32 v38, v89, v35, v38 op_sel:[0,1,0] op_sel_hi:[1,1,0]
	;; [unrolled: 3-line block ×4, first 2 shown]
	v_fma_mixlo_f16 v38, v38, v15, 0 op_sel_hi:[0,1,0]
	s_delay_alu instid0(VALU_DEP_1) | instskip(SKIP_1) | instid1(VALU_DEP_1)
	v_add_f16_e32 v84, v45, v38
	v_fma_mix_f32 v38, v94, v34, 0 op_sel_hi:[1,1,0]
	v_fma_mix_f32 v34, v95, v34, v38 op_sel:[0,1,0] op_sel_hi:[1,1,0]
	ds_load_b128 v[38:41], v25 offset:1280
	v_fma_mix_f32 v34, v96, v35, v34 op_sel_hi:[1,1,0]
	s_delay_alu instid0(VALU_DEP_1) | instskip(NEXT) | instid1(VALU_DEP_1)
	v_fma_mix_f32 v34, v97, v35, v34 op_sel:[0,1,0] op_sel_hi:[1,1,0]
	v_fma_mix_f32 v34, v98, v36, v34 op_sel_hi:[1,1,0]
	s_delay_alu instid0(VALU_DEP_1) | instskip(NEXT) | instid1(VALU_DEP_1)
	v_fma_mix_f32 v34, v99, v36, v34 op_sel:[0,1,0] op_sel_hi:[1,1,0]
	;; [unrolled: 3-line block ×3, first 2 shown]
	v_fma_mixlo_f16 v34, v34, v22, 0 op_sel_hi:[0,1,0]
	s_delay_alu instid0(VALU_DEP_1) | instskip(SKIP_2) | instid1(VALU_DEP_1)
	v_add_f16_e32 v85, v44, v34
	s_waitcnt lgkmcnt(0)
	v_fma_mix_f32 v34, v54, v38, 0 op_sel_hi:[1,1,0]
	v_fma_mix_f32 v34, v55, v38, v34 op_sel:[0,1,0] op_sel_hi:[1,1,0]
	s_delay_alu instid0(VALU_DEP_1) | instskip(NEXT) | instid1(VALU_DEP_1)
	v_fma_mix_f32 v34, v56, v39, v34 op_sel_hi:[1,1,0]
	v_fma_mix_f32 v34, v61, v39, v34 op_sel:[0,1,0] op_sel_hi:[1,1,0]
	s_delay_alu instid0(VALU_DEP_1) | instskip(NEXT) | instid1(VALU_DEP_1)
	;; [unrolled: 3-line block ×4, first 2 shown]
	v_fma_mixlo_f16 v34, v34, v14, 0 op_sel_hi:[0,1,0]
	v_add_f16_e32 v37, v51, v34
	v_fma_mix_f32 v34, v66, v38, 0 op_sel_hi:[1,1,0]
	s_delay_alu instid0(VALU_DEP_1) | instskip(SKIP_4) | instid1(VALU_DEP_1)
	v_fma_mix_f32 v34, v67, v38, v34 op_sel:[0,1,0] op_sel_hi:[1,1,0]
	global_load_b128 v[64:67], v[16:17], off
	v_add_co_u32 v16, vcc_lo, v16, s0
	v_add_co_ci_u32_e32 v17, vcc_lo, s1, v17, vcc_lo
	v_fma_mix_f32 v34, v68, v39, v34 op_sel_hi:[1,1,0]
	v_fma_mix_f32 v34, v69, v39, v34 op_sel:[0,1,0] op_sel_hi:[1,1,0]
	s_delay_alu instid0(VALU_DEP_1) | instskip(NEXT) | instid1(VALU_DEP_1)
	v_fma_mix_f32 v34, v70, v40, v34 op_sel_hi:[1,1,0]
	v_fma_mix_f32 v34, v71, v40, v34 op_sel:[0,1,0] op_sel_hi:[1,1,0]
	global_load_b128 v[68:71], v[16:17], off
	v_fma_mix_f32 v34, v72, v41, v34 op_sel_hi:[1,1,0]
	s_delay_alu instid0(VALU_DEP_1) | instskip(NEXT) | instid1(VALU_DEP_1)
	v_fma_mix_f32 v34, v73, v41, v34 op_sel:[0,1,0] op_sel_hi:[1,1,0]
	v_fma_mixlo_f16 v34, v34, v19, 0 op_sel_hi:[0,1,0]
	s_delay_alu instid0(VALU_DEP_1) | instskip(SKIP_1) | instid1(VALU_DEP_1)
	v_add_f16_e32 v36, v52, v34
	v_fma_mix_f32 v34, v86, v38, 0 op_sel_hi:[1,1,0]
	v_fma_mix_f32 v34, v87, v38, v34 op_sel:[0,1,0] op_sel_hi:[1,1,0]
	s_delay_alu instid0(VALU_DEP_1) | instskip(NEXT) | instid1(VALU_DEP_1)
	v_fma_mix_f32 v34, v88, v39, v34 op_sel_hi:[1,1,0]
	v_fma_mix_f32 v34, v89, v39, v34 op_sel:[0,1,0] op_sel_hi:[1,1,0]
	s_delay_alu instid0(VALU_DEP_1) | instskip(NEXT) | instid1(VALU_DEP_1)
	;; [unrolled: 3-line block ×4, first 2 shown]
	v_fma_mixlo_f16 v34, v34, v15, 0 op_sel_hi:[0,1,0]
	v_add_f16_e32 v35, v50, v34
	v_fma_mix_f32 v34, v94, v38, 0 op_sel_hi:[1,1,0]
	s_delay_alu instid0(VALU_DEP_1) | instskip(NEXT) | instid1(VALU_DEP_1)
	v_fma_mix_f32 v34, v95, v38, v34 op_sel:[0,1,0] op_sel_hi:[1,1,0]
	v_fma_mix_f32 v34, v96, v39, v34 op_sel_hi:[1,1,0]
	s_delay_alu instid0(VALU_DEP_1) | instskip(NEXT) | instid1(VALU_DEP_1)
	v_fma_mix_f32 v34, v97, v39, v34 op_sel:[0,1,0] op_sel_hi:[1,1,0]
	;; [unrolled: 3-line block ×4, first 2 shown]
	v_fma_mixlo_f16 v34, v34, v22, 0 op_sel_hi:[0,1,0]
	s_delay_alu instid0(VALU_DEP_1)
	v_add_f16_e32 v34, v53, v34
	s_waitcnt vmcnt(1)
	v_and_b32_e32 v38, 0xff, v64
	v_bfe_u32 v39, v64, 8, 8
	v_bfe_u32 v40, v64, 16, 8
	v_lshrrev_b32_e32 v41, 24, v64
	v_bfe_u32 v45, v65, 8, 8
	v_sub_nc_u32_e32 v38, v38, v29
	v_sub_nc_u32_e32 v39, v39, v29
	;; [unrolled: 1-line block ×5, first 2 shown]
	v_cvt_f32_i32_e32 v38, v38
	v_cvt_f32_i32_e32 v39, v39
	v_cvt_f32_i32_e32 v40, v40
	v_cvt_f32_i32_e32 v41, v41
	v_bfe_u32 v47, v65, 16, 8
	v_cvt_f16_f32_e32 v38, v38
	v_cvt_f16_f32_e32 v39, v39
	;; [unrolled: 1-line block ×4, first 2 shown]
	v_cvt_f32_i32_e32 v45, v45
	v_fma_mix_f32 v86, v38, v8, 0 op_sel_hi:[1,1,0]
	s_waitcnt vmcnt(0)
	v_bfe_u32 v43, v68, 8, 8
	v_and_b32_e32 v42, 0xff, v68
	v_bfe_u32 v51, v69, 8, 8
	v_sub_nc_u32_e32 v47, v47, v28
	v_fma_mix_f32 v86, v39, v8, v86 op_sel:[0,1,0] op_sel_hi:[1,1,0]
	v_sub_nc_u32_e32 v43, v43, v29
	v_sub_nc_u32_e32 v42, v42, v29
	;; [unrolled: 1-line block ×3, first 2 shown]
	v_lshrrev_b32_e32 v49, 24, v65
	v_fma_mix_f32 v86, v40, v9, v86 op_sel_hi:[1,1,0]
	v_cvt_f32_i32_e32 v43, v43
	v_cvt_f32_i32_e32 v42, v42
	;; [unrolled: 1-line block ×3, first 2 shown]
	v_cvt_f16_f32_e32 v45, v45
	v_fma_mix_f32 v86, v41, v9, v86 op_sel:[0,1,0] op_sel_hi:[1,1,0]
	v_cvt_f16_f32_e32 v44, v43
	v_bfe_u32 v43, v68, 16, 8
	v_cvt_f16_f32_e32 v42, v42
	v_cvt_f16_f32_e32 v52, v51
	v_bfe_u32 v51, v69, 16, 8
	v_cvt_f32_i32_e32 v47, v47
	v_sub_nc_u32_e32 v43, v43, v29
	v_fma_mix_f32 v86, v42, v10, v86 op_sel_hi:[1,1,0]
	v_sub_nc_u32_e32 v49, v49, v28
	v_and_b32_e32 v50, 0xff, v69
	v_sub_nc_u32_e32 v51, v51, v28
	v_cvt_f32_i32_e32 v43, v43
	v_fma_mix_f32 v86, v44, v10, v86 op_sel:[0,1,0] op_sel_hi:[1,1,0]
	v_cvt_f16_f32_e32 v47, v47
	v_cvt_f32_i32_e32 v49, v49
	v_sub_nc_u32_e32 v50, v50, v28
	v_cvt_f16_f32_e32 v46, v43
	v_lshrrev_b32_e32 v43, 24, v68
	v_cvt_f32_i32_e32 v51, v51
	v_cvt_f16_f32_e32 v49, v49
	v_cvt_f32_i32_e32 v50, v50
	v_fma_mix_f32 v86, v46, v11, v86 op_sel_hi:[1,1,0]
	v_sub_nc_u32_e32 v43, v43, v29
	v_cvt_f16_f32_e32 v54, v51
	v_lshrrev_b32_e32 v51, 24, v69
	v_cvt_f16_f32_e32 v50, v50
	v_bfe_u32 v63, v70, 8, 8
	v_cvt_f32_i32_e32 v43, v43
	v_bfe_u32 v53, v66, 8, 8
	v_sub_nc_u32_e32 v51, v51, v28
	v_bfe_u32 v55, v66, 16, 8
	v_sub_nc_u32_e32 v63, v63, v27
	v_cvt_f16_f32_e32 v48, v43
	v_and_b32_e32 v43, 0xff, v65
	v_cvt_f32_i32_e32 v51, v51
	v_sub_nc_u32_e32 v53, v53, v27
	v_cvt_f32_i32_e32 v63, v63
	v_fma_mix_f32 v86, v48, v11, v86 op_sel:[0,1,0] op_sel_hi:[1,1,0]
	v_sub_nc_u32_e32 v43, v43, v28
	v_cvt_f16_f32_e32 v56, v51
	v_and_b32_e32 v51, 0xff, v66
	v_cvt_f32_i32_e32 v53, v53
	v_fma_mixlo_f16 v86, v86, v14, 0 op_sel_hi:[0,1,0]
	v_cvt_f32_i32_e32 v43, v43
	v_sub_nc_u32_e32 v55, v55, v27
	v_sub_nc_u32_e32 v51, v51, v27
	v_lshrrev_b32_e32 v61, 24, v66
	v_add_f16_e32 v33, v33, v86
	v_cvt_f16_f32_e32 v43, v43
	v_cvt_f16_f32_e32 v64, v63
	v_cvt_f32_i32_e32 v51, v51
	v_bfe_u32 v63, v70, 16, 8
	v_cvt_f16_f32_e32 v53, v53
	v_fma_mix_f32 v86, v43, v8, 0 op_sel_hi:[1,1,0]
	v_cvt_f32_i32_e32 v55, v55
	v_cvt_f16_f32_e32 v51, v51
	v_sub_nc_u32_e32 v61, v61, v27
	v_and_b32_e32 v62, 0xff, v70
	v_fma_mix_f32 v86, v45, v8, v86 op_sel:[0,1,0] op_sel_hi:[1,1,0]
	v_sub_nc_u32_e32 v63, v63, v27
	v_cvt_f16_f32_e32 v55, v55
	v_cvt_f32_i32_e32 v61, v61
	v_sub_nc_u32_e32 v62, v62, v27
	v_fma_mix_f32 v86, v47, v9, v86 op_sel_hi:[1,1,0]
	v_cvt_f32_i32_e32 v63, v63
	v_bfe_u32 v65, v67, 8, 8
	v_cvt_f16_f32_e32 v61, v61
	v_cvt_f32_i32_e32 v62, v62
	v_fma_mix_f32 v86, v49, v9, v86 op_sel:[0,1,0] op_sel_hi:[1,1,0]
	v_cvt_f16_f32_e32 v72, v63
	v_lshrrev_b32_e32 v63, 24, v70
	v_sub_nc_u32_e32 v65, v65, v26
	v_cvt_f16_f32_e32 v62, v62
	v_fma_mix_f32 v86, v50, v10, v86 op_sel_hi:[1,1,0]
	v_bfe_u32 v66, v67, 16, 8
	v_sub_nc_u32_e32 v63, v63, v27
	v_cvt_f32_i32_e32 v65, v65
	v_and_b32_e32 v68, 0xff, v71
	v_fma_mix_f32 v86, v52, v10, v86 op_sel:[0,1,0] op_sel_hi:[1,1,0]
	v_sub_nc_u32_e32 v66, v66, v26
	v_cvt_f32_i32_e32 v63, v63
	v_cvt_f16_f32_e32 v65, v65
	v_sub_nc_u32_e32 v68, v68, v26
	v_fma_mix_f32 v86, v54, v11, v86 op_sel_hi:[1,1,0]
	v_cvt_f32_i32_e32 v66, v66
	v_cvt_f16_f32_e32 v73, v63
	v_and_b32_e32 v63, 0xff, v67
	v_lshrrev_b32_e32 v67, 24, v67
	v_fma_mix_f32 v86, v56, v11, v86 op_sel:[0,1,0] op_sel_hi:[1,1,0]
	v_cvt_f16_f32_e32 v66, v66
	v_bfe_u32 v69, v71, 8, 8
	v_sub_nc_u32_e32 v63, v63, v26
	v_sub_nc_u32_e32 v67, v67, v26
	v_fma_mixlo_f16 v86, v86, v19, 0 op_sel_hi:[0,1,0]
	v_cvt_f32_i32_e32 v68, v68
	v_sub_nc_u32_e32 v69, v69, v26
	v_cvt_f32_i32_e32 v63, v63
	v_cvt_f32_i32_e32 v67, v67
	v_add_f16_e32 v32, v32, v86
	v_fma_mix_f32 v86, v51, v8, 0 op_sel_hi:[1,1,0]
	v_bfe_u32 v70, v71, 16, 8
	v_cvt_f16_f32_e32 v63, v63
	v_cvt_f16_f32_e32 v67, v67
	;; [unrolled: 1-line block ×3, first 2 shown]
	v_fma_mix_f32 v86, v53, v8, v86 op_sel:[0,1,0] op_sel_hi:[1,1,0]
	v_cvt_f32_i32_e32 v69, v69
	v_sub_nc_u32_e32 v70, v70, v26
	v_lshrrev_b32_e32 v71, 24, v71
	s_delay_alu instid0(VALU_DEP_4) | instskip(NEXT) | instid1(VALU_DEP_4)
	v_fma_mix_f32 v86, v55, v9, v86 op_sel_hi:[1,1,0]
	v_cvt_f16_f32_e32 v69, v69
	s_delay_alu instid0(VALU_DEP_4) | instskip(NEXT) | instid1(VALU_DEP_4)
	v_cvt_f32_i32_e32 v70, v70
	v_sub_nc_u32_e32 v71, v71, v26
	s_delay_alu instid0(VALU_DEP_4) | instskip(NEXT) | instid1(VALU_DEP_3)
	v_fma_mix_f32 v86, v61, v9, v86 op_sel:[0,1,0] op_sel_hi:[1,1,0]
	v_cvt_f16_f32_e32 v70, v70
	s_delay_alu instid0(VALU_DEP_3) | instskip(NEXT) | instid1(VALU_DEP_3)
	v_cvt_f32_i32_e32 v71, v71
	v_fma_mix_f32 v86, v62, v10, v86 op_sel_hi:[1,1,0]
	s_delay_alu instid0(VALU_DEP_2) | instskip(NEXT) | instid1(VALU_DEP_2)
	v_cvt_f16_f32_e32 v71, v71
	v_fma_mix_f32 v86, v64, v10, v86 op_sel:[0,1,0] op_sel_hi:[1,1,0]
	s_delay_alu instid0(VALU_DEP_1) | instskip(NEXT) | instid1(VALU_DEP_1)
	v_fma_mix_f32 v86, v72, v11, v86 op_sel_hi:[1,1,0]
	v_fma_mix_f32 v86, v73, v11, v86 op_sel:[0,1,0] op_sel_hi:[1,1,0]
	s_delay_alu instid0(VALU_DEP_1) | instskip(NEXT) | instid1(VALU_DEP_1)
	v_fma_mixlo_f16 v86, v86, v15, 0 op_sel_hi:[0,1,0]
	v_add_f16_e32 v31, v31, v86
	v_fma_mix_f32 v86, v63, v8, 0 op_sel_hi:[1,1,0]
	s_delay_alu instid0(VALU_DEP_1) | instskip(NEXT) | instid1(VALU_DEP_1)
	v_fma_mix_f32 v8, v65, v8, v86 op_sel:[0,1,0] op_sel_hi:[1,1,0]
	v_fma_mix_f32 v8, v66, v9, v8 op_sel_hi:[1,1,0]
	s_delay_alu instid0(VALU_DEP_1) | instskip(NEXT) | instid1(VALU_DEP_1)
	v_fma_mix_f32 v8, v67, v9, v8 op_sel:[0,1,0] op_sel_hi:[1,1,0]
	v_fma_mix_f32 v8, v68, v10, v8 op_sel_hi:[1,1,0]
	s_delay_alu instid0(VALU_DEP_1) | instskip(NEXT) | instid1(VALU_DEP_1)
	v_fma_mix_f32 v8, v69, v10, v8 op_sel:[0,1,0] op_sel_hi:[1,1,0]
	v_fma_mix_f32 v8, v70, v11, v8 op_sel_hi:[1,1,0]
	s_delay_alu instid0(VALU_DEP_1) | instskip(NEXT) | instid1(VALU_DEP_1)
	v_fma_mix_f32 v8, v71, v11, v8 op_sel:[0,1,0] op_sel_hi:[1,1,0]
	v_fma_mixlo_f16 v8, v8, v22, 0 op_sel_hi:[0,1,0]
	s_delay_alu instid0(VALU_DEP_1) | instskip(SKIP_3) | instid1(VALU_DEP_1)
	v_add_f16_e32 v30, v30, v8
	ds_load_b128 v[8:11], v25 offset:272
	s_waitcnt lgkmcnt(0)
	v_fma_mix_f32 v86, v38, v8, 0 op_sel_hi:[1,1,0]
	v_fma_mix_f32 v86, v39, v8, v86 op_sel:[0,1,0] op_sel_hi:[1,1,0]
	s_delay_alu instid0(VALU_DEP_1) | instskip(NEXT) | instid1(VALU_DEP_1)
	v_fma_mix_f32 v86, v40, v9, v86 op_sel_hi:[1,1,0]
	v_fma_mix_f32 v86, v41, v9, v86 op_sel:[0,1,0] op_sel_hi:[1,1,0]
	s_delay_alu instid0(VALU_DEP_1) | instskip(NEXT) | instid1(VALU_DEP_1)
	v_fma_mix_f32 v86, v42, v10, v86 op_sel_hi:[1,1,0]
	v_fma_mix_f32 v86, v44, v10, v86 op_sel:[0,1,0] op_sel_hi:[1,1,0]
	s_delay_alu instid0(VALU_DEP_1) | instskip(NEXT) | instid1(VALU_DEP_1)
	v_fma_mix_f32 v86, v46, v11, v86 op_sel_hi:[1,1,0]
	v_fma_mix_f32 v86, v48, v11, v86 op_sel:[0,1,0] op_sel_hi:[1,1,0]
	s_delay_alu instid0(VALU_DEP_1) | instskip(NEXT) | instid1(VALU_DEP_1)
	v_fma_mixlo_f16 v86, v86, v14, 0 op_sel_hi:[0,1,0]
	v_add_f16_e32 v57, v57, v86
	v_fma_mix_f32 v86, v43, v8, 0 op_sel_hi:[1,1,0]
	s_delay_alu instid0(VALU_DEP_1) | instskip(NEXT) | instid1(VALU_DEP_1)
	v_fma_mix_f32 v86, v45, v8, v86 op_sel:[0,1,0] op_sel_hi:[1,1,0]
	v_fma_mix_f32 v86, v47, v9, v86 op_sel_hi:[1,1,0]
	s_delay_alu instid0(VALU_DEP_1) | instskip(NEXT) | instid1(VALU_DEP_1)
	v_fma_mix_f32 v86, v49, v9, v86 op_sel:[0,1,0] op_sel_hi:[1,1,0]
	v_fma_mix_f32 v86, v50, v10, v86 op_sel_hi:[1,1,0]
	s_delay_alu instid0(VALU_DEP_1) | instskip(NEXT) | instid1(VALU_DEP_1)
	v_fma_mix_f32 v86, v52, v10, v86 op_sel:[0,1,0] op_sel_hi:[1,1,0]
	v_fma_mix_f32 v86, v54, v11, v86 op_sel_hi:[1,1,0]
	s_delay_alu instid0(VALU_DEP_1) | instskip(NEXT) | instid1(VALU_DEP_1)
	v_fma_mix_f32 v86, v56, v11, v86 op_sel:[0,1,0] op_sel_hi:[1,1,0]
	v_fma_mixlo_f16 v86, v86, v19, 0 op_sel_hi:[0,1,0]
	s_delay_alu instid0(VALU_DEP_1) | instskip(SKIP_1) | instid1(VALU_DEP_1)
	v_add_f16_e32 v58, v58, v86
	v_fma_mix_f32 v86, v51, v8, 0 op_sel_hi:[1,1,0]
	v_fma_mix_f32 v86, v53, v8, v86 op_sel:[0,1,0] op_sel_hi:[1,1,0]
	s_delay_alu instid0(VALU_DEP_1) | instskip(NEXT) | instid1(VALU_DEP_1)
	v_fma_mix_f32 v86, v55, v9, v86 op_sel_hi:[1,1,0]
	v_fma_mix_f32 v86, v61, v9, v86 op_sel:[0,1,0] op_sel_hi:[1,1,0]
	s_delay_alu instid0(VALU_DEP_1) | instskip(NEXT) | instid1(VALU_DEP_1)
	v_fma_mix_f32 v86, v62, v10, v86 op_sel_hi:[1,1,0]
	v_fma_mix_f32 v86, v64, v10, v86 op_sel:[0,1,0] op_sel_hi:[1,1,0]
	s_delay_alu instid0(VALU_DEP_1) | instskip(NEXT) | instid1(VALU_DEP_1)
	v_fma_mix_f32 v86, v72, v11, v86 op_sel_hi:[1,1,0]
	v_fma_mix_f32 v86, v73, v11, v86 op_sel:[0,1,0] op_sel_hi:[1,1,0]
	s_delay_alu instid0(VALU_DEP_1) | instskip(NEXT) | instid1(VALU_DEP_1)
	v_fma_mixlo_f16 v86, v86, v15, 0 op_sel_hi:[0,1,0]
	v_add_f16_e32 v59, v59, v86
	v_fma_mix_f32 v86, v63, v8, 0 op_sel_hi:[1,1,0]
	s_delay_alu instid0(VALU_DEP_1) | instskip(NEXT) | instid1(VALU_DEP_1)
	v_fma_mix_f32 v8, v65, v8, v86 op_sel:[0,1,0] op_sel_hi:[1,1,0]
	v_fma_mix_f32 v8, v66, v9, v8 op_sel_hi:[1,1,0]
	s_delay_alu instid0(VALU_DEP_1) | instskip(NEXT) | instid1(VALU_DEP_1)
	v_fma_mix_f32 v8, v67, v9, v8 op_sel:[0,1,0] op_sel_hi:[1,1,0]
	v_fma_mix_f32 v8, v68, v10, v8 op_sel_hi:[1,1,0]
	s_delay_alu instid0(VALU_DEP_1) | instskip(NEXT) | instid1(VALU_DEP_1)
	v_fma_mix_f32 v8, v69, v10, v8 op_sel:[0,1,0] op_sel_hi:[1,1,0]
	v_fma_mix_f32 v8, v70, v11, v8 op_sel_hi:[1,1,0]
	s_delay_alu instid0(VALU_DEP_1) | instskip(NEXT) | instid1(VALU_DEP_1)
	v_fma_mix_f32 v8, v71, v11, v8 op_sel:[0,1,0] op_sel_hi:[1,1,0]
	v_fma_mixlo_f16 v8, v8, v22, 0 op_sel_hi:[0,1,0]
	s_delay_alu instid0(VALU_DEP_1) | instskip(SKIP_3) | instid1(VALU_DEP_1)
	v_add_f16_e32 v60, v60, v8
	ds_load_b128 v[8:11], v25 offset:528
	s_waitcnt lgkmcnt(0)
	v_fma_mix_f32 v86, v38, v8, 0 op_sel_hi:[1,1,0]
	v_fma_mix_f32 v86, v39, v8, v86 op_sel:[0,1,0] op_sel_hi:[1,1,0]
	s_delay_alu instid0(VALU_DEP_1) | instskip(NEXT) | instid1(VALU_DEP_1)
	v_fma_mix_f32 v86, v40, v9, v86 op_sel_hi:[1,1,0]
	v_fma_mix_f32 v86, v41, v9, v86 op_sel:[0,1,0] op_sel_hi:[1,1,0]
	s_delay_alu instid0(VALU_DEP_1) | instskip(NEXT) | instid1(VALU_DEP_1)
	v_fma_mix_f32 v86, v42, v10, v86 op_sel_hi:[1,1,0]
	v_fma_mix_f32 v86, v44, v10, v86 op_sel:[0,1,0] op_sel_hi:[1,1,0]
	s_delay_alu instid0(VALU_DEP_1) | instskip(NEXT) | instid1(VALU_DEP_1)
	v_fma_mix_f32 v86, v46, v11, v86 op_sel_hi:[1,1,0]
	v_fma_mix_f32 v86, v48, v11, v86 op_sel:[0,1,0] op_sel_hi:[1,1,0]
	s_delay_alu instid0(VALU_DEP_1) | instskip(NEXT) | instid1(VALU_DEP_1)
	v_fma_mixlo_f16 v86, v86, v14, 0 op_sel_hi:[0,1,0]
	v_add_f16_e32 v74, v74, v86
	v_fma_mix_f32 v86, v43, v8, 0 op_sel_hi:[1,1,0]
	s_delay_alu instid0(VALU_DEP_1) | instskip(NEXT) | instid1(VALU_DEP_1)
	v_fma_mix_f32 v86, v45, v8, v86 op_sel:[0,1,0] op_sel_hi:[1,1,0]
	v_fma_mix_f32 v86, v47, v9, v86 op_sel_hi:[1,1,0]
	s_delay_alu instid0(VALU_DEP_1) | instskip(NEXT) | instid1(VALU_DEP_1)
	v_fma_mix_f32 v86, v49, v9, v86 op_sel:[0,1,0] op_sel_hi:[1,1,0]
	v_fma_mix_f32 v86, v50, v10, v86 op_sel_hi:[1,1,0]
	s_delay_alu instid0(VALU_DEP_1) | instskip(NEXT) | instid1(VALU_DEP_1)
	v_fma_mix_f32 v86, v52, v10, v86 op_sel:[0,1,0] op_sel_hi:[1,1,0]
	v_fma_mix_f32 v86, v54, v11, v86 op_sel_hi:[1,1,0]
	s_delay_alu instid0(VALU_DEP_1) | instskip(NEXT) | instid1(VALU_DEP_1)
	v_fma_mix_f32 v86, v56, v11, v86 op_sel:[0,1,0] op_sel_hi:[1,1,0]
	v_fma_mixlo_f16 v86, v86, v19, 0 op_sel_hi:[0,1,0]
	s_delay_alu instid0(VALU_DEP_1) | instskip(SKIP_1) | instid1(VALU_DEP_1)
	v_add_f16_e32 v75, v75, v86
	v_fma_mix_f32 v86, v51, v8, 0 op_sel_hi:[1,1,0]
	v_fma_mix_f32 v86, v53, v8, v86 op_sel:[0,1,0] op_sel_hi:[1,1,0]
	s_delay_alu instid0(VALU_DEP_1) | instskip(NEXT) | instid1(VALU_DEP_1)
	v_fma_mix_f32 v86, v55, v9, v86 op_sel_hi:[1,1,0]
	v_fma_mix_f32 v86, v61, v9, v86 op_sel:[0,1,0] op_sel_hi:[1,1,0]
	s_delay_alu instid0(VALU_DEP_1) | instskip(NEXT) | instid1(VALU_DEP_1)
	v_fma_mix_f32 v86, v62, v10, v86 op_sel_hi:[1,1,0]
	v_fma_mix_f32 v86, v64, v10, v86 op_sel:[0,1,0] op_sel_hi:[1,1,0]
	s_delay_alu instid0(VALU_DEP_1) | instskip(NEXT) | instid1(VALU_DEP_1)
	v_fma_mix_f32 v86, v72, v11, v86 op_sel_hi:[1,1,0]
	v_fma_mix_f32 v86, v73, v11, v86 op_sel:[0,1,0] op_sel_hi:[1,1,0]
	s_delay_alu instid0(VALU_DEP_1) | instskip(NEXT) | instid1(VALU_DEP_1)
	v_fma_mixlo_f16 v86, v86, v15, 0 op_sel_hi:[0,1,0]
	v_add_f16_e32 v76, v76, v86
	v_fma_mix_f32 v86, v63, v8, 0 op_sel_hi:[1,1,0]
	s_delay_alu instid0(VALU_DEP_1) | instskip(NEXT) | instid1(VALU_DEP_1)
	v_fma_mix_f32 v8, v65, v8, v86 op_sel:[0,1,0] op_sel_hi:[1,1,0]
	v_fma_mix_f32 v8, v66, v9, v8 op_sel_hi:[1,1,0]
	s_delay_alu instid0(VALU_DEP_1) | instskip(NEXT) | instid1(VALU_DEP_1)
	v_fma_mix_f32 v8, v67, v9, v8 op_sel:[0,1,0] op_sel_hi:[1,1,0]
	v_fma_mix_f32 v8, v68, v10, v8 op_sel_hi:[1,1,0]
	s_delay_alu instid0(VALU_DEP_1) | instskip(NEXT) | instid1(VALU_DEP_1)
	v_fma_mix_f32 v8, v69, v10, v8 op_sel:[0,1,0] op_sel_hi:[1,1,0]
	v_fma_mix_f32 v8, v70, v11, v8 op_sel_hi:[1,1,0]
	s_delay_alu instid0(VALU_DEP_1) | instskip(NEXT) | instid1(VALU_DEP_1)
	v_fma_mix_f32 v8, v71, v11, v8 op_sel:[0,1,0] op_sel_hi:[1,1,0]
	v_fma_mixlo_f16 v8, v8, v22, 0 op_sel_hi:[0,1,0]
	s_delay_alu instid0(VALU_DEP_1) | instskip(SKIP_3) | instid1(VALU_DEP_1)
	v_add_f16_e32 v77, v77, v8
	ds_load_b128 v[8:11], v25 offset:784
	s_waitcnt lgkmcnt(0)
	v_fma_mix_f32 v86, v38, v8, 0 op_sel_hi:[1,1,0]
	v_fma_mix_f32 v86, v39, v8, v86 op_sel:[0,1,0] op_sel_hi:[1,1,0]
	s_delay_alu instid0(VALU_DEP_1) | instskip(NEXT) | instid1(VALU_DEP_1)
	v_fma_mix_f32 v86, v40, v9, v86 op_sel_hi:[1,1,0]
	v_fma_mix_f32 v86, v41, v9, v86 op_sel:[0,1,0] op_sel_hi:[1,1,0]
	s_delay_alu instid0(VALU_DEP_1) | instskip(NEXT) | instid1(VALU_DEP_1)
	v_fma_mix_f32 v86, v42, v10, v86 op_sel_hi:[1,1,0]
	v_fma_mix_f32 v86, v44, v10, v86 op_sel:[0,1,0] op_sel_hi:[1,1,0]
	s_delay_alu instid0(VALU_DEP_1) | instskip(NEXT) | instid1(VALU_DEP_1)
	v_fma_mix_f32 v86, v46, v11, v86 op_sel_hi:[1,1,0]
	v_fma_mix_f32 v86, v48, v11, v86 op_sel:[0,1,0] op_sel_hi:[1,1,0]
	s_delay_alu instid0(VALU_DEP_1) | instskip(NEXT) | instid1(VALU_DEP_1)
	v_fma_mixlo_f16 v86, v86, v14, 0 op_sel_hi:[0,1,0]
	v_add_f16_e32 v78, v78, v86
	v_fma_mix_f32 v86, v43, v8, 0 op_sel_hi:[1,1,0]
	s_delay_alu instid0(VALU_DEP_1) | instskip(NEXT) | instid1(VALU_DEP_1)
	v_fma_mix_f32 v86, v45, v8, v86 op_sel:[0,1,0] op_sel_hi:[1,1,0]
	v_fma_mix_f32 v86, v47, v9, v86 op_sel_hi:[1,1,0]
	s_delay_alu instid0(VALU_DEP_1) | instskip(NEXT) | instid1(VALU_DEP_1)
	v_fma_mix_f32 v86, v49, v9, v86 op_sel:[0,1,0] op_sel_hi:[1,1,0]
	v_fma_mix_f32 v86, v50, v10, v86 op_sel_hi:[1,1,0]
	s_delay_alu instid0(VALU_DEP_1) | instskip(NEXT) | instid1(VALU_DEP_1)
	v_fma_mix_f32 v86, v52, v10, v86 op_sel:[0,1,0] op_sel_hi:[1,1,0]
	v_fma_mix_f32 v86, v54, v11, v86 op_sel_hi:[1,1,0]
	s_delay_alu instid0(VALU_DEP_1) | instskip(NEXT) | instid1(VALU_DEP_1)
	v_fma_mix_f32 v86, v56, v11, v86 op_sel:[0,1,0] op_sel_hi:[1,1,0]
	v_fma_mixlo_f16 v86, v86, v19, 0 op_sel_hi:[0,1,0]
	s_delay_alu instid0(VALU_DEP_1) | instskip(SKIP_1) | instid1(VALU_DEP_1)
	v_add_f16_e32 v79, v79, v86
	v_fma_mix_f32 v86, v51, v8, 0 op_sel_hi:[1,1,0]
	v_fma_mix_f32 v86, v53, v8, v86 op_sel:[0,1,0] op_sel_hi:[1,1,0]
	s_delay_alu instid0(VALU_DEP_1) | instskip(NEXT) | instid1(VALU_DEP_1)
	v_fma_mix_f32 v86, v55, v9, v86 op_sel_hi:[1,1,0]
	v_fma_mix_f32 v86, v61, v9, v86 op_sel:[0,1,0] op_sel_hi:[1,1,0]
	s_delay_alu instid0(VALU_DEP_1) | instskip(NEXT) | instid1(VALU_DEP_1)
	v_fma_mix_f32 v86, v62, v10, v86 op_sel_hi:[1,1,0]
	v_fma_mix_f32 v86, v64, v10, v86 op_sel:[0,1,0] op_sel_hi:[1,1,0]
	s_delay_alu instid0(VALU_DEP_1) | instskip(NEXT) | instid1(VALU_DEP_1)
	v_fma_mix_f32 v86, v72, v11, v86 op_sel_hi:[1,1,0]
	v_fma_mix_f32 v86, v73, v11, v86 op_sel:[0,1,0] op_sel_hi:[1,1,0]
	s_delay_alu instid0(VALU_DEP_1) | instskip(NEXT) | instid1(VALU_DEP_1)
	v_fma_mixlo_f16 v86, v86, v15, 0 op_sel_hi:[0,1,0]
	v_add_f16_e32 v80, v80, v86
	v_fma_mix_f32 v86, v63, v8, 0 op_sel_hi:[1,1,0]
	s_delay_alu instid0(VALU_DEP_1) | instskip(NEXT) | instid1(VALU_DEP_1)
	v_fma_mix_f32 v8, v65, v8, v86 op_sel:[0,1,0] op_sel_hi:[1,1,0]
	v_fma_mix_f32 v8, v66, v9, v8 op_sel_hi:[1,1,0]
	s_delay_alu instid0(VALU_DEP_1) | instskip(NEXT) | instid1(VALU_DEP_1)
	v_fma_mix_f32 v8, v67, v9, v8 op_sel:[0,1,0] op_sel_hi:[1,1,0]
	v_fma_mix_f32 v8, v68, v10, v8 op_sel_hi:[1,1,0]
	s_delay_alu instid0(VALU_DEP_1) | instskip(NEXT) | instid1(VALU_DEP_1)
	v_fma_mix_f32 v8, v69, v10, v8 op_sel:[0,1,0] op_sel_hi:[1,1,0]
	v_fma_mix_f32 v8, v70, v11, v8 op_sel_hi:[1,1,0]
	s_delay_alu instid0(VALU_DEP_1) | instskip(NEXT) | instid1(VALU_DEP_1)
	v_fma_mix_f32 v8, v71, v11, v8 op_sel:[0,1,0] op_sel_hi:[1,1,0]
	v_fma_mixlo_f16 v8, v8, v22, 0 op_sel_hi:[0,1,0]
	s_delay_alu instid0(VALU_DEP_1) | instskip(SKIP_3) | instid1(VALU_DEP_1)
	v_add_f16_e32 v81, v81, v8
	ds_load_b128 v[8:11], v25 offset:1040
	s_waitcnt lgkmcnt(0)
	v_fma_mix_f32 v86, v38, v8, 0 op_sel_hi:[1,1,0]
	v_fma_mix_f32 v86, v39, v8, v86 op_sel:[0,1,0] op_sel_hi:[1,1,0]
	s_delay_alu instid0(VALU_DEP_1) | instskip(NEXT) | instid1(VALU_DEP_1)
	v_fma_mix_f32 v86, v40, v9, v86 op_sel_hi:[1,1,0]
	v_fma_mix_f32 v86, v41, v9, v86 op_sel:[0,1,0] op_sel_hi:[1,1,0]
	s_delay_alu instid0(VALU_DEP_1) | instskip(NEXT) | instid1(VALU_DEP_1)
	v_fma_mix_f32 v86, v42, v10, v86 op_sel_hi:[1,1,0]
	v_fma_mix_f32 v86, v44, v10, v86 op_sel:[0,1,0] op_sel_hi:[1,1,0]
	s_delay_alu instid0(VALU_DEP_1) | instskip(NEXT) | instid1(VALU_DEP_1)
	v_fma_mix_f32 v86, v46, v11, v86 op_sel_hi:[1,1,0]
	v_fma_mix_f32 v86, v48, v11, v86 op_sel:[0,1,0] op_sel_hi:[1,1,0]
	s_delay_alu instid0(VALU_DEP_1) | instskip(NEXT) | instid1(VALU_DEP_1)
	v_fma_mixlo_f16 v86, v86, v14, 0 op_sel_hi:[0,1,0]
	v_add_f16_e32 v82, v82, v86
	v_fma_mix_f32 v86, v43, v8, 0 op_sel_hi:[1,1,0]
	s_delay_alu instid0(VALU_DEP_1) | instskip(NEXT) | instid1(VALU_DEP_1)
	v_fma_mix_f32 v86, v45, v8, v86 op_sel:[0,1,0] op_sel_hi:[1,1,0]
	v_fma_mix_f32 v86, v47, v9, v86 op_sel_hi:[1,1,0]
	s_delay_alu instid0(VALU_DEP_1) | instskip(NEXT) | instid1(VALU_DEP_1)
	v_fma_mix_f32 v86, v49, v9, v86 op_sel:[0,1,0] op_sel_hi:[1,1,0]
	v_fma_mix_f32 v86, v50, v10, v86 op_sel_hi:[1,1,0]
	s_delay_alu instid0(VALU_DEP_1) | instskip(NEXT) | instid1(VALU_DEP_1)
	v_fma_mix_f32 v86, v52, v10, v86 op_sel:[0,1,0] op_sel_hi:[1,1,0]
	v_fma_mix_f32 v86, v54, v11, v86 op_sel_hi:[1,1,0]
	s_delay_alu instid0(VALU_DEP_1) | instskip(NEXT) | instid1(VALU_DEP_1)
	v_fma_mix_f32 v86, v56, v11, v86 op_sel:[0,1,0] op_sel_hi:[1,1,0]
	v_fma_mixlo_f16 v86, v86, v19, 0 op_sel_hi:[0,1,0]
	s_delay_alu instid0(VALU_DEP_1) | instskip(SKIP_1) | instid1(VALU_DEP_1)
	v_add_f16_e32 v83, v83, v86
	v_fma_mix_f32 v86, v51, v8, 0 op_sel_hi:[1,1,0]
	v_fma_mix_f32 v86, v53, v8, v86 op_sel:[0,1,0] op_sel_hi:[1,1,0]
	s_delay_alu instid0(VALU_DEP_1) | instskip(NEXT) | instid1(VALU_DEP_1)
	v_fma_mix_f32 v86, v55, v9, v86 op_sel_hi:[1,1,0]
	v_fma_mix_f32 v86, v61, v9, v86 op_sel:[0,1,0] op_sel_hi:[1,1,0]
	s_delay_alu instid0(VALU_DEP_1) | instskip(NEXT) | instid1(VALU_DEP_1)
	v_fma_mix_f32 v86, v62, v10, v86 op_sel_hi:[1,1,0]
	v_fma_mix_f32 v86, v64, v10, v86 op_sel:[0,1,0] op_sel_hi:[1,1,0]
	s_delay_alu instid0(VALU_DEP_1) | instskip(NEXT) | instid1(VALU_DEP_1)
	v_fma_mix_f32 v86, v72, v11, v86 op_sel_hi:[1,1,0]
	v_fma_mix_f32 v86, v73, v11, v86 op_sel:[0,1,0] op_sel_hi:[1,1,0]
	s_delay_alu instid0(VALU_DEP_1) | instskip(NEXT) | instid1(VALU_DEP_1)
	v_fma_mixlo_f16 v86, v86, v15, 0 op_sel_hi:[0,1,0]
	v_add_f16_e32 v84, v84, v86
	v_fma_mix_f32 v86, v63, v8, 0 op_sel_hi:[1,1,0]
	s_delay_alu instid0(VALU_DEP_1) | instskip(NEXT) | instid1(VALU_DEP_1)
	v_fma_mix_f32 v8, v65, v8, v86 op_sel:[0,1,0] op_sel_hi:[1,1,0]
	v_fma_mix_f32 v8, v66, v9, v8 op_sel_hi:[1,1,0]
	s_delay_alu instid0(VALU_DEP_1) | instskip(NEXT) | instid1(VALU_DEP_1)
	v_fma_mix_f32 v8, v67, v9, v8 op_sel:[0,1,0] op_sel_hi:[1,1,0]
	v_fma_mix_f32 v8, v68, v10, v8 op_sel_hi:[1,1,0]
	s_delay_alu instid0(VALU_DEP_1) | instskip(NEXT) | instid1(VALU_DEP_1)
	v_fma_mix_f32 v8, v69, v10, v8 op_sel:[0,1,0] op_sel_hi:[1,1,0]
	v_fma_mix_f32 v8, v70, v11, v8 op_sel_hi:[1,1,0]
	s_delay_alu instid0(VALU_DEP_1) | instskip(NEXT) | instid1(VALU_DEP_1)
	v_fma_mix_f32 v8, v71, v11, v8 op_sel:[0,1,0] op_sel_hi:[1,1,0]
	v_fma_mixlo_f16 v8, v8, v22, 0 op_sel_hi:[0,1,0]
	s_delay_alu instid0(VALU_DEP_1) | instskip(SKIP_3) | instid1(VALU_DEP_1)
	v_add_f16_e32 v85, v85, v8
	ds_load_b128 v[8:11], v25 offset:1296
	s_waitcnt lgkmcnt(0)
	v_fma_mix_f32 v38, v38, v8, 0 op_sel_hi:[1,1,0]
	v_fma_mix_f32 v38, v39, v8, v38 op_sel:[0,1,0] op_sel_hi:[1,1,0]
	s_delay_alu instid0(VALU_DEP_1) | instskip(NEXT) | instid1(VALU_DEP_1)
	v_fma_mix_f32 v38, v40, v9, v38 op_sel_hi:[1,1,0]
	v_fma_mix_f32 v38, v41, v9, v38 op_sel:[0,1,0] op_sel_hi:[1,1,0]
	s_delay_alu instid0(VALU_DEP_1) | instskip(NEXT) | instid1(VALU_DEP_1)
	v_fma_mix_f32 v38, v42, v10, v38 op_sel_hi:[1,1,0]
	v_fma_mix_f32 v38, v44, v10, v38 op_sel:[0,1,0] op_sel_hi:[1,1,0]
	s_delay_alu instid0(VALU_DEP_1) | instskip(NEXT) | instid1(VALU_DEP_1)
	v_fma_mix_f32 v38, v46, v11, v38 op_sel_hi:[1,1,0]
	v_fma_mix_f32 v38, v48, v11, v38 op_sel:[0,1,0] op_sel_hi:[1,1,0]
	s_delay_alu instid0(VALU_DEP_1) | instskip(NEXT) | instid1(VALU_DEP_1)
	v_fma_mixlo_f16 v38, v38, v14, 0 op_sel_hi:[0,1,0]
	v_add_f16_e32 v38, v37, v38
	v_fma_mix_f32 v37, v43, v8, 0 op_sel_hi:[1,1,0]
	s_delay_alu instid0(VALU_DEP_1) | instskip(NEXT) | instid1(VALU_DEP_1)
	v_fma_mix_f32 v37, v45, v8, v37 op_sel:[0,1,0] op_sel_hi:[1,1,0]
	v_fma_mix_f32 v37, v47, v9, v37 op_sel_hi:[1,1,0]
	s_delay_alu instid0(VALU_DEP_1) | instskip(NEXT) | instid1(VALU_DEP_1)
	v_fma_mix_f32 v37, v49, v9, v37 op_sel:[0,1,0] op_sel_hi:[1,1,0]
	v_fma_mix_f32 v37, v50, v10, v37 op_sel_hi:[1,1,0]
	s_delay_alu instid0(VALU_DEP_1) | instskip(NEXT) | instid1(VALU_DEP_1)
	v_fma_mix_f32 v37, v52, v10, v37 op_sel:[0,1,0] op_sel_hi:[1,1,0]
	v_fma_mix_f32 v37, v54, v11, v37 op_sel_hi:[1,1,0]
	s_delay_alu instid0(VALU_DEP_1) | instskip(NEXT) | instid1(VALU_DEP_1)
	v_fma_mix_f32 v37, v56, v11, v37 op_sel:[0,1,0] op_sel_hi:[1,1,0]
	v_fma_mixlo_f16 v37, v37, v19, 0 op_sel_hi:[0,1,0]
	s_delay_alu instid0(VALU_DEP_1) | instskip(SKIP_1) | instid1(VALU_DEP_1)
	v_add_f16_e32 v39, v36, v37
	v_fma_mix_f32 v36, v51, v8, 0 op_sel_hi:[1,1,0]
	v_fma_mix_f32 v36, v53, v8, v36 op_sel:[0,1,0] op_sel_hi:[1,1,0]
	s_delay_alu instid0(VALU_DEP_1) | instskip(NEXT) | instid1(VALU_DEP_1)
	v_fma_mix_f32 v36, v55, v9, v36 op_sel_hi:[1,1,0]
	v_fma_mix_f32 v36, v61, v9, v36 op_sel:[0,1,0] op_sel_hi:[1,1,0]
	s_delay_alu instid0(VALU_DEP_1) | instskip(NEXT) | instid1(VALU_DEP_1)
	v_fma_mix_f32 v36, v62, v10, v36 op_sel_hi:[1,1,0]
	v_fma_mix_f32 v36, v64, v10, v36 op_sel:[0,1,0] op_sel_hi:[1,1,0]
	s_delay_alu instid0(VALU_DEP_1) | instskip(NEXT) | instid1(VALU_DEP_1)
	v_fma_mix_f32 v36, v72, v11, v36 op_sel_hi:[1,1,0]
	v_fma_mix_f32 v36, v73, v11, v36 op_sel:[0,1,0] op_sel_hi:[1,1,0]
	s_delay_alu instid0(VALU_DEP_1) | instskip(NEXT) | instid1(VALU_DEP_1)
	v_fma_mixlo_f16 v36, v36, v15, 0 op_sel_hi:[0,1,0]
	v_add_f16_e32 v50, v35, v36
	v_fma_mix_f32 v35, v63, v8, 0 op_sel_hi:[1,1,0]
	s_delay_alu instid0(VALU_DEP_1) | instskip(NEXT) | instid1(VALU_DEP_1)
	v_fma_mix_f32 v8, v65, v8, v35 op_sel:[0,1,0] op_sel_hi:[1,1,0]
	v_fma_mix_f32 v8, v66, v9, v8 op_sel_hi:[1,1,0]
	s_delay_alu instid0(VALU_DEP_1) | instskip(NEXT) | instid1(VALU_DEP_1)
	v_fma_mix_f32 v8, v67, v9, v8 op_sel:[0,1,0] op_sel_hi:[1,1,0]
	;; [unrolled: 3-line block ×4, first 2 shown]
	v_fma_mixlo_f16 v8, v8, v22, 0 op_sel_hi:[0,1,0]
	s_delay_alu instid0(VALU_DEP_1)
	v_add_f16_e32 v51, v34, v8
	v_add_co_u32 v8, vcc_lo, v16, s0
	v_add_co_ci_u32_e32 v9, vcc_lo, s1, v17, vcc_lo
	global_load_b128 v[34:37], v[8:9], off
	v_add_co_u32 v8, vcc_lo, v8, s0
	v_add_co_ci_u32_e32 v9, vcc_lo, s1, v9, vcc_lo
	global_load_b128 v[40:43], v[8:9], off
	s_waitcnt vmcnt(1)
	v_and_b32_e32 v10, 0xff, v34
	v_bfe_u32 v11, v34, 8, 8
	v_bfe_u32 v16, v34, 16, 8
	v_lshrrev_b32_e32 v17, 24, v34
	s_delay_alu instid0(VALU_DEP_4) | instskip(NEXT) | instid1(VALU_DEP_4)
	v_sub_nc_u32_e32 v10, v10, v29
	v_sub_nc_u32_e32 v11, v11, v29
	s_delay_alu instid0(VALU_DEP_4)
	v_sub_nc_u32_e32 v16, v16, v29
	s_waitcnt vmcnt(0)
	v_and_b32_e32 v34, 0xff, v40
	v_sub_nc_u32_e32 v17, v17, v29
	v_cvt_f32_i32_e32 v10, v10
	v_cvt_f32_i32_e32 v11, v11
	;; [unrolled: 1-line block ×3, first 2 shown]
	v_sub_nc_u32_e32 v34, v34, v29
	v_cvt_f32_i32_e32 v17, v17
	v_cvt_f16_f32_e32 v10, v10
	v_cvt_f16_f32_e32 v11, v11
	;; [unrolled: 1-line block ×3, first 2 shown]
	v_cvt_f32_i32_e32 v34, v34
	v_cvt_f16_f32_e32 v17, v17
	s_delay_alu instid0(VALU_DEP_2) | instskip(SKIP_1) | instid1(VALU_DEP_1)
	v_cvt_f16_f32_e32 v52, v34
	v_bfe_u32 v34, v40, 8, 8
	v_sub_nc_u32_e32 v34, v34, v29
	s_delay_alu instid0(VALU_DEP_1) | instskip(NEXT) | instid1(VALU_DEP_1)
	v_cvt_f32_i32_e32 v34, v34
	v_cvt_f16_f32_e32 v53, v34
	v_bfe_u32 v34, v40, 16, 8
	s_delay_alu instid0(VALU_DEP_1) | instskip(NEXT) | instid1(VALU_DEP_1)
	v_sub_nc_u32_e32 v34, v34, v29
	v_cvt_f32_i32_e32 v34, v34
	s_delay_alu instid0(VALU_DEP_1) | instskip(SKIP_1) | instid1(VALU_DEP_1)
	v_cvt_f16_f32_e32 v54, v34
	v_lshrrev_b32_e32 v34, 24, v40
	v_sub_nc_u32_e32 v34, v34, v29
	s_delay_alu instid0(VALU_DEP_1) | instskip(NEXT) | instid1(VALU_DEP_1)
	v_cvt_f32_i32_e32 v34, v34
	v_cvt_f16_f32_e32 v55, v34
	v_and_b32_e32 v34, 0xff, v35
	s_delay_alu instid0(VALU_DEP_1) | instskip(NEXT) | instid1(VALU_DEP_1)
	v_sub_nc_u32_e32 v34, v34, v28
	v_cvt_f32_i32_e32 v34, v34
	s_delay_alu instid0(VALU_DEP_1) | instskip(SKIP_1) | instid1(VALU_DEP_1)
	v_cvt_f16_f32_e32 v56, v34
	v_bfe_u32 v34, v35, 8, 8
	v_sub_nc_u32_e32 v34, v34, v28
	s_delay_alu instid0(VALU_DEP_1) | instskip(NEXT) | instid1(VALU_DEP_1)
	v_cvt_f32_i32_e32 v34, v34
	v_cvt_f16_f32_e32 v61, v34
	v_bfe_u32 v34, v35, 16, 8
	s_delay_alu instid0(VALU_DEP_1) | instskip(NEXT) | instid1(VALU_DEP_1)
	v_sub_nc_u32_e32 v34, v34, v28
	v_cvt_f32_i32_e32 v34, v34
	s_delay_alu instid0(VALU_DEP_1) | instskip(SKIP_1) | instid1(VALU_DEP_1)
	v_cvt_f16_f32_e32 v62, v34
	v_lshrrev_b32_e32 v34, 24, v35
	v_sub_nc_u32_e32 v34, v34, v28
	s_delay_alu instid0(VALU_DEP_1) | instskip(NEXT) | instid1(VALU_DEP_1)
	v_cvt_f32_i32_e32 v34, v34
	v_cvt_f16_f32_e32 v63, v34
	v_and_b32_e32 v34, 0xff, v41
	s_delay_alu instid0(VALU_DEP_1) | instskip(NEXT) | instid1(VALU_DEP_1)
	v_sub_nc_u32_e32 v34, v34, v28
	v_cvt_f32_i32_e32 v34, v34
	s_delay_alu instid0(VALU_DEP_1) | instskip(SKIP_1) | instid1(VALU_DEP_1)
	;; [unrolled: 22-line block ×6, first 2 shown]
	v_cvt_f16_f32_e32 v92, v34
	v_bfe_u32 v34, v43, 8, 8
	v_sub_nc_u32_e32 v34, v34, v26
	s_delay_alu instid0(VALU_DEP_1) | instskip(NEXT) | instid1(VALU_DEP_1)
	v_cvt_f32_i32_e32 v34, v34
	v_cvt_f16_f32_e32 v93, v34
	v_bfe_u32 v34, v43, 16, 8
	s_delay_alu instid0(VALU_DEP_1) | instskip(NEXT) | instid1(VALU_DEP_1)
	v_sub_nc_u32_e32 v34, v34, v26
	v_cvt_f32_i32_e32 v34, v34
	s_delay_alu instid0(VALU_DEP_1) | instskip(SKIP_1) | instid1(VALU_DEP_1)
	v_cvt_f16_f32_e32 v94, v34
	v_lshrrev_b32_e32 v34, 24, v43
	v_sub_nc_u32_e32 v34, v34, v26
	s_delay_alu instid0(VALU_DEP_1) | instskip(NEXT) | instid1(VALU_DEP_1)
	v_cvt_f32_i32_e32 v34, v34
	v_cvt_f16_f32_e32 v95, v34
	v_fma_mix_f32 v34, v10, v4, 0 op_sel_hi:[1,1,0]
	s_delay_alu instid0(VALU_DEP_1) | instskip(NEXT) | instid1(VALU_DEP_1)
	v_fma_mix_f32 v34, v11, v4, v34 op_sel:[0,1,0] op_sel_hi:[1,1,0]
	v_fma_mix_f32 v34, v16, v5, v34 op_sel_hi:[1,1,0]
	s_delay_alu instid0(VALU_DEP_1) | instskip(NEXT) | instid1(VALU_DEP_1)
	v_fma_mix_f32 v34, v17, v5, v34 op_sel:[0,1,0] op_sel_hi:[1,1,0]
	;; [unrolled: 3-line block ×4, first 2 shown]
	v_fma_mixlo_f16 v34, v34, v14, 0 op_sel_hi:[0,1,0]
	s_delay_alu instid0(VALU_DEP_1) | instskip(SKIP_1) | instid1(VALU_DEP_1)
	v_add_f16_e32 v33, v33, v34
	v_fma_mix_f32 v34, v56, v4, 0 op_sel_hi:[1,1,0]
	v_fma_mix_f32 v34, v61, v4, v34 op_sel:[0,1,0] op_sel_hi:[1,1,0]
	s_delay_alu instid0(VALU_DEP_1) | instskip(NEXT) | instid1(VALU_DEP_1)
	v_fma_mix_f32 v34, v62, v5, v34 op_sel_hi:[1,1,0]
	v_fma_mix_f32 v34, v63, v5, v34 op_sel:[0,1,0] op_sel_hi:[1,1,0]
	s_delay_alu instid0(VALU_DEP_1) | instskip(NEXT) | instid1(VALU_DEP_1)
	v_fma_mix_f32 v34, v64, v6, v34 op_sel_hi:[1,1,0]
	v_fma_mix_f32 v34, v65, v6, v34 op_sel:[0,1,0] op_sel_hi:[1,1,0]
	s_delay_alu instid0(VALU_DEP_1) | instskip(NEXT) | instid1(VALU_DEP_1)
	v_fma_mix_f32 v34, v66, v7, v34 op_sel_hi:[1,1,0]
	v_fma_mix_f32 v34, v67, v7, v34 op_sel:[0,1,0] op_sel_hi:[1,1,0]
	s_delay_alu instid0(VALU_DEP_1) | instskip(NEXT) | instid1(VALU_DEP_1)
	v_fma_mixlo_f16 v34, v34, v19, 0 op_sel_hi:[0,1,0]
	v_add_f16_e32 v32, v32, v34
	v_fma_mix_f32 v34, v68, v4, 0 op_sel_hi:[1,1,0]
	s_delay_alu instid0(VALU_DEP_1) | instskip(NEXT) | instid1(VALU_DEP_1)
	v_fma_mix_f32 v34, v69, v4, v34 op_sel:[0,1,0] op_sel_hi:[1,1,0]
	v_fma_mix_f32 v34, v70, v5, v34 op_sel_hi:[1,1,0]
	s_delay_alu instid0(VALU_DEP_1) | instskip(NEXT) | instid1(VALU_DEP_1)
	v_fma_mix_f32 v34, v71, v5, v34 op_sel:[0,1,0] op_sel_hi:[1,1,0]
	;; [unrolled: 3-line block ×4, first 2 shown]
	v_fma_mixlo_f16 v34, v34, v15, 0 op_sel_hi:[0,1,0]
	s_delay_alu instid0(VALU_DEP_1) | instskip(SKIP_1) | instid1(VALU_DEP_1)
	v_add_f16_e32 v31, v31, v34
	v_fma_mix_f32 v34, v88, v4, 0 op_sel_hi:[1,1,0]
	v_fma_mix_f32 v4, v89, v4, v34 op_sel:[0,1,0] op_sel_hi:[1,1,0]
	s_delay_alu instid0(VALU_DEP_1) | instskip(NEXT) | instid1(VALU_DEP_1)
	v_fma_mix_f32 v4, v90, v5, v4 op_sel_hi:[1,1,0]
	v_fma_mix_f32 v4, v91, v5, v4 op_sel:[0,1,0] op_sel_hi:[1,1,0]
	s_delay_alu instid0(VALU_DEP_1) | instskip(NEXT) | instid1(VALU_DEP_1)
	;; [unrolled: 3-line block ×4, first 2 shown]
	v_fma_mixlo_f16 v4, v4, v22, 0 op_sel_hi:[0,1,0]
	v_add_f16_e32 v30, v30, v4
	ds_load_b128 v[4:7], v25 offset:288
	s_waitcnt lgkmcnt(0)
	v_fma_mix_f32 v36, v68, v4, 0 op_sel_hi:[1,1,0]
	v_fma_mix_f32 v34, v10, v4, 0 op_sel_hi:[1,1,0]
	v_fma_mix_f32 v35, v56, v4, 0 op_sel_hi:[1,1,0]
	s_delay_alu instid0(VALU_DEP_3) | instskip(NEXT) | instid1(VALU_DEP_3)
	v_fma_mix_f32 v36, v69, v4, v36 op_sel:[0,1,0] op_sel_hi:[1,1,0]
	v_fma_mix_f32 v34, v11, v4, v34 op_sel:[0,1,0] op_sel_hi:[1,1,0]
	s_delay_alu instid0(VALU_DEP_3) | instskip(NEXT) | instid1(VALU_DEP_3)
	v_fma_mix_f32 v35, v61, v4, v35 op_sel:[0,1,0] op_sel_hi:[1,1,0]
	v_fma_mix_f32 v36, v70, v5, v36 op_sel_hi:[1,1,0]
	s_delay_alu instid0(VALU_DEP_3) | instskip(NEXT) | instid1(VALU_DEP_3)
	v_fma_mix_f32 v34, v16, v5, v34 op_sel_hi:[1,1,0]
	v_fma_mix_f32 v35, v62, v5, v35 op_sel_hi:[1,1,0]
	s_delay_alu instid0(VALU_DEP_3) | instskip(NEXT) | instid1(VALU_DEP_3)
	v_fma_mix_f32 v36, v71, v5, v36 op_sel:[0,1,0] op_sel_hi:[1,1,0]
	v_fma_mix_f32 v34, v17, v5, v34 op_sel:[0,1,0] op_sel_hi:[1,1,0]
	s_delay_alu instid0(VALU_DEP_3) | instskip(NEXT) | instid1(VALU_DEP_3)
	v_fma_mix_f32 v35, v63, v5, v35 op_sel:[0,1,0] op_sel_hi:[1,1,0]
	v_fma_mix_f32 v36, v72, v6, v36 op_sel_hi:[1,1,0]
	s_delay_alu instid0(VALU_DEP_3) | instskip(NEXT) | instid1(VALU_DEP_3)
	v_fma_mix_f32 v34, v52, v6, v34 op_sel_hi:[1,1,0]
	v_fma_mix_f32 v35, v64, v6, v35 op_sel_hi:[1,1,0]
	s_delay_alu instid0(VALU_DEP_3) | instskip(NEXT) | instid1(VALU_DEP_3)
	v_fma_mix_f32 v36, v73, v6, v36 op_sel:[0,1,0] op_sel_hi:[1,1,0]
	v_fma_mix_f32 v34, v53, v6, v34 op_sel:[0,1,0] op_sel_hi:[1,1,0]
	s_delay_alu instid0(VALU_DEP_3) | instskip(NEXT) | instid1(VALU_DEP_3)
	v_fma_mix_f32 v35, v65, v6, v35 op_sel:[0,1,0] op_sel_hi:[1,1,0]
	v_fma_mix_f32 v36, v86, v7, v36 op_sel_hi:[1,1,0]
	s_delay_alu instid0(VALU_DEP_3) | instskip(NEXT) | instid1(VALU_DEP_3)
	v_fma_mix_f32 v34, v54, v7, v34 op_sel_hi:[1,1,0]
	v_fma_mix_f32 v35, v66, v7, v35 op_sel_hi:[1,1,0]
	s_delay_alu instid0(VALU_DEP_3) | instskip(NEXT) | instid1(VALU_DEP_3)
	v_fma_mix_f32 v36, v87, v7, v36 op_sel:[0,1,0] op_sel_hi:[1,1,0]
	v_fma_mix_f32 v34, v55, v7, v34 op_sel:[0,1,0] op_sel_hi:[1,1,0]
	s_delay_alu instid0(VALU_DEP_3) | instskip(NEXT) | instid1(VALU_DEP_3)
	v_fma_mix_f32 v35, v67, v7, v35 op_sel:[0,1,0] op_sel_hi:[1,1,0]
	v_fma_mixlo_f16 v36, v36, v15, 0 op_sel_hi:[0,1,0]
	s_delay_alu instid0(VALU_DEP_3) | instskip(NEXT) | instid1(VALU_DEP_3)
	v_fma_mixlo_f16 v34, v34, v14, 0 op_sel_hi:[0,1,0]
	v_fma_mixlo_f16 v35, v35, v19, 0 op_sel_hi:[0,1,0]
	s_delay_alu instid0(VALU_DEP_3) | instskip(SKIP_1) | instid1(VALU_DEP_4)
	v_add_f16_e32 v42, v59, v36
	v_fma_mix_f32 v36, v88, v4, 0 op_sel_hi:[1,1,0]
	v_add_f16_e32 v34, v57, v34
	s_delay_alu instid0(VALU_DEP_4) | instskip(NEXT) | instid1(VALU_DEP_3)
	v_add_f16_e32 v35, v58, v35
	v_fma_mix_f32 v4, v89, v4, v36 op_sel:[0,1,0] op_sel_hi:[1,1,0]
	s_delay_alu instid0(VALU_DEP_1) | instskip(NEXT) | instid1(VALU_DEP_1)
	v_fma_mix_f32 v4, v90, v5, v4 op_sel_hi:[1,1,0]
	v_fma_mix_f32 v4, v91, v5, v4 op_sel:[0,1,0] op_sel_hi:[1,1,0]
	s_delay_alu instid0(VALU_DEP_1) | instskip(NEXT) | instid1(VALU_DEP_1)
	v_fma_mix_f32 v4, v92, v6, v4 op_sel_hi:[1,1,0]
	v_fma_mix_f32 v4, v93, v6, v4 op_sel:[0,1,0] op_sel_hi:[1,1,0]
	s_delay_alu instid0(VALU_DEP_1) | instskip(NEXT) | instid1(VALU_DEP_1)
	v_fma_mix_f32 v4, v94, v7, v4 op_sel_hi:[1,1,0]
	v_fma_mix_f32 v4, v95, v7, v4 op_sel:[0,1,0] op_sel_hi:[1,1,0]
	s_delay_alu instid0(VALU_DEP_1) | instskip(NEXT) | instid1(VALU_DEP_1)
	v_fma_mixlo_f16 v4, v4, v22, 0 op_sel_hi:[0,1,0]
	v_add_f16_e32 v43, v60, v4
	ds_load_b128 v[4:7], v25 offset:544
	s_waitcnt lgkmcnt(0)
	v_fma_mix_f32 v40, v68, v4, 0 op_sel_hi:[1,1,0]
	v_fma_mix_f32 v36, v10, v4, 0 op_sel_hi:[1,1,0]
	v_fma_mix_f32 v37, v56, v4, 0 op_sel_hi:[1,1,0]
	s_delay_alu instid0(VALU_DEP_3) | instskip(NEXT) | instid1(VALU_DEP_3)
	v_fma_mix_f32 v40, v69, v4, v40 op_sel:[0,1,0] op_sel_hi:[1,1,0]
	v_fma_mix_f32 v36, v11, v4, v36 op_sel:[0,1,0] op_sel_hi:[1,1,0]
	s_delay_alu instid0(VALU_DEP_3) | instskip(NEXT) | instid1(VALU_DEP_3)
	v_fma_mix_f32 v37, v61, v4, v37 op_sel:[0,1,0] op_sel_hi:[1,1,0]
	v_fma_mix_f32 v40, v70, v5, v40 op_sel_hi:[1,1,0]
	s_delay_alu instid0(VALU_DEP_3) | instskip(NEXT) | instid1(VALU_DEP_3)
	v_fma_mix_f32 v36, v16, v5, v36 op_sel_hi:[1,1,0]
	v_fma_mix_f32 v37, v62, v5, v37 op_sel_hi:[1,1,0]
	s_delay_alu instid0(VALU_DEP_3) | instskip(NEXT) | instid1(VALU_DEP_3)
	v_fma_mix_f32 v40, v71, v5, v40 op_sel:[0,1,0] op_sel_hi:[1,1,0]
	v_fma_mix_f32 v36, v17, v5, v36 op_sel:[0,1,0] op_sel_hi:[1,1,0]
	s_delay_alu instid0(VALU_DEP_3) | instskip(NEXT) | instid1(VALU_DEP_3)
	v_fma_mix_f32 v37, v63, v5, v37 op_sel:[0,1,0] op_sel_hi:[1,1,0]
	v_fma_mix_f32 v40, v72, v6, v40 op_sel_hi:[1,1,0]
	s_delay_alu instid0(VALU_DEP_3) | instskip(NEXT) | instid1(VALU_DEP_3)
	v_fma_mix_f32 v36, v52, v6, v36 op_sel_hi:[1,1,0]
	v_fma_mix_f32 v37, v64, v6, v37 op_sel_hi:[1,1,0]
	s_delay_alu instid0(VALU_DEP_3) | instskip(NEXT) | instid1(VALU_DEP_3)
	v_fma_mix_f32 v40, v73, v6, v40 op_sel:[0,1,0] op_sel_hi:[1,1,0]
	v_fma_mix_f32 v36, v53, v6, v36 op_sel:[0,1,0] op_sel_hi:[1,1,0]
	s_delay_alu instid0(VALU_DEP_3) | instskip(NEXT) | instid1(VALU_DEP_3)
	v_fma_mix_f32 v37, v65, v6, v37 op_sel:[0,1,0] op_sel_hi:[1,1,0]
	v_fma_mix_f32 v40, v86, v7, v40 op_sel_hi:[1,1,0]
	s_delay_alu instid0(VALU_DEP_3) | instskip(NEXT) | instid1(VALU_DEP_3)
	v_fma_mix_f32 v36, v54, v7, v36 op_sel_hi:[1,1,0]
	v_fma_mix_f32 v37, v66, v7, v37 op_sel_hi:[1,1,0]
	s_delay_alu instid0(VALU_DEP_3) | instskip(NEXT) | instid1(VALU_DEP_3)
	v_fma_mix_f32 v40, v87, v7, v40 op_sel:[0,1,0] op_sel_hi:[1,1,0]
	v_fma_mix_f32 v36, v55, v7, v36 op_sel:[0,1,0] op_sel_hi:[1,1,0]
	s_delay_alu instid0(VALU_DEP_3) | instskip(NEXT) | instid1(VALU_DEP_3)
	v_fma_mix_f32 v37, v67, v7, v37 op_sel:[0,1,0] op_sel_hi:[1,1,0]
	v_fma_mixlo_f16 v40, v40, v15, 0 op_sel_hi:[0,1,0]
	s_delay_alu instid0(VALU_DEP_3) | instskip(NEXT) | instid1(VALU_DEP_3)
	v_fma_mixlo_f16 v36, v36, v14, 0 op_sel_hi:[0,1,0]
	v_fma_mixlo_f16 v37, v37, v19, 0 op_sel_hi:[0,1,0]
	s_delay_alu instid0(VALU_DEP_3) | instskip(SKIP_1) | instid1(VALU_DEP_4)
	v_add_f16_e32 v46, v76, v40
	v_fma_mix_f32 v40, v88, v4, 0 op_sel_hi:[1,1,0]
	v_add_f16_e32 v36, v74, v36
	s_delay_alu instid0(VALU_DEP_4) | instskip(NEXT) | instid1(VALU_DEP_3)
	v_add_f16_e32 v37, v75, v37
	v_fma_mix_f32 v4, v89, v4, v40 op_sel:[0,1,0] op_sel_hi:[1,1,0]
	s_delay_alu instid0(VALU_DEP_1) | instskip(NEXT) | instid1(VALU_DEP_1)
	v_fma_mix_f32 v4, v90, v5, v4 op_sel_hi:[1,1,0]
	v_fma_mix_f32 v4, v91, v5, v4 op_sel:[0,1,0] op_sel_hi:[1,1,0]
	s_delay_alu instid0(VALU_DEP_1) | instskip(NEXT) | instid1(VALU_DEP_1)
	v_fma_mix_f32 v4, v92, v6, v4 op_sel_hi:[1,1,0]
	v_fma_mix_f32 v4, v93, v6, v4 op_sel:[0,1,0] op_sel_hi:[1,1,0]
	s_delay_alu instid0(VALU_DEP_1) | instskip(NEXT) | instid1(VALU_DEP_1)
	v_fma_mix_f32 v4, v94, v7, v4 op_sel_hi:[1,1,0]
	v_fma_mix_f32 v4, v95, v7, v4 op_sel:[0,1,0] op_sel_hi:[1,1,0]
	s_delay_alu instid0(VALU_DEP_1) | instskip(NEXT) | instid1(VALU_DEP_1)
	;; [unrolled: 60-line block ×3, first 2 shown]
	v_fma_mixlo_f16 v4, v4, v22, 0 op_sel_hi:[0,1,0]
	v_add_f16_e32 v49, v81, v4
	ds_load_b128 v[4:7], v25 offset:1056
	s_waitcnt lgkmcnt(0)
	v_fma_mix_f32 v57, v68, v4, 0 op_sel_hi:[1,1,0]
	v_fma_mix_f32 v44, v10, v4, 0 op_sel_hi:[1,1,0]
	;; [unrolled: 1-line block ×3, first 2 shown]
	s_delay_alu instid0(VALU_DEP_3) | instskip(NEXT) | instid1(VALU_DEP_3)
	v_fma_mix_f32 v57, v69, v4, v57 op_sel:[0,1,0] op_sel_hi:[1,1,0]
	v_fma_mix_f32 v44, v11, v4, v44 op_sel:[0,1,0] op_sel_hi:[1,1,0]
	s_delay_alu instid0(VALU_DEP_3) | instskip(NEXT) | instid1(VALU_DEP_3)
	v_fma_mix_f32 v45, v61, v4, v45 op_sel:[0,1,0] op_sel_hi:[1,1,0]
	v_fma_mix_f32 v57, v70, v5, v57 op_sel_hi:[1,1,0]
	s_delay_alu instid0(VALU_DEP_3) | instskip(NEXT) | instid1(VALU_DEP_3)
	v_fma_mix_f32 v44, v16, v5, v44 op_sel_hi:[1,1,0]
	v_fma_mix_f32 v45, v62, v5, v45 op_sel_hi:[1,1,0]
	s_delay_alu instid0(VALU_DEP_3) | instskip(NEXT) | instid1(VALU_DEP_3)
	v_fma_mix_f32 v57, v71, v5, v57 op_sel:[0,1,0] op_sel_hi:[1,1,0]
	v_fma_mix_f32 v44, v17, v5, v44 op_sel:[0,1,0] op_sel_hi:[1,1,0]
	s_delay_alu instid0(VALU_DEP_3) | instskip(NEXT) | instid1(VALU_DEP_3)
	v_fma_mix_f32 v45, v63, v5, v45 op_sel:[0,1,0] op_sel_hi:[1,1,0]
	v_fma_mix_f32 v57, v72, v6, v57 op_sel_hi:[1,1,0]
	s_delay_alu instid0(VALU_DEP_3) | instskip(NEXT) | instid1(VALU_DEP_3)
	v_fma_mix_f32 v44, v52, v6, v44 op_sel_hi:[1,1,0]
	v_fma_mix_f32 v45, v64, v6, v45 op_sel_hi:[1,1,0]
	s_delay_alu instid0(VALU_DEP_3) | instskip(NEXT) | instid1(VALU_DEP_3)
	v_fma_mix_f32 v57, v73, v6, v57 op_sel:[0,1,0] op_sel_hi:[1,1,0]
	v_fma_mix_f32 v44, v53, v6, v44 op_sel:[0,1,0] op_sel_hi:[1,1,0]
	s_delay_alu instid0(VALU_DEP_3) | instskip(NEXT) | instid1(VALU_DEP_3)
	v_fma_mix_f32 v45, v65, v6, v45 op_sel:[0,1,0] op_sel_hi:[1,1,0]
	v_fma_mix_f32 v57, v86, v7, v57 op_sel_hi:[1,1,0]
	s_delay_alu instid0(VALU_DEP_3) | instskip(NEXT) | instid1(VALU_DEP_3)
	v_fma_mix_f32 v44, v54, v7, v44 op_sel_hi:[1,1,0]
	v_fma_mix_f32 v45, v66, v7, v45 op_sel_hi:[1,1,0]
	s_delay_alu instid0(VALU_DEP_3) | instskip(NEXT) | instid1(VALU_DEP_3)
	v_fma_mix_f32 v57, v87, v7, v57 op_sel:[0,1,0] op_sel_hi:[1,1,0]
	v_fma_mix_f32 v44, v55, v7, v44 op_sel:[0,1,0] op_sel_hi:[1,1,0]
	s_delay_alu instid0(VALU_DEP_3) | instskip(NEXT) | instid1(VALU_DEP_3)
	v_fma_mix_f32 v45, v67, v7, v45 op_sel:[0,1,0] op_sel_hi:[1,1,0]
	v_fma_mixlo_f16 v57, v57, v15, 0 op_sel_hi:[0,1,0]
	s_delay_alu instid0(VALU_DEP_3) | instskip(NEXT) | instid1(VALU_DEP_3)
	v_fma_mixlo_f16 v44, v44, v14, 0 op_sel_hi:[0,1,0]
	v_fma_mixlo_f16 v45, v45, v19, 0 op_sel_hi:[0,1,0]
	s_delay_alu instid0(VALU_DEP_3) | instskip(SKIP_1) | instid1(VALU_DEP_4)
	v_add_f16_e32 v74, v84, v57
	v_fma_mix_f32 v57, v88, v4, 0 op_sel_hi:[1,1,0]
	v_add_f16_e32 v44, v82, v44
	s_delay_alu instid0(VALU_DEP_4) | instskip(NEXT) | instid1(VALU_DEP_3)
	v_add_f16_e32 v45, v83, v45
	v_fma_mix_f32 v4, v89, v4, v57 op_sel:[0,1,0] op_sel_hi:[1,1,0]
	ds_load_b128 v[57:60], v25 offset:1312
	v_fma_mix_f32 v4, v90, v5, v4 op_sel_hi:[1,1,0]
	s_delay_alu instid0(VALU_DEP_1) | instskip(NEXT) | instid1(VALU_DEP_1)
	v_fma_mix_f32 v4, v91, v5, v4 op_sel:[0,1,0] op_sel_hi:[1,1,0]
	v_fma_mix_f32 v4, v92, v6, v4 op_sel_hi:[1,1,0]
	s_delay_alu instid0(VALU_DEP_1) | instskip(NEXT) | instid1(VALU_DEP_1)
	v_fma_mix_f32 v4, v93, v6, v4 op_sel:[0,1,0] op_sel_hi:[1,1,0]
	;; [unrolled: 3-line block ×3, first 2 shown]
	v_fma_mixlo_f16 v4, v4, v22, 0 op_sel_hi:[0,1,0]
	s_delay_alu instid0(VALU_DEP_1) | instskip(SKIP_2) | instid1(VALU_DEP_1)
	v_add_f16_e32 v75, v85, v4
	s_waitcnt lgkmcnt(0)
	v_fma_mix_f32 v4, v10, v57, 0 op_sel_hi:[1,1,0]
	v_fma_mix_f32 v4, v11, v57, v4 op_sel:[0,1,0] op_sel_hi:[1,1,0]
	s_delay_alu instid0(VALU_DEP_1) | instskip(NEXT) | instid1(VALU_DEP_1)
	v_fma_mix_f32 v4, v16, v58, v4 op_sel_hi:[1,1,0]
	v_fma_mix_f32 v4, v17, v58, v4 op_sel:[0,1,0] op_sel_hi:[1,1,0]
	s_delay_alu instid0(VALU_DEP_1) | instskip(NEXT) | instid1(VALU_DEP_1)
	;; [unrolled: 3-line block ×4, first 2 shown]
	v_fma_mixlo_f16 v4, v4, v14, 0 op_sel_hi:[0,1,0]
	v_add_f16_e32 v11, v38, v4
	v_fma_mix_f32 v4, v56, v57, 0 op_sel_hi:[1,1,0]
	s_delay_alu instid0(VALU_DEP_1) | instskip(NEXT) | instid1(VALU_DEP_1)
	v_fma_mix_f32 v4, v61, v57, v4 op_sel:[0,1,0] op_sel_hi:[1,1,0]
	v_fma_mix_f32 v4, v62, v58, v4 op_sel_hi:[1,1,0]
	s_delay_alu instid0(VALU_DEP_1) | instskip(NEXT) | instid1(VALU_DEP_1)
	v_fma_mix_f32 v4, v63, v58, v4 op_sel:[0,1,0] op_sel_hi:[1,1,0]
	;; [unrolled: 3-line block ×4, first 2 shown]
	v_fma_mixlo_f16 v4, v4, v19, 0 op_sel_hi:[0,1,0]
	s_delay_alu instid0(VALU_DEP_1) | instskip(SKIP_1) | instid1(VALU_DEP_1)
	v_add_f16_e32 v10, v39, v4
	v_fma_mix_f32 v4, v68, v57, 0 op_sel_hi:[1,1,0]
	v_fma_mix_f32 v4, v69, v57, v4 op_sel:[0,1,0] op_sel_hi:[1,1,0]
	s_delay_alu instid0(VALU_DEP_1) | instskip(NEXT) | instid1(VALU_DEP_1)
	v_fma_mix_f32 v4, v70, v58, v4 op_sel_hi:[1,1,0]
	v_fma_mix_f32 v4, v71, v58, v4 op_sel:[0,1,0] op_sel_hi:[1,1,0]
	s_delay_alu instid0(VALU_DEP_1) | instskip(NEXT) | instid1(VALU_DEP_1)
	;; [unrolled: 3-line block ×4, first 2 shown]
	v_fma_mixlo_f16 v4, v4, v15, 0 op_sel_hi:[0,1,0]
	v_add_f16_e32 v7, v50, v4
	v_fma_mix_f32 v4, v88, v57, 0 op_sel_hi:[1,1,0]
	s_delay_alu instid0(VALU_DEP_1) | instskip(NEXT) | instid1(VALU_DEP_1)
	v_fma_mix_f32 v4, v89, v57, v4 op_sel:[0,1,0] op_sel_hi:[1,1,0]
	v_fma_mix_f32 v4, v90, v58, v4 op_sel_hi:[1,1,0]
	s_delay_alu instid0(VALU_DEP_1) | instskip(NEXT) | instid1(VALU_DEP_1)
	v_fma_mix_f32 v4, v91, v58, v4 op_sel:[0,1,0] op_sel_hi:[1,1,0]
	;; [unrolled: 3-line block ×4, first 2 shown]
	v_fma_mixlo_f16 v4, v4, v22, 0 op_sel_hi:[0,1,0]
	s_delay_alu instid0(VALU_DEP_1)
	v_add_f16_e32 v6, v51, v4
	v_add_co_u32 v4, vcc_lo, v8, s0
	v_add_co_ci_u32_e32 v5, vcc_lo, s1, v9, vcc_lo
	global_load_b128 v[62:65], v[4:5], off
	v_add_co_u32 v4, vcc_lo, v4, s0
	v_add_co_ci_u32_e32 v5, vcc_lo, s1, v5, vcc_lo
	global_load_b128 v[76:79], v[4:5], off
	s_waitcnt vmcnt(1)
	v_and_b32_e32 v8, 0xff, v62
	v_bfe_u32 v9, v62, 8, 8
	v_bfe_u32 v16, v62, 16, 8
	v_lshrrev_b32_e32 v17, 24, v62
	s_delay_alu instid0(VALU_DEP_4) | instskip(NEXT) | instid1(VALU_DEP_4)
	v_sub_nc_u32_e32 v8, v8, v29
	v_sub_nc_u32_e32 v9, v9, v29
	s_delay_alu instid0(VALU_DEP_4)
	v_sub_nc_u32_e32 v16, v16, v29
	s_waitcnt vmcnt(0)
	v_and_b32_e32 v38, 0xff, v76
	v_sub_nc_u32_e32 v17, v17, v29
	v_cvt_f32_i32_e32 v8, v8
	v_cvt_f32_i32_e32 v9, v9
	;; [unrolled: 1-line block ×3, first 2 shown]
	v_sub_nc_u32_e32 v38, v38, v29
	v_cvt_f32_i32_e32 v17, v17
	v_cvt_f16_f32_e32 v8, v8
	v_cvt_f16_f32_e32 v9, v9
	;; [unrolled: 1-line block ×3, first 2 shown]
	v_cvt_f32_i32_e32 v38, v38
	v_cvt_f16_f32_e32 v17, v17
	s_delay_alu instid0(VALU_DEP_2) | instskip(SKIP_1) | instid1(VALU_DEP_1)
	v_cvt_f16_f32_e32 v50, v38
	v_bfe_u32 v38, v76, 8, 8
	v_sub_nc_u32_e32 v38, v38, v29
	s_delay_alu instid0(VALU_DEP_1) | instskip(NEXT) | instid1(VALU_DEP_1)
	v_cvt_f32_i32_e32 v38, v38
	v_cvt_f16_f32_e32 v51, v38
	v_bfe_u32 v38, v76, 16, 8
	s_delay_alu instid0(VALU_DEP_1) | instskip(NEXT) | instid1(VALU_DEP_1)
	v_sub_nc_u32_e32 v38, v38, v29
	v_cvt_f32_i32_e32 v38, v38
	s_delay_alu instid0(VALU_DEP_1) | instskip(SKIP_1) | instid1(VALU_DEP_1)
	v_cvt_f16_f32_e32 v53, v38
	v_lshrrev_b32_e32 v38, 24, v76
	v_sub_nc_u32_e32 v29, v38, v29
	v_bfe_u32 v38, v63, 8, 8
	s_delay_alu instid0(VALU_DEP_2) | instskip(NEXT) | instid1(VALU_DEP_2)
	v_cvt_f32_i32_e32 v29, v29
	v_sub_nc_u32_e32 v38, v38, v28
	s_delay_alu instid0(VALU_DEP_2) | instskip(NEXT) | instid1(VALU_DEP_2)
	v_cvt_f16_f32_e32 v55, v29
	v_cvt_f32_i32_e32 v38, v38
	v_and_b32_e32 v29, 0xff, v63
	s_delay_alu instid0(VALU_DEP_2) | instskip(SKIP_1) | instid1(VALU_DEP_3)
	v_cvt_f16_f32_e32 v52, v38
	v_bfe_u32 v38, v63, 16, 8
	v_sub_nc_u32_e32 v29, v29, v28
	s_delay_alu instid0(VALU_DEP_2) | instskip(NEXT) | instid1(VALU_DEP_2)
	v_sub_nc_u32_e32 v38, v38, v28
	v_cvt_f32_i32_e32 v29, v29
	s_delay_alu instid0(VALU_DEP_2) | instskip(NEXT) | instid1(VALU_DEP_2)
	v_cvt_f32_i32_e32 v38, v38
	v_cvt_f16_f32_e32 v29, v29
	s_delay_alu instid0(VALU_DEP_2) | instskip(SKIP_1) | instid1(VALU_DEP_1)
	v_cvt_f16_f32_e32 v54, v38
	v_lshrrev_b32_e32 v38, 24, v63
	v_sub_nc_u32_e32 v38, v38, v28
	s_delay_alu instid0(VALU_DEP_1) | instskip(NEXT) | instid1(VALU_DEP_1)
	v_cvt_f32_i32_e32 v38, v38
	v_cvt_f16_f32_e32 v56, v38
	v_and_b32_e32 v38, 0xff, v77
	s_delay_alu instid0(VALU_DEP_1) | instskip(NEXT) | instid1(VALU_DEP_1)
	v_sub_nc_u32_e32 v38, v38, v28
	v_cvt_f32_i32_e32 v38, v38
	s_delay_alu instid0(VALU_DEP_1) | instskip(SKIP_1) | instid1(VALU_DEP_1)
	v_cvt_f16_f32_e32 v57, v38
	v_bfe_u32 v38, v77, 8, 8
	v_sub_nc_u32_e32 v38, v38, v28
	s_delay_alu instid0(VALU_DEP_1) | instskip(NEXT) | instid1(VALU_DEP_1)
	v_cvt_f32_i32_e32 v38, v38
	v_cvt_f16_f32_e32 v58, v38
	v_bfe_u32 v38, v77, 16, 8
	s_delay_alu instid0(VALU_DEP_1) | instskip(NEXT) | instid1(VALU_DEP_1)
	v_sub_nc_u32_e32 v38, v38, v28
	v_cvt_f32_i32_e32 v38, v38
	s_delay_alu instid0(VALU_DEP_1) | instskip(SKIP_1) | instid1(VALU_DEP_1)
	v_cvt_f16_f32_e32 v60, v38
	v_lshrrev_b32_e32 v38, 24, v77
	v_sub_nc_u32_e32 v28, v38, v28
	v_bfe_u32 v38, v64, 8, 8
	s_delay_alu instid0(VALU_DEP_2) | instskip(NEXT) | instid1(VALU_DEP_2)
	v_cvt_f32_i32_e32 v28, v28
	v_sub_nc_u32_e32 v38, v38, v27
	s_delay_alu instid0(VALU_DEP_2) | instskip(NEXT) | instid1(VALU_DEP_2)
	v_cvt_f16_f32_e32 v62, v28
	v_cvt_f32_i32_e32 v38, v38
	v_and_b32_e32 v28, 0xff, v64
	s_delay_alu instid0(VALU_DEP_2) | instskip(SKIP_1) | instid1(VALU_DEP_3)
	v_cvt_f16_f32_e32 v59, v38
	v_bfe_u32 v38, v64, 16, 8
	v_sub_nc_u32_e32 v28, v28, v27
	s_delay_alu instid0(VALU_DEP_2) | instskip(NEXT) | instid1(VALU_DEP_2)
	v_sub_nc_u32_e32 v38, v38, v27
	v_cvt_f32_i32_e32 v28, v28
	s_delay_alu instid0(VALU_DEP_2) | instskip(NEXT) | instid1(VALU_DEP_2)
	v_cvt_f32_i32_e32 v38, v38
	v_cvt_f16_f32_e32 v28, v28
	s_delay_alu instid0(VALU_DEP_2) | instskip(SKIP_1) | instid1(VALU_DEP_1)
	v_cvt_f16_f32_e32 v61, v38
	v_lshrrev_b32_e32 v38, 24, v64
	v_sub_nc_u32_e32 v38, v38, v27
	s_delay_alu instid0(VALU_DEP_1) | instskip(NEXT) | instid1(VALU_DEP_1)
	v_cvt_f32_i32_e32 v38, v38
	v_cvt_f16_f32_e32 v64, v38
	v_and_b32_e32 v38, 0xff, v78
	s_delay_alu instid0(VALU_DEP_1) | instskip(NEXT) | instid1(VALU_DEP_1)
	v_sub_nc_u32_e32 v38, v38, v27
	v_cvt_f32_i32_e32 v38, v38
	s_delay_alu instid0(VALU_DEP_1) | instskip(SKIP_1) | instid1(VALU_DEP_1)
	v_cvt_f16_f32_e32 v68, v38
	v_bfe_u32 v38, v78, 8, 8
	v_sub_nc_u32_e32 v38, v38, v27
	s_delay_alu instid0(VALU_DEP_1) | instskip(NEXT) | instid1(VALU_DEP_1)
	v_cvt_f32_i32_e32 v38, v38
	v_cvt_f16_f32_e32 v71, v38
	v_bfe_u32 v38, v78, 16, 8
	s_delay_alu instid0(VALU_DEP_1) | instskip(NEXT) | instid1(VALU_DEP_1)
	v_sub_nc_u32_e32 v38, v38, v27
	v_cvt_f32_i32_e32 v38, v38
	s_delay_alu instid0(VALU_DEP_1) | instskip(SKIP_1) | instid1(VALU_DEP_1)
	v_cvt_f16_f32_e32 v72, v38
	v_lshrrev_b32_e32 v38, 24, v78
	v_sub_nc_u32_e32 v27, v38, v27
	v_lshrrev_b32_e32 v38, 24, v79
	s_delay_alu instid0(VALU_DEP_2) | instskip(NEXT) | instid1(VALU_DEP_1)
	v_cvt_f32_i32_e32 v27, v27
	v_cvt_f16_f32_e32 v73, v27
	v_and_b32_e32 v27, 0xff, v65
	s_delay_alu instid0(VALU_DEP_1) | instskip(NEXT) | instid1(VALU_DEP_1)
	v_sub_nc_u32_e32 v27, v27, v26
	v_cvt_f32_i32_e32 v27, v27
	s_delay_alu instid0(VALU_DEP_1) | instskip(SKIP_1) | instid1(VALU_DEP_1)
	v_cvt_f16_f32_e32 v70, v27
	v_bfe_u32 v27, v65, 8, 8
	v_sub_nc_u32_e32 v27, v27, v26
	s_delay_alu instid0(VALU_DEP_1) | instskip(NEXT) | instid1(VALU_DEP_1)
	v_cvt_f32_i32_e32 v27, v27
	v_cvt_f16_f32_e32 v69, v27
	v_bfe_u32 v27, v65, 16, 8
	s_delay_alu instid0(VALU_DEP_1) | instskip(NEXT) | instid1(VALU_DEP_1)
	v_sub_nc_u32_e32 v27, v27, v26
	v_cvt_f32_i32_e32 v27, v27
	s_delay_alu instid0(VALU_DEP_1) | instskip(SKIP_1) | instid1(VALU_DEP_1)
	v_cvt_f16_f32_e32 v67, v27
	v_lshrrev_b32_e32 v27, 24, v65
	v_sub_nc_u32_e32 v27, v27, v26
	s_delay_alu instid0(VALU_DEP_1) | instskip(NEXT) | instid1(VALU_DEP_1)
	v_cvt_f32_i32_e32 v27, v27
	v_cvt_f16_f32_e32 v66, v27
	v_and_b32_e32 v27, 0xff, v79
	s_delay_alu instid0(VALU_DEP_1) | instskip(NEXT) | instid1(VALU_DEP_1)
	v_sub_nc_u32_e32 v27, v27, v26
	v_cvt_f32_i32_e32 v27, v27
	s_delay_alu instid0(VALU_DEP_1) | instskip(SKIP_1) | instid1(VALU_DEP_1)
	v_cvt_f16_f32_e32 v65, v27
	v_bfe_u32 v27, v79, 8, 8
	v_sub_nc_u32_e32 v27, v27, v26
	s_delay_alu instid0(VALU_DEP_1) | instskip(NEXT) | instid1(VALU_DEP_1)
	v_cvt_f32_i32_e32 v27, v27
	v_cvt_f16_f32_e32 v63, v27
	v_bfe_u32 v27, v79, 16, 8
	s_delay_alu instid0(VALU_DEP_1) | instskip(SKIP_2) | instid1(VALU_DEP_3)
	v_sub_nc_u32_e32 v27, v27, v26
	v_sub_nc_u32_e32 v26, v38, v26
	v_fma_mix_f32 v38, v8, v0, 0 op_sel_hi:[1,1,0]
	v_cvt_f32_i32_e32 v27, v27
	s_delay_alu instid0(VALU_DEP_3) | instskip(NEXT) | instid1(VALU_DEP_3)
	v_cvt_f32_i32_e32 v26, v26
	v_fma_mix_f32 v38, v9, v0, v38 op_sel:[0,1,0] op_sel_hi:[1,1,0]
	s_delay_alu instid0(VALU_DEP_3) | instskip(NEXT) | instid1(VALU_DEP_3)
	v_cvt_f16_f32_e32 v27, v27
	v_cvt_f16_f32_e32 v26, v26
	s_delay_alu instid0(VALU_DEP_3) | instskip(NEXT) | instid1(VALU_DEP_1)
	v_fma_mix_f32 v38, v16, v1, v38 op_sel_hi:[1,1,0]
	v_fma_mix_f32 v38, v17, v1, v38 op_sel:[0,1,0] op_sel_hi:[1,1,0]
	s_delay_alu instid0(VALU_DEP_1) | instskip(NEXT) | instid1(VALU_DEP_1)
	v_fma_mix_f32 v38, v50, v2, v38 op_sel_hi:[1,1,0]
	v_fma_mix_f32 v38, v51, v2, v38 op_sel:[0,1,0] op_sel_hi:[1,1,0]
	s_delay_alu instid0(VALU_DEP_1) | instskip(NEXT) | instid1(VALU_DEP_1)
	v_fma_mix_f32 v38, v53, v3, v38 op_sel_hi:[1,1,0]
	v_fma_mix_f32 v38, v55, v3, v38 op_sel:[0,1,0] op_sel_hi:[1,1,0]
	s_delay_alu instid0(VALU_DEP_1) | instskip(NEXT) | instid1(VALU_DEP_1)
	v_fma_mixlo_f16 v38, v38, v14, 0 op_sel_hi:[0,1,0]
	v_add_f16_e32 v33, v33, v38
	v_fma_mix_f32 v38, v29, v0, 0 op_sel_hi:[1,1,0]
	s_delay_alu instid0(VALU_DEP_1) | instskip(NEXT) | instid1(VALU_DEP_1)
	v_fma_mix_f32 v38, v52, v0, v38 op_sel:[0,1,0] op_sel_hi:[1,1,0]
	v_fma_mix_f32 v38, v54, v1, v38 op_sel_hi:[1,1,0]
	s_delay_alu instid0(VALU_DEP_1) | instskip(NEXT) | instid1(VALU_DEP_1)
	v_fma_mix_f32 v38, v56, v1, v38 op_sel:[0,1,0] op_sel_hi:[1,1,0]
	v_fma_mix_f32 v38, v57, v2, v38 op_sel_hi:[1,1,0]
	s_delay_alu instid0(VALU_DEP_1) | instskip(NEXT) | instid1(VALU_DEP_1)
	v_fma_mix_f32 v38, v58, v2, v38 op_sel:[0,1,0] op_sel_hi:[1,1,0]
	v_fma_mix_f32 v38, v60, v3, v38 op_sel_hi:[1,1,0]
	s_delay_alu instid0(VALU_DEP_1) | instskip(NEXT) | instid1(VALU_DEP_1)
	v_fma_mix_f32 v38, v62, v3, v38 op_sel:[0,1,0] op_sel_hi:[1,1,0]
	v_fma_mixlo_f16 v38, v38, v19, 0 op_sel_hi:[0,1,0]
	s_delay_alu instid0(VALU_DEP_1) | instskip(SKIP_1) | instid1(VALU_DEP_1)
	v_add_f16_e32 v32, v32, v38
	v_fma_mix_f32 v38, v28, v0, 0 op_sel_hi:[1,1,0]
	v_fma_mix_f32 v38, v59, v0, v38 op_sel:[0,1,0] op_sel_hi:[1,1,0]
	s_delay_alu instid0(VALU_DEP_1) | instskip(NEXT) | instid1(VALU_DEP_1)
	v_fma_mix_f32 v38, v61, v1, v38 op_sel_hi:[1,1,0]
	v_fma_mix_f32 v38, v64, v1, v38 op_sel:[0,1,0] op_sel_hi:[1,1,0]
	s_delay_alu instid0(VALU_DEP_1) | instskip(NEXT) | instid1(VALU_DEP_1)
	v_fma_mix_f32 v38, v68, v2, v38 op_sel_hi:[1,1,0]
	v_fma_mix_f32 v38, v71, v2, v38 op_sel:[0,1,0] op_sel_hi:[1,1,0]
	s_delay_alu instid0(VALU_DEP_1) | instskip(NEXT) | instid1(VALU_DEP_1)
	v_fma_mix_f32 v38, v72, v3, v38 op_sel_hi:[1,1,0]
	v_fma_mix_f32 v38, v73, v3, v38 op_sel:[0,1,0] op_sel_hi:[1,1,0]
	s_delay_alu instid0(VALU_DEP_1) | instskip(NEXT) | instid1(VALU_DEP_1)
	v_fma_mixlo_f16 v38, v38, v15, 0 op_sel_hi:[0,1,0]
	v_add_f16_e32 v31, v31, v38
	v_fma_mix_f32 v38, v70, v0, 0 op_sel_hi:[1,1,0]
	s_delay_alu instid0(VALU_DEP_1) | instskip(NEXT) | instid1(VALU_DEP_1)
	v_fma_mix_f32 v0, v69, v0, v38 op_sel:[0,1,0] op_sel_hi:[1,1,0]
	v_fma_mix_f32 v0, v67, v1, v0 op_sel_hi:[1,1,0]
	s_delay_alu instid0(VALU_DEP_1) | instskip(NEXT) | instid1(VALU_DEP_1)
	v_fma_mix_f32 v0, v66, v1, v0 op_sel:[0,1,0] op_sel_hi:[1,1,0]
	v_fma_mix_f32 v0, v65, v2, v0 op_sel_hi:[1,1,0]
	s_delay_alu instid0(VALU_DEP_1) | instskip(NEXT) | instid1(VALU_DEP_1)
	v_fma_mix_f32 v0, v63, v2, v0 op_sel:[0,1,0] op_sel_hi:[1,1,0]
	v_fma_mix_f32 v0, v27, v3, v0 op_sel_hi:[1,1,0]
	s_delay_alu instid0(VALU_DEP_1) | instskip(NEXT) | instid1(VALU_DEP_1)
	v_fma_mix_f32 v0, v26, v3, v0 op_sel:[0,1,0] op_sel_hi:[1,1,0]
	v_fma_mixlo_f16 v0, v0, v22, 0 op_sel_hi:[0,1,0]
	s_delay_alu instid0(VALU_DEP_1) | instskip(SKIP_3) | instid1(VALU_DEP_1)
	v_add_f16_e32 v30, v30, v0
	ds_load_b128 v[0:3], v25 offset:304
	s_waitcnt lgkmcnt(0)
	v_fma_mix_f32 v38, v8, v0, 0 op_sel_hi:[1,1,0]
	v_fma_mix_f32 v38, v9, v0, v38 op_sel:[0,1,0] op_sel_hi:[1,1,0]
	s_delay_alu instid0(VALU_DEP_1) | instskip(NEXT) | instid1(VALU_DEP_1)
	v_fma_mix_f32 v38, v16, v1, v38 op_sel_hi:[1,1,0]
	v_fma_mix_f32 v38, v17, v1, v38 op_sel:[0,1,0] op_sel_hi:[1,1,0]
	s_delay_alu instid0(VALU_DEP_1) | instskip(NEXT) | instid1(VALU_DEP_1)
	v_fma_mix_f32 v38, v50, v2, v38 op_sel_hi:[1,1,0]
	v_fma_mix_f32 v38, v51, v2, v38 op_sel:[0,1,0] op_sel_hi:[1,1,0]
	s_delay_alu instid0(VALU_DEP_1) | instskip(NEXT) | instid1(VALU_DEP_1)
	v_fma_mix_f32 v38, v53, v3, v38 op_sel_hi:[1,1,0]
	v_fma_mix_f32 v38, v55, v3, v38 op_sel:[0,1,0] op_sel_hi:[1,1,0]
	s_delay_alu instid0(VALU_DEP_1) | instskip(NEXT) | instid1(VALU_DEP_1)
	v_fma_mixlo_f16 v38, v38, v14, 0 op_sel_hi:[0,1,0]
	v_add_f16_e32 v39, v34, v38
	v_fma_mix_f32 v34, v29, v0, 0 op_sel_hi:[1,1,0]
	s_delay_alu instid0(VALU_DEP_1) | instskip(NEXT) | instid1(VALU_DEP_1)
	v_fma_mix_f32 v34, v52, v0, v34 op_sel:[0,1,0] op_sel_hi:[1,1,0]
	v_fma_mix_f32 v34, v54, v1, v34 op_sel_hi:[1,1,0]
	s_delay_alu instid0(VALU_DEP_1) | instskip(NEXT) | instid1(VALU_DEP_1)
	v_fma_mix_f32 v34, v56, v1, v34 op_sel:[0,1,0] op_sel_hi:[1,1,0]
	v_fma_mix_f32 v34, v57, v2, v34 op_sel_hi:[1,1,0]
	s_delay_alu instid0(VALU_DEP_1) | instskip(NEXT) | instid1(VALU_DEP_1)
	v_fma_mix_f32 v34, v58, v2, v34 op_sel:[0,1,0] op_sel_hi:[1,1,0]
	v_fma_mix_f32 v34, v60, v3, v34 op_sel_hi:[1,1,0]
	s_delay_alu instid0(VALU_DEP_1) | instskip(NEXT) | instid1(VALU_DEP_1)
	v_fma_mix_f32 v34, v62, v3, v34 op_sel:[0,1,0] op_sel_hi:[1,1,0]
	v_fma_mixlo_f16 v34, v34, v19, 0 op_sel_hi:[0,1,0]
	s_delay_alu instid0(VALU_DEP_1) | instskip(SKIP_1) | instid1(VALU_DEP_1)
	v_add_f16_e32 v38, v35, v34
	v_fma_mix_f32 v34, v28, v0, 0 op_sel_hi:[1,1,0]
	v_fma_mix_f32 v34, v59, v0, v34 op_sel:[0,1,0] op_sel_hi:[1,1,0]
	s_delay_alu instid0(VALU_DEP_1) | instskip(NEXT) | instid1(VALU_DEP_1)
	v_fma_mix_f32 v34, v61, v1, v34 op_sel_hi:[1,1,0]
	v_fma_mix_f32 v34, v64, v1, v34 op_sel:[0,1,0] op_sel_hi:[1,1,0]
	s_delay_alu instid0(VALU_DEP_1) | instskip(NEXT) | instid1(VALU_DEP_1)
	v_fma_mix_f32 v34, v68, v2, v34 op_sel_hi:[1,1,0]
	v_fma_mix_f32 v34, v71, v2, v34 op_sel:[0,1,0] op_sel_hi:[1,1,0]
	s_delay_alu instid0(VALU_DEP_1) | instskip(NEXT) | instid1(VALU_DEP_1)
	v_fma_mix_f32 v34, v72, v3, v34 op_sel_hi:[1,1,0]
	v_fma_mix_f32 v34, v73, v3, v34 op_sel:[0,1,0] op_sel_hi:[1,1,0]
	s_delay_alu instid0(VALU_DEP_1) | instskip(NEXT) | instid1(VALU_DEP_1)
	v_fma_mixlo_f16 v34, v34, v15, 0 op_sel_hi:[0,1,0]
	v_add_f16_e32 v35, v42, v34
	v_fma_mix_f32 v34, v70, v0, 0 op_sel_hi:[1,1,0]
	s_delay_alu instid0(VALU_DEP_1) | instskip(NEXT) | instid1(VALU_DEP_1)
	v_fma_mix_f32 v0, v69, v0, v34 op_sel:[0,1,0] op_sel_hi:[1,1,0]
	v_fma_mix_f32 v0, v67, v1, v0 op_sel_hi:[1,1,0]
	s_delay_alu instid0(VALU_DEP_1) | instskip(NEXT) | instid1(VALU_DEP_1)
	v_fma_mix_f32 v0, v66, v1, v0 op_sel:[0,1,0] op_sel_hi:[1,1,0]
	v_fma_mix_f32 v0, v65, v2, v0 op_sel_hi:[1,1,0]
	s_delay_alu instid0(VALU_DEP_1) | instskip(NEXT) | instid1(VALU_DEP_1)
	v_fma_mix_f32 v0, v63, v2, v0 op_sel:[0,1,0] op_sel_hi:[1,1,0]
	v_fma_mix_f32 v0, v27, v3, v0 op_sel_hi:[1,1,0]
	s_delay_alu instid0(VALU_DEP_1) | instskip(NEXT) | instid1(VALU_DEP_1)
	v_fma_mix_f32 v0, v26, v3, v0 op_sel:[0,1,0] op_sel_hi:[1,1,0]
	v_fma_mixlo_f16 v0, v0, v22, 0 op_sel_hi:[0,1,0]
	s_delay_alu instid0(VALU_DEP_1) | instskip(SKIP_3) | instid1(VALU_DEP_1)
	v_add_f16_e32 v34, v43, v0
	ds_load_b128 v[0:3], v25 offset:560
	s_waitcnt lgkmcnt(0)
	v_fma_mix_f32 v42, v8, v0, 0 op_sel_hi:[1,1,0]
	v_fma_mix_f32 v42, v9, v0, v42 op_sel:[0,1,0] op_sel_hi:[1,1,0]
	s_delay_alu instid0(VALU_DEP_1) | instskip(NEXT) | instid1(VALU_DEP_1)
	;; [unrolled: 60-line block ×5, first 2 shown]
	v_fma_mix_f32 v8, v16, v1, v8 op_sel_hi:[1,1,0]
	v_fma_mix_f32 v8, v17, v1, v8 op_sel:[0,1,0] op_sel_hi:[1,1,0]
	s_delay_alu instid0(VALU_DEP_1) | instskip(NEXT) | instid1(VALU_DEP_1)
	v_fma_mix_f32 v8, v50, v2, v8 op_sel_hi:[1,1,0]
	v_fma_mix_f32 v8, v51, v2, v8 op_sel:[0,1,0] op_sel_hi:[1,1,0]
	s_delay_alu instid0(VALU_DEP_1) | instskip(NEXT) | instid1(VALU_DEP_1)
	;; [unrolled: 3-line block ×3, first 2 shown]
	v_fma_mixlo_f16 v8, v8, v14, 0 op_sel_hi:[0,1,0]
	v_add_f16_e32 v51, v11, v8
	v_fma_mix_f32 v8, v29, v0, 0 op_sel_hi:[1,1,0]
	s_delay_alu instid0(VALU_DEP_1) | instskip(NEXT) | instid1(VALU_DEP_1)
	v_fma_mix_f32 v8, v52, v0, v8 op_sel:[0,1,0] op_sel_hi:[1,1,0]
	v_fma_mix_f32 v8, v54, v1, v8 op_sel_hi:[1,1,0]
	s_delay_alu instid0(VALU_DEP_1) | instskip(NEXT) | instid1(VALU_DEP_1)
	v_fma_mix_f32 v8, v56, v1, v8 op_sel:[0,1,0] op_sel_hi:[1,1,0]
	;; [unrolled: 3-line block ×4, first 2 shown]
	v_fma_mixlo_f16 v8, v8, v19, 0 op_sel_hi:[0,1,0]
	s_delay_alu instid0(VALU_DEP_1) | instskip(SKIP_1) | instid1(VALU_DEP_1)
	v_add_f16_e32 v52, v10, v8
	v_fma_mix_f32 v8, v28, v0, 0 op_sel_hi:[1,1,0]
	v_fma_mix_f32 v8, v59, v0, v8 op_sel:[0,1,0] op_sel_hi:[1,1,0]
	s_delay_alu instid0(VALU_DEP_1) | instskip(NEXT) | instid1(VALU_DEP_1)
	v_fma_mix_f32 v8, v61, v1, v8 op_sel_hi:[1,1,0]
	v_fma_mix_f32 v8, v64, v1, v8 op_sel:[0,1,0] op_sel_hi:[1,1,0]
	s_delay_alu instid0(VALU_DEP_1) | instskip(NEXT) | instid1(VALU_DEP_1)
	;; [unrolled: 3-line block ×4, first 2 shown]
	v_fma_mixlo_f16 v8, v8, v15, 0 op_sel_hi:[0,1,0]
	v_add_f16_e32 v50, v7, v8
	v_fma_mix_f32 v7, v70, v0, 0 op_sel_hi:[1,1,0]
	s_delay_alu instid0(VALU_DEP_1) | instskip(NEXT) | instid1(VALU_DEP_1)
	v_fma_mix_f32 v0, v69, v0, v7 op_sel:[0,1,0] op_sel_hi:[1,1,0]
	v_fma_mix_f32 v0, v67, v1, v0 op_sel_hi:[1,1,0]
	s_delay_alu instid0(VALU_DEP_1) | instskip(NEXT) | instid1(VALU_DEP_1)
	v_fma_mix_f32 v0, v66, v1, v0 op_sel:[0,1,0] op_sel_hi:[1,1,0]
	;; [unrolled: 3-line block ×4, first 2 shown]
	v_fma_mixlo_f16 v0, v0, v22, 0 op_sel_hi:[0,1,0]
	s_delay_alu instid0(VALU_DEP_1)
	v_add_f16_e32 v53, v6, v0
	v_add_co_u32 v0, vcc_lo, v4, s0
	v_add_co_ci_u32_e32 v1, vcc_lo, s1, v5, vcc_lo
	s_cbranch_scc1 .LBB38_20
.LBB38_18:                              ; =>This Inner Loop Header: Depth=1
	s_cmp_lg_u32 s15, s4
	s_cbranch_scc1 .LBB38_17
; %bb.19:                               ;   in Loop: Header=BB38_18 Depth=1
	s_add_i32 s13, s13, 1
	s_add_i32 s4, s4, s3
	s_mul_i32 s5, s13, s16
	s_delay_alu instid0(SALU_CYCLE_1) | instskip(SKIP_2) | instid1(SALU_CYCLE_1)
	s_ashr_i32 s14, s5, 31
	v_add_nc_u32_e32 v2, s5, v12
	s_lshr_b32 s14, s14, 30
	s_add_i32 s5, s5, s14
	s_delay_alu instid0(VALU_DEP_1) | instskip(SKIP_1) | instid1(SALU_CYCLE_1)
	v_ashrrev_i32_e32 v3, 31, v2
	s_ashr_i32 s5, s5, 2
	v_add_nc_u32_e32 v4, s5, v18
	s_delay_alu instid0(VALU_DEP_2) | instskip(NEXT) | instid1(VALU_DEP_2)
	v_lshlrev_b64 v[2:3], 1, v[2:3]
	v_ashrrev_i32_e32 v5, 31, v4
	s_delay_alu instid0(VALU_DEP_2) | instskip(NEXT) | instid1(VALU_DEP_2)
	v_add_co_u32 v2, vcc_lo, s8, v2
	v_lshlrev_b64 v[4:5], 2, v[4:5]
	s_delay_alu instid0(VALU_DEP_4) | instskip(NEXT) | instid1(VALU_DEP_2)
	v_add_co_ci_u32_e32 v3, vcc_lo, s9, v3, vcc_lo
	v_add_co_u32 v4, vcc_lo, s6, v4
	s_delay_alu instid0(VALU_DEP_3)
	v_add_co_ci_u32_e32 v5, vcc_lo, s7, v5, vcc_lo
	global_load_b64 v[14:15], v[2:3], off
	global_load_b32 v2, v[4:5], off
	s_waitcnt vmcnt(1)
	v_lshrrev_b32_e32 v19, 16, v14
	s_waitcnt vmcnt(0)
	v_and_b32_e32 v20, 0xff, v2
	v_bfe_u32 v21, v2, 8, 8
	v_bfe_u32 v23, v2, 16, 8
	v_lshrrev_b32_e32 v24, 24, v2
	v_lshrrev_b32_e32 v22, 16, v15
	s_branch .LBB38_17
.LBB38_20:
	v_mad_u64_u32 v[0:1], null, s12, s16, v[12:13]
	v_perm_b32 v5, v32, v33, 0x5040100
	s_mov_b32 s0, 0
	s_delay_alu instid0(VALU_DEP_2) | instskip(NEXT) | instid1(VALU_DEP_1)
	v_ashrrev_i32_e32 v1, 31, v0
	v_lshlrev_b64 v[1:2], 1, v[0:1]
	s_delay_alu instid0(VALU_DEP_1) | instskip(NEXT) | instid1(VALU_DEP_2)
	v_add_co_u32 v1, vcc_lo, s10, v1
	v_add_co_ci_u32_e32 v2, vcc_lo, s11, v2, vcc_lo
	global_load_b32 v4, v[1:2], off
.LBB38_21:                              ; =>This Inner Loop Header: Depth=1
	s_waitcnt vmcnt(0)
	v_pk_add_f16 v3, v5, v4
	global_atomic_cmpswap_b32 v3, v[1:2], v[3:4], off glc
	s_waitcnt vmcnt(0)
	v_cmp_eq_u32_e32 vcc_lo, v4, v3
	v_mov_b32_e32 v4, v3
	s_or_b32 s0, vcc_lo, s0
	s_delay_alu instid0(SALU_CYCLE_1)
	s_and_not1_b32 exec_lo, exec_lo, s0
	s_cbranch_execnz .LBB38_21
; %bb.22:
	s_or_b32 exec_lo, exec_lo, s0
	global_load_b32 v4, v[1:2], off offset:4
	v_perm_b32 v5, v30, v31, 0x5040100
	s_mov_b32 s0, 0
.LBB38_23:                              ; =>This Inner Loop Header: Depth=1
	s_waitcnt vmcnt(0)
	s_delay_alu instid0(VALU_DEP_1)
	v_pk_add_f16 v3, v5, v4
	global_atomic_cmpswap_b32 v3, v[1:2], v[3:4], off offset:4 glc
	s_waitcnt vmcnt(0)
	v_cmp_eq_u32_e32 vcc_lo, v4, v3
	v_mov_b32_e32 v4, v3
	s_or_b32 s0, vcc_lo, s0
	s_delay_alu instid0(SALU_CYCLE_1)
	s_and_not1_b32 exec_lo, exec_lo, s0
	s_cbranch_execnz .LBB38_23
; %bb.24:
	s_or_b32 exec_lo, exec_lo, s0
	v_add_nc_u32_e32 v0, s16, v0
	v_perm_b32 v5, v38, v39, 0x5040100
	s_mov_b32 s0, 0
	s_delay_alu instid0(VALU_DEP_2) | instskip(NEXT) | instid1(VALU_DEP_1)
	v_ashrrev_i32_e32 v1, 31, v0
	v_lshlrev_b64 v[1:2], 1, v[0:1]
	s_delay_alu instid0(VALU_DEP_1) | instskip(NEXT) | instid1(VALU_DEP_2)
	v_add_co_u32 v1, vcc_lo, s10, v1
	v_add_co_ci_u32_e32 v2, vcc_lo, s11, v2, vcc_lo
	global_load_b32 v4, v[1:2], off
.LBB38_25:                              ; =>This Inner Loop Header: Depth=1
	s_waitcnt vmcnt(0)
	v_pk_add_f16 v3, v5, v4
	global_atomic_cmpswap_b32 v3, v[1:2], v[3:4], off glc
	s_waitcnt vmcnt(0)
	v_cmp_eq_u32_e32 vcc_lo, v4, v3
	v_mov_b32_e32 v4, v3
	s_or_b32 s0, vcc_lo, s0
	s_delay_alu instid0(SALU_CYCLE_1)
	s_and_not1_b32 exec_lo, exec_lo, s0
	s_cbranch_execnz .LBB38_25
; %bb.26:
	s_or_b32 exec_lo, exec_lo, s0
	global_load_b32 v4, v[1:2], off offset:4
	v_perm_b32 v5, v34, v35, 0x5040100
	s_mov_b32 s0, 0
.LBB38_27:                              ; =>This Inner Loop Header: Depth=1
	s_waitcnt vmcnt(0)
	s_delay_alu instid0(VALU_DEP_1)
	v_pk_add_f16 v3, v5, v4
	global_atomic_cmpswap_b32 v3, v[1:2], v[3:4], off offset:4 glc
	s_waitcnt vmcnt(0)
	v_cmp_eq_u32_e32 vcc_lo, v4, v3
	v_mov_b32_e32 v4, v3
	s_or_b32 s0, vcc_lo, s0
	s_delay_alu instid0(SALU_CYCLE_1)
	s_and_not1_b32 exec_lo, exec_lo, s0
	s_cbranch_execnz .LBB38_27
; %bb.28:
	s_or_b32 exec_lo, exec_lo, s0
	v_add_nc_u32_e32 v0, s16, v0
	;; [unrolled: 40-line block ×5, first 2 shown]
	v_perm_b32 v4, v52, v51, 0x5040100
	s_mov_b32 s0, 0
	s_delay_alu instid0(VALU_DEP_2) | instskip(NEXT) | instid1(VALU_DEP_1)
	v_ashrrev_i32_e32 v1, 31, v0
	v_lshlrev_b64 v[0:1], 1, v[0:1]
	s_delay_alu instid0(VALU_DEP_1) | instskip(NEXT) | instid1(VALU_DEP_2)
	v_add_co_u32 v0, vcc_lo, s10, v0
	v_add_co_ci_u32_e32 v1, vcc_lo, s11, v1, vcc_lo
	global_load_b32 v3, v[0:1], off
.LBB38_41:                              ; =>This Inner Loop Header: Depth=1
	s_waitcnt vmcnt(0)
	v_pk_add_f16 v2, v4, v3
	global_atomic_cmpswap_b32 v2, v[0:1], v[2:3], off glc
	s_waitcnt vmcnt(0)
	v_cmp_eq_u32_e32 vcc_lo, v3, v2
	v_mov_b32_e32 v3, v2
	s_or_b32 s0, vcc_lo, s0
	s_delay_alu instid0(SALU_CYCLE_1)
	s_and_not1_b32 exec_lo, exec_lo, s0
	s_cbranch_execnz .LBB38_41
; %bb.42:
	s_or_b32 exec_lo, exec_lo, s0
	global_load_b32 v3, v[0:1], off offset:4
	v_perm_b32 v4, v53, v50, 0x5040100
	s_mov_b32 s0, 0
.LBB38_43:                              ; =>This Inner Loop Header: Depth=1
	s_waitcnt vmcnt(0)
	s_delay_alu instid0(VALU_DEP_1)
	v_pk_add_f16 v2, v4, v3
	global_atomic_cmpswap_b32 v2, v[0:1], v[2:3], off offset:4 glc
	s_waitcnt vmcnt(0)
	v_cmp_eq_u32_e32 vcc_lo, v3, v2
	v_mov_b32_e32 v3, v2
	s_or_b32 s0, vcc_lo, s0
	s_delay_alu instid0(SALU_CYCLE_1)
	s_and_not1_b32 exec_lo, exec_lo, s0
	s_cbranch_execnz .LBB38_43
.LBB38_44:
	s_endpgm
	.section	.rodata,"a",@progbits
	.p2align	6, 0x0
	.amdhsa_kernel _ZN4vllm4gptq33gemm_half_q_half_gptq_8bit_kernelILb1ELi6EEEvPK6__halfPKjS6_S4_PS2_iiiibPKi
		.amdhsa_group_segment_fixed_size 1536
		.amdhsa_private_segment_fixed_size 0
		.amdhsa_kernarg_size 72
		.amdhsa_user_sgpr_count 13
		.amdhsa_user_sgpr_dispatch_ptr 0
		.amdhsa_user_sgpr_queue_ptr 0
		.amdhsa_user_sgpr_kernarg_segment_ptr 1
		.amdhsa_user_sgpr_dispatch_id 0
		.amdhsa_user_sgpr_private_segment_size 0
		.amdhsa_wavefront_size32 1
		.amdhsa_uses_dynamic_stack 0
		.amdhsa_enable_private_segment 0
		.amdhsa_system_sgpr_workgroup_id_x 1
		.amdhsa_system_sgpr_workgroup_id_y 1
		.amdhsa_system_sgpr_workgroup_id_z 1
		.amdhsa_system_sgpr_workgroup_info 0
		.amdhsa_system_vgpr_workitem_id 0
		.amdhsa_next_free_vgpr 102
		.amdhsa_next_free_sgpr 24
		.amdhsa_reserve_vcc 1
		.amdhsa_float_round_mode_32 0
		.amdhsa_float_round_mode_16_64 0
		.amdhsa_float_denorm_mode_32 3
		.amdhsa_float_denorm_mode_16_64 3
		.amdhsa_dx10_clamp 1
		.amdhsa_ieee_mode 1
		.amdhsa_fp16_overflow 0
		.amdhsa_workgroup_processor_mode 1
		.amdhsa_memory_ordered 1
		.amdhsa_forward_progress 0
		.amdhsa_shared_vgpr_count 0
		.amdhsa_exception_fp_ieee_invalid_op 0
		.amdhsa_exception_fp_denorm_src 0
		.amdhsa_exception_fp_ieee_div_zero 0
		.amdhsa_exception_fp_ieee_overflow 0
		.amdhsa_exception_fp_ieee_underflow 0
		.amdhsa_exception_fp_ieee_inexact 0
		.amdhsa_exception_int_div_zero 0
	.end_amdhsa_kernel
	.section	.text._ZN4vllm4gptq33gemm_half_q_half_gptq_8bit_kernelILb1ELi6EEEvPK6__halfPKjS6_S4_PS2_iiiibPKi,"axG",@progbits,_ZN4vllm4gptq33gemm_half_q_half_gptq_8bit_kernelILb1ELi6EEEvPK6__halfPKjS6_S4_PS2_iiiibPKi,comdat
.Lfunc_end38:
	.size	_ZN4vllm4gptq33gemm_half_q_half_gptq_8bit_kernelILb1ELi6EEEvPK6__halfPKjS6_S4_PS2_iiiibPKi, .Lfunc_end38-_ZN4vllm4gptq33gemm_half_q_half_gptq_8bit_kernelILb1ELi6EEEvPK6__halfPKjS6_S4_PS2_iiiibPKi
                                        ; -- End function
	.section	.AMDGPU.csdata,"",@progbits
; Kernel info:
; codeLenInByte = 15292
; NumSgprs: 26
; NumVgprs: 102
; ScratchSize: 0
; MemoryBound: 0
; FloatMode: 240
; IeeeMode: 1
; LDSByteSize: 1536 bytes/workgroup (compile time only)
; SGPRBlocks: 3
; VGPRBlocks: 12
; NumSGPRsForWavesPerEU: 26
; NumVGPRsForWavesPerEU: 102
; Occupancy: 12
; WaveLimiterHint : 0
; COMPUTE_PGM_RSRC2:SCRATCH_EN: 0
; COMPUTE_PGM_RSRC2:USER_SGPR: 13
; COMPUTE_PGM_RSRC2:TRAP_HANDLER: 0
; COMPUTE_PGM_RSRC2:TGID_X_EN: 1
; COMPUTE_PGM_RSRC2:TGID_Y_EN: 1
; COMPUTE_PGM_RSRC2:TGID_Z_EN: 1
; COMPUTE_PGM_RSRC2:TIDIG_COMP_CNT: 0
	.section	.text._ZN4vllm4gptq33gemm_half_q_half_gptq_2bit_kernelILb1ELi7EEEvPK6__halfPKjS6_S4_PS2_iiiibPKi,"axG",@progbits,_ZN4vllm4gptq33gemm_half_q_half_gptq_2bit_kernelILb1ELi7EEEvPK6__halfPKjS6_S4_PS2_iiiibPKi,comdat
	.protected	_ZN4vllm4gptq33gemm_half_q_half_gptq_2bit_kernelILb1ELi7EEEvPK6__halfPKjS6_S4_PS2_iiiibPKi ; -- Begin function _ZN4vllm4gptq33gemm_half_q_half_gptq_2bit_kernelILb1ELi7EEEvPK6__halfPKjS6_S4_PS2_iiiibPKi
	.globl	_ZN4vllm4gptq33gemm_half_q_half_gptq_2bit_kernelILb1ELi7EEEvPK6__halfPKjS6_S4_PS2_iiiibPKi
	.p2align	8
	.type	_ZN4vllm4gptq33gemm_half_q_half_gptq_2bit_kernelILb1ELi7EEEvPK6__halfPKjS6_S4_PS2_iiiibPKi,@function
_ZN4vllm4gptq33gemm_half_q_half_gptq_2bit_kernelILb1ELi7EEEvPK6__halfPKjS6_S4_PS2_iiiibPKi: ; @_ZN4vllm4gptq33gemm_half_q_half_gptq_2bit_kernelILb1ELi7EEEvPK6__halfPKjS6_S4_PS2_iiiibPKi
; %bb.0:
	s_load_b128 s[16:19], s[0:1], 0x2c
	s_lshl_b32 s15, s15, 7
	s_load_b256 s[4:11], s[0:1], 0x8
	s_add_i32 s2, s15, 0x80
	s_mul_i32 s12, s14, 7
	v_cvt_f64_u32_e32 v[1:2], s2
	s_mov_b32 s14, exec_lo
	s_waitcnt lgkmcnt(0)
	v_cvt_f64_i32_e32 v[3:4], s17
	s_delay_alu instid0(VALU_DEP_1) | instskip(NEXT) | instid1(VALU_DEP_1)
	v_min_f64 v[1:2], v[1:2], v[3:4]
	v_cvt_i32_f64_e32 v2, v[1:2]
	v_add_nc_u32_e32 v1, s15, v0
	s_delay_alu instid0(VALU_DEP_2) | instskip(NEXT) | instid1(VALU_DEP_2)
	v_readfirstlane_b32 s20, v2
	v_cmpx_lt_u32_e64 v1, v2
	s_cbranch_execz .LBB39_16
; %bb.1:
	s_clause 0x1
	s_load_b64 s[2:3], s[0:1], 0x40
	s_load_b64 s[0:1], s[0:1], 0x0
	v_mov_b32_e32 v2, 0
	s_delay_alu instid0(VALU_DEP_1) | instskip(SKIP_2) | instid1(VALU_DEP_2)
	v_lshlrev_b64 v[3:4], 2, v[1:2]
	v_dual_mov_b32 v6, v2 :: v_dual_mov_b32 v5, v1
	s_waitcnt lgkmcnt(0)
	v_add_co_u32 v3, vcc_lo, s2, v3
	s_delay_alu instid0(VALU_DEP_3)
	v_add_co_ci_u32_e32 v4, vcc_lo, s3, v4, vcc_lo
	s_cmp_lg_u64 s[2:3], 0
	s_cselect_b32 s21, -1, 0
	s_cmp_eq_u64 s[2:3], 0
	s_cbranch_scc1 .LBB39_3
; %bb.2:
	global_load_b32 v5, v[3:4], off
	s_waitcnt vmcnt(0)
	v_ashrrev_i32_e32 v6, 31, v5
.LBB39_3:
	s_mul_i32 s2, s12, s17
	s_delay_alu instid0(VALU_DEP_1)
	v_lshlrev_b64 v[5:6], 1, v[5:6]
	s_ashr_i32 s3, s2, 31
	v_lshlrev_b32_e32 v7, 1, v0
	s_lshl_b64 s[22:23], s[2:3], 1
	v_cndmask_b32_e64 v8, 0, 1, s21
	s_add_u32 s3, s0, s22
	s_addc_u32 s22, s1, s23
	v_add_co_u32 v5, vcc_lo, s3, v5
	v_add_co_ci_u32_e32 v6, vcc_lo, s22, v6, vcc_lo
	s_and_not1_b32 vcc_lo, exec_lo, s21
	global_load_u16 v9, v[5:6], off
	v_dual_mov_b32 v6, v2 :: v_dual_mov_b32 v5, v1
	s_waitcnt vmcnt(0)
	ds_store_b16 v7, v9
	s_cbranch_vccnz .LBB39_5
; %bb.4:
	global_load_b32 v5, v[3:4], off
	s_waitcnt vmcnt(0)
	v_ashrrev_i32_e32 v6, 31, v5
.LBB39_5:
	s_add_i32 s2, s2, s17
	s_delay_alu instid0(VALU_DEP_1) | instskip(SKIP_1) | instid1(SALU_CYCLE_1)
	v_lshlrev_b64 v[5:6], 1, v[5:6]
	s_ashr_i32 s3, s2, 31
	s_lshl_b64 s[22:23], s[2:3], 1
	s_delay_alu instid0(SALU_CYCLE_1) | instskip(SKIP_1) | instid1(VALU_DEP_1)
	s_add_u32 s3, s0, s22
	s_addc_u32 s21, s1, s23
	v_add_co_u32 v5, vcc_lo, s3, v5
	v_add_co_ci_u32_e32 v6, vcc_lo, s21, v6, vcc_lo
	v_cmp_ne_u32_e32 vcc_lo, 1, v8
	global_load_u16 v9, v[5:6], off
	v_dual_mov_b32 v6, v2 :: v_dual_mov_b32 v5, v1
	s_waitcnt vmcnt(0)
	ds_store_b16 v7, v9 offset:256
	s_cbranch_vccnz .LBB39_7
; %bb.6:
	global_load_b32 v5, v[3:4], off
	s_waitcnt vmcnt(0)
	v_ashrrev_i32_e32 v6, 31, v5
.LBB39_7:
	s_add_i32 s2, s2, s17
	s_delay_alu instid0(VALU_DEP_1) | instskip(SKIP_1) | instid1(SALU_CYCLE_1)
	v_lshlrev_b64 v[5:6], 1, v[5:6]
	s_ashr_i32 s3, s2, 31
	s_lshl_b64 s[22:23], s[2:3], 1
	s_delay_alu instid0(SALU_CYCLE_1) | instskip(SKIP_1) | instid1(VALU_DEP_1)
	s_add_u32 s3, s0, s22
	s_addc_u32 s21, s1, s23
	v_add_co_u32 v5, vcc_lo, s3, v5
	v_add_co_ci_u32_e32 v6, vcc_lo, s21, v6, vcc_lo
	v_cmp_ne_u32_e32 vcc_lo, 1, v8
	global_load_u16 v9, v[5:6], off
	v_dual_mov_b32 v6, v2 :: v_dual_mov_b32 v5, v1
	s_waitcnt vmcnt(0)
	ds_store_b16 v7, v9 offset:512
	s_cbranch_vccnz .LBB39_9
; %bb.8:
	global_load_b32 v5, v[3:4], off
	s_waitcnt vmcnt(0)
	v_ashrrev_i32_e32 v6, 31, v5
.LBB39_9:
	s_add_i32 s2, s2, s17
	s_delay_alu instid0(VALU_DEP_1) | instskip(SKIP_1) | instid1(SALU_CYCLE_1)
	v_lshlrev_b64 v[5:6], 1, v[5:6]
	s_ashr_i32 s3, s2, 31
	s_lshl_b64 s[22:23], s[2:3], 1
	s_delay_alu instid0(SALU_CYCLE_1) | instskip(SKIP_1) | instid1(VALU_DEP_1)
	s_add_u32 s3, s0, s22
	s_addc_u32 s21, s1, s23
	v_add_co_u32 v5, vcc_lo, s3, v5
	v_add_co_ci_u32_e32 v6, vcc_lo, s21, v6, vcc_lo
	v_cmp_ne_u32_e32 vcc_lo, 1, v8
	global_load_u16 v9, v[5:6], off
	v_dual_mov_b32 v6, v2 :: v_dual_mov_b32 v5, v1
	s_waitcnt vmcnt(0)
	ds_store_b16 v7, v9 offset:768
	s_cbranch_vccnz .LBB39_11
; %bb.10:
	global_load_b32 v5, v[3:4], off
	s_waitcnt vmcnt(0)
	v_ashrrev_i32_e32 v6, 31, v5
.LBB39_11:
	s_add_i32 s2, s2, s17
	s_delay_alu instid0(VALU_DEP_1) | instskip(SKIP_1) | instid1(SALU_CYCLE_1)
	v_lshlrev_b64 v[5:6], 1, v[5:6]
	s_ashr_i32 s3, s2, 31
	s_lshl_b64 s[22:23], s[2:3], 1
	s_delay_alu instid0(SALU_CYCLE_1) | instskip(SKIP_1) | instid1(VALU_DEP_1)
	s_add_u32 s3, s0, s22
	s_addc_u32 s21, s1, s23
	v_add_co_u32 v5, vcc_lo, s3, v5
	v_add_co_ci_u32_e32 v6, vcc_lo, s21, v6, vcc_lo
	v_cmp_ne_u32_e32 vcc_lo, 1, v8
	global_load_u16 v9, v[5:6], off
	v_dual_mov_b32 v6, v2 :: v_dual_mov_b32 v5, v1
	s_waitcnt vmcnt(0)
	ds_store_b16 v7, v9 offset:1024
	s_cbranch_vccnz .LBB39_13
; %bb.12:
	global_load_b32 v5, v[3:4], off
	s_waitcnt vmcnt(0)
	v_ashrrev_i32_e32 v6, 31, v5
.LBB39_13:
	s_add_i32 s2, s2, s17
	s_delay_alu instid0(VALU_DEP_1) | instskip(SKIP_1) | instid1(SALU_CYCLE_1)
	v_lshlrev_b64 v[5:6], 1, v[5:6]
	s_ashr_i32 s3, s2, 31
	s_lshl_b64 s[22:23], s[2:3], 1
	s_delay_alu instid0(SALU_CYCLE_1) | instskip(SKIP_1) | instid1(VALU_DEP_1)
	s_add_u32 s3, s0, s22
	s_addc_u32 s21, s1, s23
	v_add_co_u32 v5, vcc_lo, s3, v5
	v_add_co_ci_u32_e32 v6, vcc_lo, s21, v6, vcc_lo
	v_cmp_ne_u32_e32 vcc_lo, 1, v8
	global_load_u16 v5, v[5:6], off
	s_waitcnt vmcnt(0)
	ds_store_b16 v7, v5 offset:1280
	s_cbranch_vccnz .LBB39_15
; %bb.14:
	global_load_b32 v1, v[3:4], off
	s_waitcnt vmcnt(0)
	v_ashrrev_i32_e32 v2, 31, v1
.LBB39_15:
	s_add_i32 s2, s2, s17
	s_delay_alu instid0(VALU_DEP_1) | instskip(SKIP_1) | instid1(SALU_CYCLE_1)
	v_lshlrev_b64 v[1:2], 1, v[1:2]
	s_ashr_i32 s3, s2, 31
	s_lshl_b64 s[2:3], s[2:3], 1
	s_delay_alu instid0(SALU_CYCLE_1) | instskip(SKIP_1) | instid1(VALU_DEP_1)
	s_add_u32 s0, s0, s2
	s_addc_u32 s1, s1, s3
	v_add_co_u32 v1, vcc_lo, s0, v1
	v_add_co_ci_u32_e32 v2, vcc_lo, s1, v2, vcc_lo
	global_load_u16 v1, v[1:2], off
	s_waitcnt vmcnt(0)
	ds_store_b16 v7, v1 offset:1536
.LBB39_16:
	s_or_b32 exec_lo, exec_lo, s14
	v_lshlrev_b32_e32 v1, 2, v0
	s_mov_b32 s0, exec_lo
	s_delay_alu instid0(VALU_DEP_1) | instskip(NEXT) | instid1(VALU_DEP_1)
	v_lshl_add_u32 v1, s13, 9, v1
	v_cmpx_gt_i32_e64 s16, v1
	s_cbranch_execz .LBB39_50
; %bb.17:
	s_abs_i32 s0, s18
	v_dual_mov_b32 v21, 0 :: v_dual_mov_b32 v18, 0
	v_cvt_f32_u32_e32 v2, s0
	v_dual_mov_b32 v19, 0 :: v_dual_mov_b32 v16, 0
	v_dual_mov_b32 v15, 0 :: v_dual_mov_b32 v14, 0
	s_delay_alu instid0(VALU_DEP_3)
	v_rcp_iflag_f32_e32 v2, v2
	v_mov_b32_e32 v17, 0
	v_dual_mov_b32 v13, 0 :: v_dual_mov_b32 v12, 0
	v_dual_mov_b32 v11, 0 :: v_dual_mov_b32 v10, 0
	;; [unrolled: 1-line block ×3, first 2 shown]
	v_mov_b32_e32 v7, 0
	s_cmp_ge_i32 s15, s20
	s_waitcnt_depctr 0xfff
	v_mul_f32_e32 v2, 0x4f7ffffe, v2
	s_mov_b32 s2, 0
	s_waitcnt lgkmcnt(0)
	s_barrier
	buffer_gl0_inv
	v_cvt_u32_f32_e32 v2, v2
	s_delay_alu instid0(VALU_DEP_1)
	v_readfirstlane_b32 s1, v2
	s_cbranch_scc1 .LBB39_22
; %bb.18:
	s_sub_i32 s3, 0, s0
	s_abs_i32 s13, s17
	s_delay_alu instid0(VALU_DEP_1)
	s_mul_i32 s3, s3, s1
	s_ashr_i32 s14, s18, 31
	s_mul_hi_u32 s3, s1, s3
	v_dual_mov_b32 v7, 0 :: v_dual_lshlrev_b32 v22, 3, v0
	s_add_i32 s1, s1, s3
	s_ashr_i32 s3, s17, 31
	s_mul_hi_u32 s1, s13, s1
	s_xor_b32 s3, s3, s14
	s_mul_i32 s17, s1, s0
	s_add_i32 s14, s1, 1
	s_sub_i32 s13, s13, s17
	v_dual_mov_b32 v17, 0 :: v_dual_and_b32 v0, 24, v22
	s_sub_i32 s17, s13, s0
	s_cmp_ge_u32 s13, s0
	v_dual_mov_b32 v9, 0 :: v_dual_mov_b32 v12, 0
	s_cselect_b32 s1, s14, s1
	s_cselect_b32 s13, s17, s13
	s_add_i32 s14, s1, 1
	s_cmp_ge_u32 s13, s0
	v_dual_mov_b32 v11, 0 :: v_dual_mov_b32 v14, 0
	s_cselect_b32 s0, s14, s1
	v_dual_mov_b32 v13, 0 :: v_dual_mov_b32 v16, 0
	s_xor_b32 s0, s0, s3
	v_dual_mov_b32 v15, 0 :: v_dual_mov_b32 v18, 0
	s_sub_i32 s3, s0, s3
	s_bitcmp1_b32 s19, 0
	v_cvt_f32_u32_e32 v2, s3
	s_cselect_b32 s1, -1, 0
	s_sub_i32 s13, 0, s3
	s_xor_b32 s1, s1, -1
	v_mov_b32_e32 v19, 0
	v_rcp_iflag_f32_e32 v2, v2
	v_mov_b32_e32 v10, 0
	v_mov_b32_e32 v8, 0
	s_waitcnt_depctr 0xfff
	v_mul_f32_e32 v2, 0x4f7ffffe, v2
	s_delay_alu instid0(VALU_DEP_1) | instskip(NEXT) | instid1(VALU_DEP_1)
	v_cvt_u32_f32_e32 v2, v2
	v_readfirstlane_b32 s0, v2
	v_ashrrev_i32_e32 v2, 31, v1
	s_delay_alu instid0(VALU_DEP_2) | instskip(NEXT) | instid1(VALU_DEP_1)
	s_mul_i32 s13, s13, s0
	v_lshrrev_b32_e32 v3, 28, v2
	s_mul_hi_u32 s13, s0, s13
	s_delay_alu instid0(SALU_CYCLE_1) | instskip(NEXT) | instid1(VALU_DEP_1)
	s_add_i32 s0, s0, s13
	v_add_nc_u32_e32 v3, v1, v3
	s_mul_hi_u32 s0, s15, s0
	s_delay_alu instid0(SALU_CYCLE_1)
	s_mul_i32 s13, s0, s3
	s_add_i32 s14, s0, 1
	s_sub_i32 s13, s15, s13
	v_ashrrev_i32_e32 v20, 4, v3
	s_sub_i32 s17, s13, s3
	s_cmp_ge_u32 s13, s3
	s_cselect_b32 s0, s14, s0
	s_cselect_b32 s13, s17, s13
	s_add_i32 s14, s0, 1
	s_cmp_ge_u32 s13, s3
	s_cselect_b32 s13, s14, s0
	s_add_i32 s18, s3, s15
	s_mul_i32 s0, s13, s16
	s_ashr_i32 s17, s16, 31
	s_ashr_i32 s14, s0, 31
	v_add_nc_u32_e32 v5, s0, v1
	s_lshr_b32 s14, s14, 28
	s_delay_alu instid0(SALU_CYCLE_1)
	s_add_i32 s14, s0, s14
	s_lshr_b32 s0, s15, 4
	s_ashr_i32 s14, s14, 4
	v_ashrrev_i32_e32 v6, 31, v5
	v_add_nc_u32_e32 v3, s14, v20
	s_mul_i32 s0, s0, s16
	s_mov_b32 s14, 0x30003
	s_delay_alu instid0(VALU_DEP_1) | instskip(NEXT) | instid1(VALU_DEP_1)
	v_ashrrev_i32_e32 v4, 31, v3
	v_lshlrev_b64 v[3:4], 2, v[3:4]
	s_delay_alu instid0(VALU_DEP_1) | instskip(NEXT) | instid1(VALU_DEP_2)
	v_add_co_u32 v3, vcc_lo, s6, v3
	v_add_co_ci_u32_e32 v4, vcc_lo, s7, v4, vcc_lo
	global_load_b32 v21, v[3:4], off
	v_lshlrev_b64 v[3:4], 1, v[5:6]
	v_lshlrev_b64 v[5:6], 2, v[1:2]
	v_cndmask_b32_e64 v2, 0, 1, s1
	s_ashr_i32 s1, s0, 31
	s_delay_alu instid0(SALU_CYCLE_1) | instskip(NEXT) | instid1(VALU_DEP_3)
	s_lshl_b64 s[0:1], s[0:1], 2
	v_add_co_u32 v3, vcc_lo, s8, v3
	v_add_co_ci_u32_e32 v4, vcc_lo, s9, v4, vcc_lo
	s_add_u32 s4, s4, s0
	s_addc_u32 s5, s5, s1
	v_add_co_u32 v5, vcc_lo, s4, v5
	global_load_b64 v[3:4], v[3:4], off
	v_add_co_ci_u32_e32 v6, vcc_lo, s5, v6, vcc_lo
	v_add_co_u32 v5, vcc_lo, v5, 8
	s_lshl_b64 s[0:1], s[16:17], 2
	s_delay_alu instid0(VALU_DEP_2)
	v_add_co_ci_u32_e32 v6, vcc_lo, 0, v6, vcc_lo
	s_mov_b32 s4, 0xc000c
	s_mov_b32 s5, 0x300030
	;; [unrolled: 1-line block ×3, first 2 shown]
	s_waitcnt vmcnt(1)
	v_lshrrev_b32_e32 v25, v22, v21
	v_bfe_u32 v22, v21, v0, 2
	v_mov_b32_e32 v21, 0
	s_delay_alu instid0(VALU_DEP_3)
	v_bfe_u32 v23, v25, 2, 2
	v_bfe_u32 v24, v25, 4, 2
	;; [unrolled: 1-line block ×3, first 2 shown]
	s_branch .LBB39_20
.LBB39_19:                              ;   in Loop: Header=BB39_20 Depth=1
	v_add_nc_u32_e32 v26, v22, v2
	v_mov_b32_e32 v66, s2
	s_add_i32 s19, s2, 0x400
	s_add_i32 s15, s15, 16
	s_delay_alu instid0(VALU_DEP_2) | instskip(SKIP_1) | instid1(VALU_DEP_1)
	v_or_b32_e32 v30, 0xffffe400, v26
	v_cvt_f32_i32_e32 v26, v26
	v_cvt_f16_f32_e32 v26, v26
	s_delay_alu instid0(VALU_DEP_1) | instskip(SKIP_3) | instid1(VALU_DEP_1)
	v_sub_f16_e32 v31, 0xdc00, v26
	v_sub_f16_e32 v32, 0xd400, v26
	;; [unrolled: 1-line block ×3, first 2 shown]
	v_add_nc_u32_e32 v26, v23, v2
	v_or_b32_e32 v34, 0xffffe400, v26
	v_cvt_f32_i32_e32 v26, v26
	s_delay_alu instid0(VALU_DEP_1) | instskip(NEXT) | instid1(VALU_DEP_1)
	v_cvt_f16_f32_e32 v26, v26
	v_sub_f16_e32 v35, 0xdc00, v26
	v_sub_f16_e32 v36, 0xd400, v26
	;; [unrolled: 1-line block ×3, first 2 shown]
	v_add_nc_u32_e32 v26, v24, v2
	s_delay_alu instid0(VALU_DEP_1) | instskip(SKIP_1) | instid1(VALU_DEP_1)
	v_or_b32_e32 v38, 0xffffe400, v26
	v_cvt_f32_i32_e32 v26, v26
	v_cvt_f16_f32_e32 v26, v26
	s_delay_alu instid0(VALU_DEP_1) | instskip(SKIP_3) | instid1(VALU_DEP_1)
	v_sub_f16_e32 v39, 0xdc00, v26
	v_sub_f16_e32 v40, 0xd400, v26
	;; [unrolled: 1-line block ×3, first 2 shown]
	v_add_nc_u32_e32 v26, v25, v2
	v_or_b32_e32 v58, 0xffffe400, v26
	v_cvt_f32_i32_e32 v26, v26
	s_delay_alu instid0(VALU_DEP_1) | instskip(NEXT) | instid1(VALU_DEP_1)
	v_cvt_f16_f32_e32 v26, v26
	v_sub_f16_e32 v59, 0xdc00, v26
	v_sub_f16_e32 v60, 0xd400, v26
	;; [unrolled: 1-line block ×3, first 2 shown]
	global_load_b128 v[26:29], v[5:6], off offset:-8
	v_add_co_u32 v5, vcc_lo, v5, s0
	v_add_co_ci_u32_e32 v6, vcc_lo, s1, v6, vcc_lo
	s_waitcnt vmcnt(0)
	v_and_or_b32 v42, v26, s14, 0x64006400
	v_and_or_b32 v43, v26, s4, 0x64006400
	;; [unrolled: 1-line block ×4, first 2 shown]
	v_lshrrev_b32_e32 v26, 8, v26
	v_pk_add_f16 v57, v30, v42 op_sel_hi:[0,1]
	v_pk_fma_f16 v56, 0x3400, v43, v31 op_sel_hi:[0,1,0]
	v_pk_fma_f16 v55, 0x2c00, v44, v32 op_sel_hi:[0,1,0]
	;; [unrolled: 1-line block ×3, first 2 shown]
	v_and_or_b32 v46, v26, s14, 0x64006400
	v_and_or_b32 v47, v26, s4, 0x64006400
	;; [unrolled: 1-line block ×4, first 2 shown]
	s_delay_alu instid0(VALU_DEP_4) | instskip(NEXT) | instid1(VALU_DEP_4)
	v_pk_add_f16 v53, v30, v46 op_sel_hi:[0,1]
	v_pk_fma_f16 v52, 0x3400, v47, v31 op_sel_hi:[0,1,0]
	s_delay_alu instid0(VALU_DEP_4) | instskip(NEXT) | instid1(VALU_DEP_4)
	v_pk_fma_f16 v50, 0x2c00, v48, v32 op_sel_hi:[0,1,0]
	v_pk_fma_f16 v51, 0x2400, v26, v33 op_sel_hi:[0,1,0]
	v_and_or_b32 v26, v27, s14, 0x64006400
	v_and_or_b32 v30, v27, s4, 0x64006400
	;; [unrolled: 1-line block ×4, first 2 shown]
	v_lshrrev_b32_e32 v27, 8, v27
	v_pk_add_f16 v42, v34, v26 op_sel_hi:[0,1]
	v_pk_fma_f16 v43, 0x3400, v30, v35 op_sel_hi:[0,1,0]
	v_pk_fma_f16 v44, 0x2c00, v31, v36 op_sel_hi:[0,1,0]
	v_and_or_b32 v26, v28, s14, 0x64006400
	v_and_or_b32 v33, v27, s14, 0x64006400
	;; [unrolled: 1-line block ×7, first 2 shown]
	v_pk_fma_f16 v45, 0x2400, v32, v37 op_sel_hi:[0,1,0]
	v_pk_add_f16 v46, v34, v33 op_sel_hi:[0,1]
	v_pk_fma_f16 v49, 0x2400, v27, v37 op_sel_hi:[0,1,0]
	v_and_or_b32 v27, v28, s4, 0x64006400
	v_lshrrev_b32_e32 v28, 8, v28
	v_pk_fma_f16 v47, 0x3400, v47, v35 op_sel_hi:[0,1,0]
	v_pk_add_f16 v33, v38, v26 op_sel_hi:[0,1]
	v_pk_fma_f16 v35, 0x2c00, v30, v40 op_sel_hi:[0,1,0]
	v_pk_fma_f16 v34, 0x3400, v27, v39 op_sel_hi:[0,1,0]
	v_and_or_b32 v32, v28, s14, 0x64006400
	v_and_or_b32 v62, v28, s4, 0x64006400
	;; [unrolled: 1-line block ×5, first 2 shown]
	v_pk_add_f16 v37, v38, v32 op_sel_hi:[0,1]
	v_pk_fma_f16 v38, 0x3400, v62, v39 op_sel_hi:[0,1,0]
	v_pk_fma_f16 v39, 0x2c00, v63, v40 op_sel_hi:[0,1,0]
	;; [unrolled: 1-line block ×3, first 2 shown]
	v_and_or_b32 v27, v29, s4, 0x64006400
	v_and_or_b32 v28, v29, s5, 0x64006400
	;; [unrolled: 1-line block ×3, first 2 shown]
	v_lshrrev_b32_e32 v29, 8, v29
	v_pk_fma_f16 v48, 0x2c00, v48, v36 op_sel_hi:[0,1,0]
	v_pk_fma_f16 v36, 0x2400, v31, v41 op_sel_hi:[0,1,0]
	v_pk_add_f16 v41, v58, v26 op_sel_hi:[0,1]
	v_pk_fma_f16 v32, 0x3400, v27, v59 op_sel_hi:[0,1,0]
	v_and_or_b32 v62, v29, s14, 0x64006400
	v_and_or_b32 v63, v29, s4, 0x64006400
	;; [unrolled: 1-line block ×4, first 2 shown]
	v_pk_fma_f16 v31, 0x2c00, v28, v60 op_sel_hi:[0,1,0]
	v_pk_add_f16 v29, v58, v62 op_sel_hi:[0,1]
	v_pk_fma_f16 v28, 0x3400, v63, v59 op_sel_hi:[0,1,0]
	ds_load_2addr_b32 v[58:59], v66 offset1:1
	v_pk_fma_f16 v27, 0x2c00, v64, v60 op_sel_hi:[0,1,0]
	v_pk_fma_f16 v30, 0x2400, v30, v61 op_sel_hi:[0,1,0]
	;; [unrolled: 1-line block ×3, first 2 shown]
	s_waitcnt lgkmcnt(0)
	v_pk_fma_f16 v60, v57, v58, 0
	v_pk_fma_f16 v68, v42, v58, 0
	s_delay_alu instid0(VALU_DEP_2) | instskip(SKIP_4) | instid1(VALU_DEP_2)
	v_pk_fma_f16 v62, v56, v59, v60
	ds_load_2addr_b32 v[60:61], v66 offset0:2 offset1:3
	v_pk_fma_f16 v68, v43, v59, v68
	s_waitcnt lgkmcnt(0)
	v_pk_fma_f16 v62, v55, v60, v62
	v_pk_fma_f16 v68, v44, v60, v68
	s_delay_alu instid0(VALU_DEP_2) | instskip(SKIP_4) | instid1(VALU_DEP_2)
	v_pk_fma_f16 v64, v54, v61, v62
	ds_load_2addr_b32 v[62:63], v66 offset0:4 offset1:5
	v_pk_fma_f16 v68, v45, v61, v68
	s_waitcnt lgkmcnt(0)
	v_pk_fma_f16 v64, v53, v62, v64
	v_pk_fma_f16 v68, v46, v62, v68
	s_delay_alu instid0(VALU_DEP_2) | instskip(SKIP_4) | instid1(VALU_DEP_2)
	v_pk_fma_f16 v67, v52, v63, v64
	ds_load_2addr_b32 v[64:65], v66 offset0:6 offset1:7
	v_pk_fma_f16 v68, v47, v63, v68
	s_waitcnt lgkmcnt(0)
	v_pk_fma_f16 v67, v50, v64, v67
	v_pk_fma_f16 v68, v48, v64, v68
	s_delay_alu instid0(VALU_DEP_2) | instskip(NEXT) | instid1(VALU_DEP_2)
	v_pk_fma_f16 v67, v51, v65, v67
	v_pk_fma_f16 v68, v49, v65, v68
	s_delay_alu instid0(VALU_DEP_1) | instskip(SKIP_1) | instid1(VALU_DEP_1)
	v_pack_b32_f16 v69, v67, v68
	v_perm_b32 v67, v68, v67, 0x7060302
	v_pk_add_f16 v67, v69, v67
	s_delay_alu instid0(VALU_DEP_1) | instskip(SKIP_2) | instid1(VALU_DEP_2)
	v_pk_fma_f16 v21, v67, v3, v21
	v_pk_fma_f16 v67, v33, v58, 0
	v_pk_fma_f16 v58, v41, v58, 0
	v_pk_fma_f16 v67, v34, v59, v67
	s_delay_alu instid0(VALU_DEP_2) | instskip(NEXT) | instid1(VALU_DEP_2)
	v_pk_fma_f16 v58, v32, v59, v58
	v_pk_fma_f16 v67, v35, v60, v67
	s_delay_alu instid0(VALU_DEP_2) | instskip(NEXT) | instid1(VALU_DEP_2)
	v_pk_fma_f16 v58, v31, v60, v58
	v_pk_fma_f16 v67, v36, v61, v67
	s_delay_alu instid0(VALU_DEP_2) | instskip(NEXT) | instid1(VALU_DEP_2)
	v_pk_fma_f16 v58, v30, v61, v58
	v_pk_fma_f16 v67, v37, v62, v67
	s_delay_alu instid0(VALU_DEP_2) | instskip(NEXT) | instid1(VALU_DEP_2)
	v_pk_fma_f16 v58, v29, v62, v58
	v_pk_fma_f16 v67, v38, v63, v67
	s_delay_alu instid0(VALU_DEP_2) | instskip(NEXT) | instid1(VALU_DEP_2)
	v_pk_fma_f16 v58, v28, v63, v58
	v_pk_fma_f16 v67, v39, v64, v67
	s_delay_alu instid0(VALU_DEP_2) | instskip(NEXT) | instid1(VALU_DEP_2)
	v_pk_fma_f16 v58, v27, v64, v58
	v_pk_fma_f16 v67, v40, v65, v67
	s_delay_alu instid0(VALU_DEP_2) | instskip(NEXT) | instid1(VALU_DEP_1)
	v_pk_fma_f16 v58, v26, v65, v58
	v_pack_b32_f16 v59, v67, v58
	v_perm_b32 v58, v58, v67, 0x7060302
	s_delay_alu instid0(VALU_DEP_1) | instskip(NEXT) | instid1(VALU_DEP_1)
	v_pk_add_f16 v58, v59, v58
	v_pk_fma_f16 v19, v58, v4, v19
	ds_load_2addr_b32 v[58:59], v66 offset0:64 offset1:65
	s_waitcnt lgkmcnt(0)
	v_pk_fma_f16 v60, v57, v58, 0
	v_pk_fma_f16 v68, v42, v58, 0
	s_delay_alu instid0(VALU_DEP_2) | instskip(SKIP_4) | instid1(VALU_DEP_2)
	v_pk_fma_f16 v62, v56, v59, v60
	ds_load_2addr_b32 v[60:61], v66 offset0:66 offset1:67
	v_pk_fma_f16 v68, v43, v59, v68
	s_waitcnt lgkmcnt(0)
	v_pk_fma_f16 v62, v55, v60, v62
	v_pk_fma_f16 v68, v44, v60, v68
	s_delay_alu instid0(VALU_DEP_2) | instskip(SKIP_4) | instid1(VALU_DEP_2)
	v_pk_fma_f16 v64, v54, v61, v62
	ds_load_2addr_b32 v[62:63], v66 offset0:68 offset1:69
	v_pk_fma_f16 v68, v45, v61, v68
	s_waitcnt lgkmcnt(0)
	v_pk_fma_f16 v64, v53, v62, v64
	v_pk_fma_f16 v68, v46, v62, v68
	s_delay_alu instid0(VALU_DEP_2) | instskip(SKIP_4) | instid1(VALU_DEP_2)
	v_pk_fma_f16 v67, v52, v63, v64
	ds_load_2addr_b32 v[64:65], v66 offset0:70 offset1:71
	v_pk_fma_f16 v68, v47, v63, v68
	s_waitcnt lgkmcnt(0)
	v_pk_fma_f16 v67, v50, v64, v67
	v_pk_fma_f16 v68, v48, v64, v68
	s_delay_alu instid0(VALU_DEP_2) | instskip(NEXT) | instid1(VALU_DEP_2)
	v_pk_fma_f16 v67, v51, v65, v67
	v_pk_fma_f16 v68, v49, v65, v68
	s_delay_alu instid0(VALU_DEP_1) | instskip(SKIP_1) | instid1(VALU_DEP_1)
	v_pack_b32_f16 v69, v67, v68
	v_perm_b32 v67, v68, v67, 0x7060302
	v_pk_add_f16 v67, v69, v67
	s_delay_alu instid0(VALU_DEP_1) | instskip(SKIP_2) | instid1(VALU_DEP_2)
	v_pk_fma_f16 v18, v67, v3, v18
	v_pk_fma_f16 v67, v33, v58, 0
	v_pk_fma_f16 v58, v41, v58, 0
	v_pk_fma_f16 v67, v34, v59, v67
	s_delay_alu instid0(VALU_DEP_2) | instskip(NEXT) | instid1(VALU_DEP_2)
	v_pk_fma_f16 v58, v32, v59, v58
	v_pk_fma_f16 v67, v35, v60, v67
	s_delay_alu instid0(VALU_DEP_2) | instskip(NEXT) | instid1(VALU_DEP_2)
	v_pk_fma_f16 v58, v31, v60, v58
	v_pk_fma_f16 v67, v36, v61, v67
	s_delay_alu instid0(VALU_DEP_2) | instskip(NEXT) | instid1(VALU_DEP_2)
	v_pk_fma_f16 v58, v30, v61, v58
	v_pk_fma_f16 v67, v37, v62, v67
	s_delay_alu instid0(VALU_DEP_2) | instskip(NEXT) | instid1(VALU_DEP_2)
	v_pk_fma_f16 v58, v29, v62, v58
	v_pk_fma_f16 v67, v38, v63, v67
	s_delay_alu instid0(VALU_DEP_2) | instskip(NEXT) | instid1(VALU_DEP_2)
	v_pk_fma_f16 v58, v28, v63, v58
	v_pk_fma_f16 v67, v39, v64, v67
	s_delay_alu instid0(VALU_DEP_2) | instskip(NEXT) | instid1(VALU_DEP_2)
	v_pk_fma_f16 v58, v27, v64, v58
	v_pk_fma_f16 v67, v40, v65, v67
	s_delay_alu instid0(VALU_DEP_2) | instskip(NEXT) | instid1(VALU_DEP_1)
	v_pk_fma_f16 v58, v26, v65, v58
	v_pack_b32_f16 v59, v67, v58
	v_perm_b32 v58, v58, v67, 0x7060302
	s_delay_alu instid0(VALU_DEP_1) | instskip(NEXT) | instid1(VALU_DEP_1)
	v_pk_add_f16 v58, v59, v58
	v_pk_fma_f16 v17, v58, v4, v17
	ds_load_2addr_b32 v[58:59], v66 offset0:128 offset1:129
	s_waitcnt lgkmcnt(0)
	v_pk_fma_f16 v60, v57, v58, 0
	v_pk_fma_f16 v68, v42, v58, 0
	s_delay_alu instid0(VALU_DEP_2) | instskip(SKIP_4) | instid1(VALU_DEP_2)
	v_pk_fma_f16 v62, v56, v59, v60
	ds_load_2addr_b32 v[60:61], v66 offset0:130 offset1:131
	v_pk_fma_f16 v68, v43, v59, v68
	s_waitcnt lgkmcnt(0)
	v_pk_fma_f16 v62, v55, v60, v62
	v_pk_fma_f16 v68, v44, v60, v68
	s_delay_alu instid0(VALU_DEP_2) | instskip(SKIP_4) | instid1(VALU_DEP_2)
	v_pk_fma_f16 v64, v54, v61, v62
	ds_load_2addr_b32 v[62:63], v66 offset0:132 offset1:133
	v_pk_fma_f16 v68, v45, v61, v68
	s_waitcnt lgkmcnt(0)
	v_pk_fma_f16 v64, v53, v62, v64
	v_pk_fma_f16 v68, v46, v62, v68
	s_delay_alu instid0(VALU_DEP_2) | instskip(SKIP_4) | instid1(VALU_DEP_2)
	v_pk_fma_f16 v67, v52, v63, v64
	ds_load_2addr_b32 v[64:65], v66 offset0:134 offset1:135
	v_pk_fma_f16 v68, v47, v63, v68
	s_waitcnt lgkmcnt(0)
	v_pk_fma_f16 v67, v50, v64, v67
	v_pk_fma_f16 v68, v48, v64, v68
	s_delay_alu instid0(VALU_DEP_2) | instskip(NEXT) | instid1(VALU_DEP_2)
	v_pk_fma_f16 v67, v51, v65, v67
	v_pk_fma_f16 v68, v49, v65, v68
	s_delay_alu instid0(VALU_DEP_1) | instskip(SKIP_1) | instid1(VALU_DEP_1)
	v_pack_b32_f16 v69, v67, v68
	v_perm_b32 v67, v68, v67, 0x7060302
	v_pk_add_f16 v67, v69, v67
	s_delay_alu instid0(VALU_DEP_1) | instskip(SKIP_2) | instid1(VALU_DEP_2)
	v_pk_fma_f16 v16, v67, v3, v16
	v_pk_fma_f16 v67, v33, v58, 0
	v_pk_fma_f16 v58, v41, v58, 0
	v_pk_fma_f16 v67, v34, v59, v67
	s_delay_alu instid0(VALU_DEP_2) | instskip(NEXT) | instid1(VALU_DEP_2)
	v_pk_fma_f16 v58, v32, v59, v58
	v_pk_fma_f16 v67, v35, v60, v67
	s_delay_alu instid0(VALU_DEP_2) | instskip(NEXT) | instid1(VALU_DEP_2)
	v_pk_fma_f16 v58, v31, v60, v58
	v_pk_fma_f16 v67, v36, v61, v67
	s_delay_alu instid0(VALU_DEP_2) | instskip(NEXT) | instid1(VALU_DEP_2)
	v_pk_fma_f16 v58, v30, v61, v58
	v_pk_fma_f16 v67, v37, v62, v67
	s_delay_alu instid0(VALU_DEP_2) | instskip(NEXT) | instid1(VALU_DEP_2)
	v_pk_fma_f16 v58, v29, v62, v58
	v_pk_fma_f16 v67, v38, v63, v67
	s_delay_alu instid0(VALU_DEP_2) | instskip(NEXT) | instid1(VALU_DEP_2)
	v_pk_fma_f16 v58, v28, v63, v58
	v_pk_fma_f16 v67, v39, v64, v67
	s_delay_alu instid0(VALU_DEP_2) | instskip(NEXT) | instid1(VALU_DEP_2)
	v_pk_fma_f16 v58, v27, v64, v58
	v_pk_fma_f16 v67, v40, v65, v67
	s_delay_alu instid0(VALU_DEP_2) | instskip(NEXT) | instid1(VALU_DEP_1)
	v_pk_fma_f16 v58, v26, v65, v58
	v_pack_b32_f16 v59, v67, v58
	v_perm_b32 v58, v58, v67, 0x7060302
	s_delay_alu instid0(VALU_DEP_1) | instskip(NEXT) | instid1(VALU_DEP_1)
	v_pk_add_f16 v58, v59, v58
	v_pk_fma_f16 v15, v58, v4, v15
	ds_load_2addr_b32 v[58:59], v66 offset0:192 offset1:193
	s_waitcnt lgkmcnt(0)
	v_pk_fma_f16 v60, v57, v58, 0
	s_delay_alu instid0(VALU_DEP_1) | instskip(SKIP_3) | instid1(VALU_DEP_1)
	v_pk_fma_f16 v62, v56, v59, v60
	ds_load_2addr_b32 v[60:61], v66 offset0:194 offset1:195
	s_waitcnt lgkmcnt(0)
	v_pk_fma_f16 v62, v55, v60, v62
	v_pk_fma_f16 v64, v54, v61, v62
	ds_load_2addr_b32 v[62:63], v66 offset0:196 offset1:197
	s_waitcnt lgkmcnt(0)
	v_pk_fma_f16 v64, v53, v62, v64
	s_delay_alu instid0(VALU_DEP_1) | instskip(SKIP_4) | instid1(VALU_DEP_2)
	v_pk_fma_f16 v67, v52, v63, v64
	ds_load_2addr_b32 v[64:65], v66 offset0:198 offset1:199
	s_waitcnt lgkmcnt(0)
	v_pk_fma_f16 v66, v50, v64, v67
	v_pk_fma_f16 v67, v42, v58, 0
	;; [unrolled: 1-line block ×3, first 2 shown]
	s_delay_alu instid0(VALU_DEP_2) | instskip(NEXT) | instid1(VALU_DEP_1)
	v_pk_fma_f16 v67, v43, v59, v67
	v_pk_fma_f16 v67, v44, v60, v67
	s_delay_alu instid0(VALU_DEP_1) | instskip(NEXT) | instid1(VALU_DEP_1)
	v_pk_fma_f16 v67, v45, v61, v67
	v_pk_fma_f16 v67, v46, v62, v67
	s_delay_alu instid0(VALU_DEP_1) | instskip(NEXT) | instid1(VALU_DEP_1)
	;; [unrolled: 3-line block ×3, first 2 shown]
	v_pk_fma_f16 v67, v49, v65, v67
	v_pack_b32_f16 v68, v66, v67
	v_perm_b32 v66, v67, v66, 0x7060302
	s_delay_alu instid0(VALU_DEP_1) | instskip(NEXT) | instid1(VALU_DEP_1)
	v_pk_add_f16 v66, v68, v66
	v_pk_fma_f16 v14, v66, v3, v14
	v_pk_fma_f16 v66, v33, v58, 0
	;; [unrolled: 1-line block ×3, first 2 shown]
	s_delay_alu instid0(VALU_DEP_2) | instskip(NEXT) | instid1(VALU_DEP_2)
	v_pk_fma_f16 v66, v34, v59, v66
	v_pk_fma_f16 v58, v32, v59, v58
	s_delay_alu instid0(VALU_DEP_2) | instskip(NEXT) | instid1(VALU_DEP_2)
	v_pk_fma_f16 v66, v35, v60, v66
	v_pk_fma_f16 v58, v31, v60, v58
	;; [unrolled: 3-line block ×7, first 2 shown]
	s_delay_alu instid0(VALU_DEP_1) | instskip(SKIP_1) | instid1(VALU_DEP_1)
	v_pack_b32_f16 v59, v66, v58
	v_perm_b32 v58, v58, v66, 0x7060302
	v_pk_add_f16 v58, v59, v58
	s_delay_alu instid0(VALU_DEP_1)
	v_pk_fma_f16 v13, v58, v4, v13
	v_mov_b32_e32 v58, s19
	s_add_i32 s19, s2, 0x408
	ds_load_2addr_b32 v[58:59], v58 offset1:1
	s_waitcnt lgkmcnt(0)
	v_pk_fma_f16 v60, v57, v58, 0
	v_pk_fma_f16 v67, v42, v58, 0
	s_delay_alu instid0(VALU_DEP_2) | instskip(SKIP_2) | instid1(VALU_DEP_3)
	v_pk_fma_f16 v62, v56, v59, v60
	v_mov_b32_e32 v60, s19
	s_add_i32 s19, s2, 0x410
	v_pk_fma_f16 v67, v43, v59, v67
	ds_load_2addr_b32 v[60:61], v60 offset1:1
	s_waitcnt lgkmcnt(0)
	v_pk_fma_f16 v62, v55, v60, v62
	v_pk_fma_f16 v67, v44, v60, v67
	s_delay_alu instid0(VALU_DEP_2) | instskip(SKIP_2) | instid1(VALU_DEP_3)
	v_pk_fma_f16 v64, v54, v61, v62
	v_mov_b32_e32 v62, s19
	s_add_i32 s19, s2, 0x418
	v_pk_fma_f16 v67, v45, v61, v67
	ds_load_2addr_b32 v[62:63], v62 offset1:1
	s_waitcnt lgkmcnt(0)
	v_pk_fma_f16 v64, v53, v62, v64
	v_pk_fma_f16 v67, v46, v62, v67
	s_delay_alu instid0(VALU_DEP_2) | instskip(SKIP_1) | instid1(VALU_DEP_3)
	v_pk_fma_f16 v66, v52, v63, v64
	v_mov_b32_e32 v64, s19
	v_pk_fma_f16 v67, v47, v63, v67
	s_add_i32 s19, s2, 0x500
	ds_load_2addr_b32 v[64:65], v64 offset1:1
	s_waitcnt lgkmcnt(0)
	v_pk_fma_f16 v66, v50, v64, v66
	v_pk_fma_f16 v67, v48, v64, v67
	s_delay_alu instid0(VALU_DEP_2) | instskip(NEXT) | instid1(VALU_DEP_2)
	v_pk_fma_f16 v66, v51, v65, v66
	v_pk_fma_f16 v67, v49, v65, v67
	s_delay_alu instid0(VALU_DEP_1) | instskip(SKIP_1) | instid1(VALU_DEP_1)
	v_pack_b32_f16 v68, v66, v67
	v_perm_b32 v66, v67, v66, 0x7060302
	v_pk_add_f16 v66, v68, v66
	s_delay_alu instid0(VALU_DEP_1) | instskip(SKIP_2) | instid1(VALU_DEP_2)
	v_pk_fma_f16 v12, v66, v3, v12
	v_pk_fma_f16 v66, v33, v58, 0
	v_pk_fma_f16 v58, v41, v58, 0
	v_pk_fma_f16 v66, v34, v59, v66
	s_delay_alu instid0(VALU_DEP_2) | instskip(NEXT) | instid1(VALU_DEP_2)
	v_pk_fma_f16 v58, v32, v59, v58
	v_pk_fma_f16 v66, v35, v60, v66
	s_delay_alu instid0(VALU_DEP_2) | instskip(NEXT) | instid1(VALU_DEP_2)
	v_pk_fma_f16 v58, v31, v60, v58
	v_pk_fma_f16 v66, v36, v61, v66
	;; [unrolled: 3-line block ×6, first 2 shown]
	s_delay_alu instid0(VALU_DEP_2) | instskip(NEXT) | instid1(VALU_DEP_1)
	v_pk_fma_f16 v58, v26, v65, v58
	v_pack_b32_f16 v59, v66, v58
	v_perm_b32 v58, v58, v66, 0x7060302
	s_delay_alu instid0(VALU_DEP_1) | instskip(NEXT) | instid1(VALU_DEP_1)
	v_pk_add_f16 v58, v59, v58
	v_pk_fma_f16 v11, v58, v4, v11
	v_mov_b32_e32 v58, s19
	s_add_i32 s19, s2, 0x508
	ds_load_2addr_b32 v[58:59], v58 offset1:1
	s_waitcnt lgkmcnt(0)
	v_pk_fma_f16 v60, v57, v58, 0
	v_pk_fma_f16 v67, v42, v58, 0
	s_delay_alu instid0(VALU_DEP_2) | instskip(SKIP_2) | instid1(VALU_DEP_3)
	v_pk_fma_f16 v62, v56, v59, v60
	v_mov_b32_e32 v60, s19
	s_add_i32 s19, s2, 0x510
	v_pk_fma_f16 v67, v43, v59, v67
	ds_load_2addr_b32 v[60:61], v60 offset1:1
	s_waitcnt lgkmcnt(0)
	v_pk_fma_f16 v62, v55, v60, v62
	v_pk_fma_f16 v67, v44, v60, v67
	s_delay_alu instid0(VALU_DEP_2) | instskip(SKIP_2) | instid1(VALU_DEP_3)
	v_pk_fma_f16 v64, v54, v61, v62
	v_mov_b32_e32 v62, s19
	s_add_i32 s19, s2, 0x518
	v_pk_fma_f16 v67, v45, v61, v67
	ds_load_2addr_b32 v[62:63], v62 offset1:1
	s_waitcnt lgkmcnt(0)
	v_pk_fma_f16 v64, v53, v62, v64
	v_pk_fma_f16 v67, v46, v62, v67
	s_delay_alu instid0(VALU_DEP_2) | instskip(SKIP_1) | instid1(VALU_DEP_3)
	v_pk_fma_f16 v66, v52, v63, v64
	v_mov_b32_e32 v64, s19
	v_pk_fma_f16 v67, v47, v63, v67
	s_add_i32 s19, s2, 0x600
	ds_load_2addr_b32 v[64:65], v64 offset1:1
	s_waitcnt lgkmcnt(0)
	v_pk_fma_f16 v66, v50, v64, v66
	v_pk_fma_f16 v67, v48, v64, v67
	s_delay_alu instid0(VALU_DEP_2) | instskip(NEXT) | instid1(VALU_DEP_2)
	v_pk_fma_f16 v66, v51, v65, v66
	v_pk_fma_f16 v67, v49, v65, v67
	s_delay_alu instid0(VALU_DEP_1) | instskip(SKIP_1) | instid1(VALU_DEP_1)
	v_pack_b32_f16 v68, v66, v67
	v_perm_b32 v66, v67, v66, 0x7060302
	v_pk_add_f16 v66, v68, v66
	s_delay_alu instid0(VALU_DEP_1) | instskip(SKIP_2) | instid1(VALU_DEP_2)
	v_pk_fma_f16 v10, v66, v3, v10
	v_pk_fma_f16 v66, v33, v58, 0
	;; [unrolled: 1-line block ×4, first 2 shown]
	s_delay_alu instid0(VALU_DEP_2) | instskip(NEXT) | instid1(VALU_DEP_2)
	v_pk_fma_f16 v58, v32, v59, v58
	v_pk_fma_f16 v66, v35, v60, v66
	s_delay_alu instid0(VALU_DEP_2) | instskip(NEXT) | instid1(VALU_DEP_2)
	v_pk_fma_f16 v58, v31, v60, v58
	v_pk_fma_f16 v66, v36, v61, v66
	;; [unrolled: 3-line block ×6, first 2 shown]
	s_delay_alu instid0(VALU_DEP_2) | instskip(NEXT) | instid1(VALU_DEP_1)
	v_pk_fma_f16 v58, v26, v65, v58
	v_pack_b32_f16 v59, v66, v58
	v_perm_b32 v58, v58, v66, 0x7060302
	s_delay_alu instid0(VALU_DEP_1) | instskip(NEXT) | instid1(VALU_DEP_1)
	v_pk_add_f16 v58, v59, v58
	v_pk_fma_f16 v9, v58, v4, v9
	v_mov_b32_e32 v58, s19
	s_add_i32 s19, s2, 0x608
	ds_load_2addr_b32 v[58:59], v58 offset1:1
	s_waitcnt lgkmcnt(0)
	v_pk_fma_f16 v57, v57, v58, 0
	v_pk_fma_f16 v33, v33, v58, 0
	v_pk_fma_f16 v42, v42, v58, 0
	s_delay_alu instid0(VALU_DEP_3)
	v_pk_fma_f16 v60, v56, v59, v57
	v_mov_b32_e32 v56, s19
	s_add_i32 s19, s2, 0x610
	v_pk_fma_f16 v33, v34, v59, v33
	v_pk_fma_f16 v34, v41, v58, 0
	;; [unrolled: 1-line block ×3, first 2 shown]
	ds_load_2addr_b32 v[56:57], v56 offset1:1
	v_pk_fma_f16 v32, v32, v59, v34
	s_waitcnt lgkmcnt(0)
	v_pk_fma_f16 v55, v55, v56, v60
	v_pk_fma_f16 v42, v44, v56, v42
	;; [unrolled: 1-line block ×4, first 2 shown]
	s_delay_alu instid0(VALU_DEP_4)
	v_pk_fma_f16 v60, v54, v57, v55
	v_mov_b32_e32 v54, s19
	s_add_i32 s19, s2, 0x618
	v_pk_fma_f16 v42, v45, v57, v42
	v_pk_fma_f16 v33, v36, v57, v33
	v_pk_fma_f16 v30, v30, v57, v31
	ds_load_2addr_b32 v[54:55], v54 offset1:1
	s_add_i32 s2, s2, 32
	s_cmp_ge_i32 s15, s20
	s_waitcnt lgkmcnt(0)
	v_pk_fma_f16 v53, v53, v54, v60
	v_pk_fma_f16 v42, v46, v54, v42
	;; [unrolled: 1-line block ×4, first 2 shown]
	s_delay_alu instid0(VALU_DEP_4)
	v_pk_fma_f16 v60, v52, v55, v53
	v_mov_b32_e32 v52, s19
	v_pk_fma_f16 v42, v47, v55, v42
	v_pk_fma_f16 v33, v38, v55, v33
	;; [unrolled: 1-line block ×3, first 2 shown]
	ds_load_2addr_b32 v[52:53], v52 offset1:1
	s_waitcnt lgkmcnt(0)
	v_pk_fma_f16 v50, v50, v52, v60
	v_pk_fma_f16 v42, v48, v52, v42
	;; [unrolled: 1-line block ×4, first 2 shown]
	s_delay_alu instid0(VALU_DEP_4) | instskip(NEXT) | instid1(VALU_DEP_4)
	v_pk_fma_f16 v50, v51, v53, v50
	v_pk_fma_f16 v42, v49, v53, v42
	s_delay_alu instid0(VALU_DEP_4) | instskip(NEXT) | instid1(VALU_DEP_4)
	v_pk_fma_f16 v33, v40, v53, v33
	v_pk_fma_f16 v26, v26, v53, v27
	s_delay_alu instid0(VALU_DEP_3) | instskip(SKIP_1) | instid1(VALU_DEP_3)
	v_pack_b32_f16 v43, v50, v42
	v_perm_b32 v42, v42, v50, 0x7060302
	v_pack_b32_f16 v27, v33, v26
	v_perm_b32 v26, v26, v33, 0x7060302
	s_delay_alu instid0(VALU_DEP_3) | instskip(NEXT) | instid1(VALU_DEP_2)
	v_pk_add_f16 v42, v43, v42
	v_pk_add_f16 v26, v27, v26
	s_delay_alu instid0(VALU_DEP_2) | instskip(NEXT) | instid1(VALU_DEP_2)
	v_pk_fma_f16 v8, v42, v3, v8
	v_pk_fma_f16 v7, v26, v4, v7
	s_cbranch_scc1 .LBB39_22
.LBB39_20:                              ; =>This Inner Loop Header: Depth=1
	s_cmp_lg_u32 s15, s18
	s_cbranch_scc1 .LBB39_19
; %bb.21:                               ;   in Loop: Header=BB39_20 Depth=1
	s_add_i32 s13, s13, 1
	s_add_i32 s18, s18, s3
	s_mul_i32 s19, s13, s16
	s_delay_alu instid0(SALU_CYCLE_1) | instskip(SKIP_2) | instid1(SALU_CYCLE_1)
	s_ashr_i32 s21, s19, 31
	v_add_nc_u32_e32 v22, s19, v1
	s_lshr_b32 s21, s21, 28
	s_add_i32 s21, s19, s21
	s_delay_alu instid0(VALU_DEP_1) | instskip(SKIP_3) | instid1(VALU_DEP_2)
	v_ashrrev_i32_e32 v23, 31, v22
	s_ashr_i32 s21, s21, 4
	s_waitcnt vmcnt(0)
	v_add_nc_u32_e32 v3, s21, v20
	v_lshlrev_b64 v[22:23], 1, v[22:23]
	s_delay_alu instid0(VALU_DEP_2) | instskip(NEXT) | instid1(VALU_DEP_1)
	v_ashrrev_i32_e32 v4, 31, v3
	v_lshlrev_b64 v[3:4], 2, v[3:4]
	s_delay_alu instid0(VALU_DEP_1) | instskip(NEXT) | instid1(VALU_DEP_2)
	v_add_co_u32 v3, vcc_lo, s6, v3
	v_add_co_ci_u32_e32 v4, vcc_lo, s7, v4, vcc_lo
	global_load_b32 v24, v[3:4], off
	v_add_co_u32 v3, vcc_lo, s8, v22
	v_add_co_ci_u32_e32 v4, vcc_lo, s9, v23, vcc_lo
	global_load_b64 v[3:4], v[3:4], off
	s_waitcnt vmcnt(1)
	v_lshrrev_b32_e32 v25, v0, v24
	v_bfe_u32 v22, v24, v0, 2
	s_delay_alu instid0(VALU_DEP_2)
	v_bfe_u32 v23, v25, 2, 2
	v_bfe_u32 v24, v25, 4, 2
	;; [unrolled: 1-line block ×3, first 2 shown]
	s_branch .LBB39_19
.LBB39_22:
	v_mad_u64_u32 v[2:3], null, s12, s16, v[1:2]
	s_mov_b32 s0, 0
	s_delay_alu instid0(VALU_DEP_1) | instskip(NEXT) | instid1(VALU_DEP_1)
	v_ashrrev_i32_e32 v3, 31, v2
	v_lshlrev_b64 v[0:1], 1, v[2:3]
	s_delay_alu instid0(VALU_DEP_1) | instskip(NEXT) | instid1(VALU_DEP_2)
	v_add_co_u32 v0, vcc_lo, s10, v0
	v_add_co_ci_u32_e32 v1, vcc_lo, s11, v1, vcc_lo
	global_load_b32 v4, v[0:1], off
.LBB39_23:                              ; =>This Inner Loop Header: Depth=1
	s_waitcnt vmcnt(0)
	v_pk_add_f16 v3, v21, v4
	global_atomic_cmpswap_b32 v3, v[0:1], v[3:4], off glc
	s_waitcnt vmcnt(0)
	v_cmp_eq_u32_e32 vcc_lo, v4, v3
	v_mov_b32_e32 v4, v3
	s_or_b32 s0, vcc_lo, s0
	s_delay_alu instid0(SALU_CYCLE_1)
	s_and_not1_b32 exec_lo, exec_lo, s0
	s_cbranch_execnz .LBB39_23
; %bb.24:
	s_or_b32 exec_lo, exec_lo, s0
	global_load_b32 v4, v[0:1], off offset:4
	s_mov_b32 s0, 0
.LBB39_25:                              ; =>This Inner Loop Header: Depth=1
	s_waitcnt vmcnt(0)
	v_pk_add_f16 v3, v19, v4
	global_atomic_cmpswap_b32 v3, v[0:1], v[3:4], off offset:4 glc
	s_waitcnt vmcnt(0)
	v_cmp_eq_u32_e32 vcc_lo, v4, v3
	v_mov_b32_e32 v4, v3
	s_or_b32 s0, vcc_lo, s0
	s_delay_alu instid0(SALU_CYCLE_1)
	s_and_not1_b32 exec_lo, exec_lo, s0
	s_cbranch_execnz .LBB39_25
; %bb.26:
	s_or_b32 exec_lo, exec_lo, s0
	v_add_nc_u32_e32 v0, s16, v2
	s_mov_b32 s0, 0
	s_delay_alu instid0(VALU_DEP_1) | instskip(NEXT) | instid1(VALU_DEP_1)
	v_ashrrev_i32_e32 v1, 31, v0
	v_lshlrev_b64 v[1:2], 1, v[0:1]
	s_delay_alu instid0(VALU_DEP_1) | instskip(NEXT) | instid1(VALU_DEP_2)
	v_add_co_u32 v1, vcc_lo, s10, v1
	v_add_co_ci_u32_e32 v2, vcc_lo, s11, v2, vcc_lo
	global_load_b32 v4, v[1:2], off
.LBB39_27:                              ; =>This Inner Loop Header: Depth=1
	s_waitcnt vmcnt(0)
	v_pk_add_f16 v3, v18, v4
	global_atomic_cmpswap_b32 v3, v[1:2], v[3:4], off glc
	s_waitcnt vmcnt(0)
	v_cmp_eq_u32_e32 vcc_lo, v4, v3
	v_mov_b32_e32 v4, v3
	s_or_b32 s0, vcc_lo, s0
	s_delay_alu instid0(SALU_CYCLE_1)
	s_and_not1_b32 exec_lo, exec_lo, s0
	s_cbranch_execnz .LBB39_27
; %bb.28:
	s_or_b32 exec_lo, exec_lo, s0
	global_load_b32 v4, v[1:2], off offset:4
	s_mov_b32 s0, 0
.LBB39_29:                              ; =>This Inner Loop Header: Depth=1
	s_waitcnt vmcnt(0)
	v_pk_add_f16 v3, v17, v4
	global_atomic_cmpswap_b32 v3, v[1:2], v[3:4], off offset:4 glc
	s_waitcnt vmcnt(0)
	v_cmp_eq_u32_e32 vcc_lo, v4, v3
	v_mov_b32_e32 v4, v3
	s_or_b32 s0, vcc_lo, s0
	s_delay_alu instid0(SALU_CYCLE_1)
	s_and_not1_b32 exec_lo, exec_lo, s0
	s_cbranch_execnz .LBB39_29
; %bb.30:
	s_or_b32 exec_lo, exec_lo, s0
	v_add_nc_u32_e32 v0, s16, v0
	;; [unrolled: 37-line block ×6, first 2 shown]
	s_mov_b32 s0, 0
	s_delay_alu instid0(VALU_DEP_1) | instskip(NEXT) | instid1(VALU_DEP_1)
	v_ashrrev_i32_e32 v1, 31, v0
	v_lshlrev_b64 v[0:1], 1, v[0:1]
	s_delay_alu instid0(VALU_DEP_1) | instskip(NEXT) | instid1(VALU_DEP_2)
	v_add_co_u32 v0, vcc_lo, s10, v0
	v_add_co_ci_u32_e32 v1, vcc_lo, s11, v1, vcc_lo
	global_load_b32 v3, v[0:1], off
.LBB39_47:                              ; =>This Inner Loop Header: Depth=1
	s_waitcnt vmcnt(0)
	v_pk_add_f16 v2, v8, v3
	global_atomic_cmpswap_b32 v2, v[0:1], v[2:3], off glc
	s_waitcnt vmcnt(0)
	v_cmp_eq_u32_e32 vcc_lo, v3, v2
	v_mov_b32_e32 v3, v2
	s_or_b32 s0, vcc_lo, s0
	s_delay_alu instid0(SALU_CYCLE_1)
	s_and_not1_b32 exec_lo, exec_lo, s0
	s_cbranch_execnz .LBB39_47
; %bb.48:
	s_or_b32 exec_lo, exec_lo, s0
	global_load_b32 v3, v[0:1], off offset:4
	s_mov_b32 s0, 0
.LBB39_49:                              ; =>This Inner Loop Header: Depth=1
	s_waitcnt vmcnt(0)
	v_pk_add_f16 v2, v7, v3
	global_atomic_cmpswap_b32 v2, v[0:1], v[2:3], off offset:4 glc
	s_waitcnt vmcnt(0)
	v_cmp_eq_u32_e32 vcc_lo, v3, v2
	v_mov_b32_e32 v3, v2
	s_or_b32 s0, vcc_lo, s0
	s_delay_alu instid0(SALU_CYCLE_1)
	s_and_not1_b32 exec_lo, exec_lo, s0
	s_cbranch_execnz .LBB39_49
.LBB39_50:
	s_endpgm
	.section	.rodata,"a",@progbits
	.p2align	6, 0x0
	.amdhsa_kernel _ZN4vllm4gptq33gemm_half_q_half_gptq_2bit_kernelILb1ELi7EEEvPK6__halfPKjS6_S4_PS2_iiiibPKi
		.amdhsa_group_segment_fixed_size 1792
		.amdhsa_private_segment_fixed_size 0
		.amdhsa_kernarg_size 72
		.amdhsa_user_sgpr_count 13
		.amdhsa_user_sgpr_dispatch_ptr 0
		.amdhsa_user_sgpr_queue_ptr 0
		.amdhsa_user_sgpr_kernarg_segment_ptr 1
		.amdhsa_user_sgpr_dispatch_id 0
		.amdhsa_user_sgpr_private_segment_size 0
		.amdhsa_wavefront_size32 1
		.amdhsa_uses_dynamic_stack 0
		.amdhsa_enable_private_segment 0
		.amdhsa_system_sgpr_workgroup_id_x 1
		.amdhsa_system_sgpr_workgroup_id_y 1
		.amdhsa_system_sgpr_workgroup_id_z 1
		.amdhsa_system_sgpr_workgroup_info 0
		.amdhsa_system_vgpr_workitem_id 0
		.amdhsa_next_free_vgpr 70
		.amdhsa_next_free_sgpr 24
		.amdhsa_reserve_vcc 1
		.amdhsa_float_round_mode_32 0
		.amdhsa_float_round_mode_16_64 0
		.amdhsa_float_denorm_mode_32 3
		.amdhsa_float_denorm_mode_16_64 3
		.amdhsa_dx10_clamp 1
		.amdhsa_ieee_mode 1
		.amdhsa_fp16_overflow 0
		.amdhsa_workgroup_processor_mode 1
		.amdhsa_memory_ordered 1
		.amdhsa_forward_progress 0
		.amdhsa_shared_vgpr_count 0
		.amdhsa_exception_fp_ieee_invalid_op 0
		.amdhsa_exception_fp_denorm_src 0
		.amdhsa_exception_fp_ieee_div_zero 0
		.amdhsa_exception_fp_ieee_overflow 0
		.amdhsa_exception_fp_ieee_underflow 0
		.amdhsa_exception_fp_ieee_inexact 0
		.amdhsa_exception_int_div_zero 0
	.end_amdhsa_kernel
	.section	.text._ZN4vllm4gptq33gemm_half_q_half_gptq_2bit_kernelILb1ELi7EEEvPK6__halfPKjS6_S4_PS2_iiiibPKi,"axG",@progbits,_ZN4vllm4gptq33gemm_half_q_half_gptq_2bit_kernelILb1ELi7EEEvPK6__halfPKjS6_S4_PS2_iiiibPKi,comdat
.Lfunc_end39:
	.size	_ZN4vllm4gptq33gemm_half_q_half_gptq_2bit_kernelILb1ELi7EEEvPK6__halfPKjS6_S4_PS2_iiiibPKi, .Lfunc_end39-_ZN4vllm4gptq33gemm_half_q_half_gptq_2bit_kernelILb1ELi7EEEvPK6__halfPKjS6_S4_PS2_iiiibPKi
                                        ; -- End function
	.section	.AMDGPU.csdata,"",@progbits
; Kernel info:
; codeLenInByte = 7048
; NumSgprs: 26
; NumVgprs: 70
; ScratchSize: 0
; MemoryBound: 0
; FloatMode: 240
; IeeeMode: 1
; LDSByteSize: 1792 bytes/workgroup (compile time only)
; SGPRBlocks: 3
; VGPRBlocks: 8
; NumSGPRsForWavesPerEU: 26
; NumVGPRsForWavesPerEU: 70
; Occupancy: 16
; WaveLimiterHint : 0
; COMPUTE_PGM_RSRC2:SCRATCH_EN: 0
; COMPUTE_PGM_RSRC2:USER_SGPR: 13
; COMPUTE_PGM_RSRC2:TRAP_HANDLER: 0
; COMPUTE_PGM_RSRC2:TGID_X_EN: 1
; COMPUTE_PGM_RSRC2:TGID_Y_EN: 1
; COMPUTE_PGM_RSRC2:TGID_Z_EN: 1
; COMPUTE_PGM_RSRC2:TIDIG_COMP_CNT: 0
	.section	.text._ZN4vllm4gptq33gemm_half_q_half_gptq_3bit_kernelILb1ELi7EEEvPK6__halfPKjS6_S4_PS2_iiiibPKi,"axG",@progbits,_ZN4vllm4gptq33gemm_half_q_half_gptq_3bit_kernelILb1ELi7EEEvPK6__halfPKjS6_S4_PS2_iiiibPKi,comdat
	.protected	_ZN4vllm4gptq33gemm_half_q_half_gptq_3bit_kernelILb1ELi7EEEvPK6__halfPKjS6_S4_PS2_iiiibPKi ; -- Begin function _ZN4vllm4gptq33gemm_half_q_half_gptq_3bit_kernelILb1ELi7EEEvPK6__halfPKjS6_S4_PS2_iiiibPKi
	.globl	_ZN4vllm4gptq33gemm_half_q_half_gptq_3bit_kernelILb1ELi7EEEvPK6__halfPKjS6_S4_PS2_iiiibPKi
	.p2align	8
	.type	_ZN4vllm4gptq33gemm_half_q_half_gptq_3bit_kernelILb1ELi7EEEvPK6__halfPKjS6_S4_PS2_iiiibPKi,@function
_ZN4vllm4gptq33gemm_half_q_half_gptq_3bit_kernelILb1ELi7EEEvPK6__halfPKjS6_S4_PS2_iiiibPKi: ; @_ZN4vllm4gptq33gemm_half_q_half_gptq_3bit_kernelILb1ELi7EEEvPK6__halfPKjS6_S4_PS2_iiiibPKi
; %bb.0:
	s_load_b128 s[16:19], s[0:1], 0x2c
	s_lshl_b32 s15, s15, 7
	s_load_b256 s[4:11], s[0:1], 0x8
	s_add_i32 s2, s15, 0x80
	s_mul_i32 s12, s14, 7
	v_cvt_f64_u32_e32 v[1:2], s2
	s_mov_b32 s14, exec_lo
	s_waitcnt lgkmcnt(0)
	v_cvt_f64_i32_e32 v[3:4], s17
	s_delay_alu instid0(VALU_DEP_1) | instskip(NEXT) | instid1(VALU_DEP_1)
	v_min_f64 v[1:2], v[1:2], v[3:4]
	v_cvt_i32_f64_e32 v2, v[1:2]
	v_add_nc_u32_e32 v1, s15, v0
	s_delay_alu instid0(VALU_DEP_2) | instskip(NEXT) | instid1(VALU_DEP_2)
	v_readfirstlane_b32 s20, v2
	v_cmpx_lt_u32_e64 v1, v2
	s_cbranch_execz .LBB40_16
; %bb.1:
	s_clause 0x1
	s_load_b64 s[2:3], s[0:1], 0x40
	s_load_b64 s[0:1], s[0:1], 0x0
	v_mov_b32_e32 v2, 0
	s_delay_alu instid0(VALU_DEP_1) | instskip(SKIP_2) | instid1(VALU_DEP_2)
	v_lshlrev_b64 v[3:4], 2, v[1:2]
	v_dual_mov_b32 v6, v2 :: v_dual_mov_b32 v5, v1
	s_waitcnt lgkmcnt(0)
	v_add_co_u32 v3, vcc_lo, s2, v3
	s_delay_alu instid0(VALU_DEP_3)
	v_add_co_ci_u32_e32 v4, vcc_lo, s3, v4, vcc_lo
	s_cmp_lg_u64 s[2:3], 0
	s_cselect_b32 s21, -1, 0
	s_cmp_eq_u64 s[2:3], 0
	s_cbranch_scc1 .LBB40_3
; %bb.2:
	global_load_b32 v5, v[3:4], off
	s_waitcnt vmcnt(0)
	v_ashrrev_i32_e32 v6, 31, v5
.LBB40_3:
	s_mul_i32 s2, s12, s17
	s_delay_alu instid0(VALU_DEP_1)
	v_lshlrev_b64 v[5:6], 1, v[5:6]
	s_ashr_i32 s3, s2, 31
	v_lshlrev_b32_e32 v7, 1, v0
	s_lshl_b64 s[22:23], s[2:3], 1
	v_cndmask_b32_e64 v8, 0, 1, s21
	s_add_u32 s3, s0, s22
	s_addc_u32 s22, s1, s23
	v_add_co_u32 v5, vcc_lo, s3, v5
	v_add_co_ci_u32_e32 v6, vcc_lo, s22, v6, vcc_lo
	s_and_not1_b32 vcc_lo, exec_lo, s21
	global_load_u16 v9, v[5:6], off
	v_dual_mov_b32 v6, v2 :: v_dual_mov_b32 v5, v1
	s_waitcnt vmcnt(0)
	ds_store_b16 v7, v9
	s_cbranch_vccnz .LBB40_5
; %bb.4:
	global_load_b32 v5, v[3:4], off
	s_waitcnt vmcnt(0)
	v_ashrrev_i32_e32 v6, 31, v5
.LBB40_5:
	s_add_i32 s2, s2, s17
	s_delay_alu instid0(VALU_DEP_1) | instskip(SKIP_1) | instid1(SALU_CYCLE_1)
	v_lshlrev_b64 v[5:6], 1, v[5:6]
	s_ashr_i32 s3, s2, 31
	s_lshl_b64 s[22:23], s[2:3], 1
	s_delay_alu instid0(SALU_CYCLE_1) | instskip(SKIP_1) | instid1(VALU_DEP_1)
	s_add_u32 s3, s0, s22
	s_addc_u32 s21, s1, s23
	v_add_co_u32 v5, vcc_lo, s3, v5
	v_add_co_ci_u32_e32 v6, vcc_lo, s21, v6, vcc_lo
	v_cmp_ne_u32_e32 vcc_lo, 1, v8
	global_load_u16 v9, v[5:6], off
	v_dual_mov_b32 v6, v2 :: v_dual_mov_b32 v5, v1
	s_waitcnt vmcnt(0)
	ds_store_b16 v7, v9 offset:256
	s_cbranch_vccnz .LBB40_7
; %bb.6:
	global_load_b32 v5, v[3:4], off
	s_waitcnt vmcnt(0)
	v_ashrrev_i32_e32 v6, 31, v5
.LBB40_7:
	s_add_i32 s2, s2, s17
	s_delay_alu instid0(VALU_DEP_1) | instskip(SKIP_1) | instid1(SALU_CYCLE_1)
	v_lshlrev_b64 v[5:6], 1, v[5:6]
	s_ashr_i32 s3, s2, 31
	s_lshl_b64 s[22:23], s[2:3], 1
	s_delay_alu instid0(SALU_CYCLE_1) | instskip(SKIP_1) | instid1(VALU_DEP_1)
	s_add_u32 s3, s0, s22
	s_addc_u32 s21, s1, s23
	v_add_co_u32 v5, vcc_lo, s3, v5
	v_add_co_ci_u32_e32 v6, vcc_lo, s21, v6, vcc_lo
	v_cmp_ne_u32_e32 vcc_lo, 1, v8
	global_load_u16 v9, v[5:6], off
	v_dual_mov_b32 v6, v2 :: v_dual_mov_b32 v5, v1
	s_waitcnt vmcnt(0)
	ds_store_b16 v7, v9 offset:512
	;; [unrolled: 21-line block ×4, first 2 shown]
	s_cbranch_vccnz .LBB40_13
; %bb.12:
	global_load_b32 v5, v[3:4], off
	s_waitcnt vmcnt(0)
	v_ashrrev_i32_e32 v6, 31, v5
.LBB40_13:
	s_add_i32 s2, s2, s17
	s_delay_alu instid0(VALU_DEP_1) | instskip(SKIP_1) | instid1(SALU_CYCLE_1)
	v_lshlrev_b64 v[5:6], 1, v[5:6]
	s_ashr_i32 s3, s2, 31
	s_lshl_b64 s[22:23], s[2:3], 1
	s_delay_alu instid0(SALU_CYCLE_1) | instskip(SKIP_1) | instid1(VALU_DEP_1)
	s_add_u32 s3, s0, s22
	s_addc_u32 s21, s1, s23
	v_add_co_u32 v5, vcc_lo, s3, v5
	v_add_co_ci_u32_e32 v6, vcc_lo, s21, v6, vcc_lo
	v_cmp_ne_u32_e32 vcc_lo, 1, v8
	global_load_u16 v5, v[5:6], off
	s_waitcnt vmcnt(0)
	ds_store_b16 v7, v5 offset:1280
	s_cbranch_vccnz .LBB40_15
; %bb.14:
	global_load_b32 v1, v[3:4], off
	s_waitcnt vmcnt(0)
	v_ashrrev_i32_e32 v2, 31, v1
.LBB40_15:
	s_add_i32 s2, s2, s17
	s_delay_alu instid0(VALU_DEP_1) | instskip(SKIP_1) | instid1(SALU_CYCLE_1)
	v_lshlrev_b64 v[1:2], 1, v[1:2]
	s_ashr_i32 s3, s2, 31
	s_lshl_b64 s[2:3], s[2:3], 1
	s_delay_alu instid0(SALU_CYCLE_1) | instskip(SKIP_1) | instid1(VALU_DEP_1)
	s_add_u32 s0, s0, s2
	s_addc_u32 s1, s1, s3
	v_add_co_u32 v1, vcc_lo, s0, v1
	v_add_co_ci_u32_e32 v2, vcc_lo, s1, v2, vcc_lo
	global_load_u16 v1, v[1:2], off
	s_waitcnt vmcnt(0)
	ds_store_b16 v7, v1 offset:1536
.LBB40_16:
	s_or_b32 exec_lo, exec_lo, s14
	v_lshlrev_b32_e32 v1, 2, v0
	s_mov_b32 s0, exec_lo
	s_delay_alu instid0(VALU_DEP_1) | instskip(NEXT) | instid1(VALU_DEP_1)
	v_lshl_add_u32 v0, s13, 9, v1
	v_cmpx_gt_i32_e64 s16, v0
	s_cbranch_execz .LBB40_82
; %bb.17:
	s_abs_i32 s0, s18
	s_abs_i32 s3, s17
	v_cvt_f32_u32_e32 v2, s0
	s_sub_i32 s2, 0, s0
	s_waitcnt lgkmcnt(0)
	s_barrier
	buffer_gl0_inv
	v_rcp_iflag_f32_e32 v2, v2
                                        ; implicit-def: $vgpr4
                                        ; implicit-def: $vgpr5
	v_and_b32_e32 v3, 28, v1
	s_delay_alu instid0(VALU_DEP_1) | instskip(SKIP_2) | instid1(VALU_DEP_1)
	v_cmp_lt_u32_e32 vcc_lo, 4, v3
	s_waitcnt_depctr 0xfff
	v_mul_f32_e32 v2, 0x4f7ffffe, v2
	v_cvt_u32_f32_e32 v2, v2
	s_delay_alu instid0(VALU_DEP_1) | instskip(NEXT) | instid1(VALU_DEP_1)
	v_readfirstlane_b32 s1, v2
	s_mul_i32 s2, s2, s1
	s_delay_alu instid0(SALU_CYCLE_1) | instskip(NEXT) | instid1(SALU_CYCLE_1)
	s_mul_hi_u32 s2, s1, s2
	s_add_i32 s1, s1, s2
	s_xor_b32 s2, s17, s18
	s_mul_hi_u32 s1, s3, s1
	s_ashr_i32 s2, s2, 31
	s_mul_i32 s13, s1, s0
	s_delay_alu instid0(SALU_CYCLE_1)
	s_sub_i32 s3, s3, s13
	s_add_i32 s13, s1, 1
	s_sub_i32 s14, s3, s0
	s_cmp_ge_u32 s3, s0
	s_cselect_b32 s1, s13, s1
	s_cselect_b32 s3, s14, s3
	s_add_i32 s13, s1, 1
	s_cmp_ge_u32 s3, s0
	s_cselect_b32 s0, s13, s1
	s_delay_alu instid0(SALU_CYCLE_1) | instskip(NEXT) | instid1(SALU_CYCLE_1)
	s_xor_b32 s0, s0, s2
	s_sub_i32 s13, s0, s2
	s_delay_alu instid0(SALU_CYCLE_1) | instskip(SKIP_1) | instid1(VALU_DEP_1)
	v_cvt_f32_u32_e32 v2, s13
	s_sub_i32 s1, 0, s13
	v_rcp_iflag_f32_e32 v2, v2
	s_waitcnt_depctr 0xfff
	v_mul_f32_e32 v2, 0x4f7ffffe, v2
	s_delay_alu instid0(VALU_DEP_1) | instskip(NEXT) | instid1(VALU_DEP_1)
	v_cvt_u32_f32_e32 v2, v2
	v_readfirstlane_b32 s0, v2
	s_delay_alu instid0(VALU_DEP_1) | instskip(NEXT) | instid1(SALU_CYCLE_1)
	s_mul_i32 s1, s1, s0
	s_mul_hi_u32 s1, s0, s1
	s_delay_alu instid0(SALU_CYCLE_1) | instskip(NEXT) | instid1(SALU_CYCLE_1)
	s_add_i32 s0, s0, s1
	s_mul_hi_u32 s0, s15, s0
	s_delay_alu instid0(SALU_CYCLE_1) | instskip(SKIP_2) | instid1(SALU_CYCLE_1)
	s_mul_i32 s1, s0, s13
	s_add_i32 s2, s0, 1
	s_sub_i32 s1, s15, s1
	s_sub_i32 s3, s1, s13
	s_cmp_ge_u32 s1, s13
	s_cselect_b32 s0, s2, s0
	s_cselect_b32 s1, s3, s1
	s_add_i32 s2, s0, 1
	s_cmp_ge_u32 s1, s13
	s_cselect_b32 s14, s2, s0
	s_and_saveexec_b32 s0, vcc_lo
	s_delay_alu instid0(SALU_CYCLE_1)
	s_xor_b32 s1, exec_lo, s0
	s_cbranch_execz .LBB40_31
; %bb.18:
	s_mov_b32 s2, exec_lo
                                        ; implicit-def: $vgpr4
                                        ; implicit-def: $vgpr5
	v_cmpx_ne_u32_e32 8, v3
	s_xor_b32 s2, exec_lo, s2
	s_cbranch_execz .LBB40_28
; %bb.19:
	s_mov_b32 s3, exec_lo
                                        ; implicit-def: $vgpr4
                                        ; implicit-def: $vgpr5
	v_cmpx_lt_u32_e32 16, v3
	s_xor_b32 s3, exec_lo, s3
	s_cbranch_execz .LBB40_25
; %bb.20:
	v_lshl_add_u32 v1, v0, 1, v0
	s_mul_i32 s17, s14, s16
	s_delay_alu instid0(SALU_CYCLE_1) | instskip(NEXT) | instid1(SALU_CYCLE_1)
	s_ashr_i32 s0, s17, 31
	s_lshr_b32 s0, s0, 27
	s_delay_alu instid0(VALU_DEP_1) | instskip(SKIP_1) | instid1(SALU_CYCLE_1)
	v_ashrrev_i32_e32 v2, 31, v1
	s_add_i32 s0, s17, s0
	s_ashr_i32 s0, s0, 5
	s_delay_alu instid0(VALU_DEP_1) | instskip(NEXT) | instid1(VALU_DEP_1)
	v_lshrrev_b32_e32 v2, 27, v2
	v_add_nc_u32_e32 v1, v1, v2
	s_delay_alu instid0(VALU_DEP_1) | instskip(NEXT) | instid1(VALU_DEP_1)
	v_ashrrev_i32_e32 v1, 5, v1
	v_mad_u64_u32 v[4:5], null, s0, 3, v[1:2]
	s_delay_alu instid0(VALU_DEP_1) | instskip(NEXT) | instid1(VALU_DEP_1)
	v_ashrrev_i32_e32 v5, 31, v4
	v_lshlrev_b64 v[1:2], 2, v[4:5]
                                        ; implicit-def: $vgpr4
	s_delay_alu instid0(VALU_DEP_1) | instskip(NEXT) | instid1(VALU_DEP_1)
	v_add_co_u32 v1, s0, s6, v1
	v_add_co_ci_u32_e64 v2, s0, s7, v2, s0
	v_cmp_ne_u32_e64 s0, 20, v3
	global_load_b32 v6, v[1:2], off
	s_and_saveexec_b32 s18, s0
	s_delay_alu instid0(SALU_CYCLE_1)
	s_xor_b32 s0, exec_lo, s18
	s_cbranch_execz .LBB40_22
; %bb.21:
	v_mad_u32_u24 v1, v3, 3, 0xffffffc0
	s_waitcnt vmcnt(0)
	s_delay_alu instid0(VALU_DEP_1)
	v_lshrrev_b32_e32 v4, v1, v6
                                        ; implicit-def: $vgpr1_vgpr2
                                        ; implicit-def: $vgpr6
.LBB40_22:
	s_or_saveexec_b32 s0, s0
	v_mov_b32_e32 v5, s17
	s_xor_b32 exec_lo, exec_lo, s0
	s_cbranch_execz .LBB40_24
; %bb.23:
	global_load_b32 v1, v[1:2], off offset:4
	v_mov_b32_e32 v5, s17
	s_waitcnt vmcnt(0)
	v_alignbit_b32 v1, v1, v6, 28
	s_delay_alu instid0(VALU_DEP_1)
	v_and_b32_e32 v4, 0xfff, v1
.LBB40_24:
	s_or_b32 exec_lo, exec_lo, s0
.LBB40_25:
	s_and_not1_saveexec_b32 s3, s3
	s_cbranch_execz .LBB40_27
; %bb.26:
	v_lshl_add_u32 v1, v0, 1, v0
	s_mul_i32 s17, s14, s16
	s_delay_alu instid0(SALU_CYCLE_1) | instskip(NEXT) | instid1(SALU_CYCLE_1)
	s_ashr_i32 s0, s17, 31
	s_lshr_b32 s0, s0, 27
	s_delay_alu instid0(VALU_DEP_1) | instskip(SKIP_1) | instid1(SALU_CYCLE_1)
	v_ashrrev_i32_e32 v2, 31, v1
	s_add_i32 s0, s17, s0
	s_ashr_i32 s0, s0, 5
	s_delay_alu instid0(VALU_DEP_1) | instskip(NEXT) | instid1(VALU_DEP_1)
	v_lshrrev_b32_e32 v2, 27, v2
	v_add_nc_u32_e32 v1, v1, v2
	s_delay_alu instid0(VALU_DEP_1) | instskip(NEXT) | instid1(VALU_DEP_1)
	v_ashrrev_i32_e32 v1, 5, v1
	v_mad_u64_u32 v[4:5], null, s0, 3, v[1:2]
	s_delay_alu instid0(VALU_DEP_1) | instskip(NEXT) | instid1(VALU_DEP_1)
	v_ashrrev_i32_e32 v5, 31, v4
	v_lshlrev_b64 v[1:2], 2, v[4:5]
	v_mov_b32_e32 v5, s17
	s_delay_alu instid0(VALU_DEP_2) | instskip(NEXT) | instid1(VALU_DEP_1)
	v_add_co_u32 v1, s0, s6, v1
	v_add_co_ci_u32_e64 v2, s0, s7, v2, s0
	global_load_b32 v1, v[1:2], off
	v_mad_u32_u24 v2, v3, 3, 0xffffffe0
	s_waitcnt vmcnt(0)
	s_delay_alu instid0(VALU_DEP_1)
	v_lshrrev_b32_e32 v4, v2, v1
.LBB40_27:
	s_or_b32 exec_lo, exec_lo, s3
.LBB40_28:
	s_and_not1_saveexec_b32 s2, s2
	s_cbranch_execz .LBB40_30
; %bb.29:
	v_lshl_add_u32 v1, v0, 1, v0
	s_mul_i32 s3, s14, s16
	s_delay_alu instid0(SALU_CYCLE_1) | instskip(NEXT) | instid1(SALU_CYCLE_1)
	s_ashr_i32 s0, s3, 31
	s_lshr_b32 s0, s0, 27
	s_delay_alu instid0(VALU_DEP_1) | instskip(SKIP_1) | instid1(SALU_CYCLE_1)
	v_ashrrev_i32_e32 v2, 31, v1
	s_add_i32 s0, s3, s0
	s_ashr_i32 s0, s0, 5
	s_delay_alu instid0(VALU_DEP_1) | instskip(NEXT) | instid1(VALU_DEP_1)
	v_lshrrev_b32_e32 v2, 27, v2
	v_add_nc_u32_e32 v1, v1, v2
	s_delay_alu instid0(VALU_DEP_1) | instskip(NEXT) | instid1(VALU_DEP_1)
	v_ashrrev_i32_e32 v1, 5, v1
	v_mad_u64_u32 v[4:5], null, s0, 3, v[1:2]
	s_delay_alu instid0(VALU_DEP_1) | instskip(NEXT) | instid1(VALU_DEP_1)
	v_ashrrev_i32_e32 v5, 31, v4
	v_lshlrev_b64 v[1:2], 2, v[4:5]
	v_mov_b32_e32 v5, s3
	s_delay_alu instid0(VALU_DEP_2) | instskip(NEXT) | instid1(VALU_DEP_1)
	v_add_co_u32 v1, s0, s6, v1
	v_add_co_ci_u32_e64 v2, s0, s7, v2, s0
	global_load_b64 v[1:2], v[1:2], off
	s_waitcnt vmcnt(0)
	v_perm_b32 v1, v1, v2, 0x2010007
	s_delay_alu instid0(VALU_DEP_1)
	v_and_b32_e32 v4, 0xfff, v1
.LBB40_30:
	s_or_b32 exec_lo, exec_lo, s2
.LBB40_31:
	s_or_saveexec_b32 s1, s1
	v_lshl_add_u32 v2, v0, 1, v0
	v_mul_u32_u24_e32 v31, 3, v3
	s_delay_alu instid0(VALU_DEP_2)
	v_ashrrev_i32_e32 v7, 31, v2
	s_xor_b32 exec_lo, exec_lo, s1
	s_cbranch_execz .LBB40_33
; %bb.32:
	s_delay_alu instid0(VALU_DEP_1) | instskip(SKIP_1) | instid1(SALU_CYCLE_1)
	v_lshrrev_b32_e32 v1, 27, v7
	s_mul_i32 s2, s14, s16
	s_ashr_i32 s0, s2, 31
	s_delay_alu instid0(SALU_CYCLE_1) | instskip(NEXT) | instid1(VALU_DEP_1)
	s_lshr_b32 s0, s0, 27
	v_add_nc_u32_e32 v1, v2, v1
	s_add_i32 s0, s2, s0
	s_delay_alu instid0(SALU_CYCLE_1) | instskip(NEXT) | instid1(VALU_DEP_1)
	s_ashr_i32 s0, s0, 5
	v_ashrrev_i32_e32 v1, 5, v1
	s_delay_alu instid0(VALU_DEP_1) | instskip(NEXT) | instid1(VALU_DEP_1)
	v_mad_u64_u32 v[4:5], null, s0, 3, v[1:2]
	v_ashrrev_i32_e32 v5, 31, v4
	s_delay_alu instid0(VALU_DEP_1) | instskip(NEXT) | instid1(VALU_DEP_1)
	v_lshlrev_b64 v[4:5], 2, v[4:5]
	v_add_co_u32 v4, s0, s6, v4
	s_delay_alu instid0(VALU_DEP_1)
	v_add_co_ci_u32_e64 v5, s0, s7, v5, s0
	global_load_b32 v1, v[4:5], off
	v_mov_b32_e32 v5, s2
	s_waitcnt vmcnt(0)
	v_lshrrev_b32_e32 v4, v31, v1
.LBB40_33:
	s_or_b32 exec_lo, exec_lo, s1
	v_dual_mov_b32 v35, 0 :: v_dual_mov_b32 v34, 0
	v_dual_mov_b32 v33, 0 :: v_dual_mov_b32 v32, 0
	;; [unrolled: 1-line block ×7, first 2 shown]
	s_cmp_ge_i32 s15, s20
	s_mov_b32 s18, 0
	s_cbranch_scc1 .LBB40_54
; %bb.34:
	v_dual_mov_b32 v22, 0 :: v_dual_add_nc_u32 v5, v5, v0
	s_add_i32 s21, s13, s15
	v_ashrrev_i32_e32 v1, 31, v0
	v_lshrrev_b32_e32 v7, 27, v7
	s_waitcnt vmcnt(0)
	v_ashrrev_i32_e32 v6, 31, v5
	v_dual_mov_b32 v24, 0 :: v_dual_and_b32 v39, 7, v4
	v_bfe_u32 v40, v4, 3, 3
	v_bfe_u32 v41, v4, 6, 3
	s_delay_alu instid0(VALU_DEP_4)
	v_lshlrev_b64 v[5:6], 1, v[5:6]
	v_bfe_u32 v42, v4, 9, 3
	v_cmp_lt_u32_e64 s1, 16, v3
	v_cmp_ne_u32_e64 s2, 20, v3
	v_mad_u32_u24 v37, v3, 3, 0xffffffc0
	v_mad_u32_u24 v38, v3, 3, 0xffffffe0
	v_add_co_u32 v5, s0, s8, v5
	s_delay_alu instid0(VALU_DEP_1)
	v_add_co_ci_u32_e64 v6, s0, s9, v6, s0
	s_lshr_b32 s0, s15, 5
	v_dual_mov_b32 v21, 0 :: v_dual_add_nc_u32 v2, v2, v7
	global_load_b64 v[5:6], v[5:6], off
	s_mul_i32 s0, s0, s16
	v_dual_mov_b32 v23, 0 :: v_dual_mov_b32 v26, 0
	s_mul_i32 s22, s0, 3
	v_ashrrev_i32_e32 v2, 5, v2
	s_ashr_i32 s23, s22, 31
	s_bitcmp1_b32 s19, 0
	v_dual_mov_b32 v25, 0 :: v_dual_mov_b32 v28, 0
	s_cselect_b32 s0, -1, 0
	s_lshl_b64 s[22:23], s[22:23], 2
	s_xor_b32 s0, s0, -1
	s_ashr_i32 s17, s16, 31
	v_cndmask_b32_e64 v36, 0, 1, s0
	v_cmp_ne_u32_e64 s0, 8, v3
	v_lshlrev_b64 v[3:4], 2, v[0:1]
	s_add_u32 s3, s4, s22
	s_addc_u32 s4, s5, s23
	v_dual_mov_b32 v27, 0 :: v_dual_mov_b32 v30, 0
	v_dual_mov_b32 v29, 0 :: v_dual_mov_b32 v32, 0
	s_delay_alu instid0(VALU_DEP_3) | instskip(NEXT) | instid1(VALU_DEP_1)
	v_add_co_u32 v3, s3, s3, v3
	v_add_co_ci_u32_e64 v4, s3, s4, v4, s3
	v_dual_mov_b32 v33, 0 :: v_dual_mov_b32 v34, 0
	v_mov_b32_e32 v35, 0
	s_mul_hi_i32 s19, s16, 12
	s_mul_i32 s22, s16, 12
	s_lshl_b64 s[4:5], s[16:17], 2
	s_mov_b32 s17, 0x70007
	s_mov_b32 s23, 0x380038
	;; [unrolled: 1-line block ×3, first 2 shown]
	s_branch .LBB40_37
.LBB40_35:                              ;   in Loop: Header=BB40_37 Depth=1
	s_or_b32 exec_lo, exec_lo, s3
	v_add_nc_u32_e32 v5, s25, v0
	s_delay_alu instid0(VALU_DEP_2)
	v_and_b32_e32 v39, 7, v1
	v_bfe_u32 v40, v1, 3, 3
	v_bfe_u32 v41, v1, 6, 3
	;; [unrolled: 1-line block ×3, first 2 shown]
	v_ashrrev_i32_e32 v6, 31, v5
	s_add_i32 s21, s21, s13
	s_delay_alu instid0(VALU_DEP_1) | instskip(NEXT) | instid1(VALU_DEP_1)
	v_lshlrev_b64 v[5:6], 1, v[5:6]
	v_add_co_u32 v5, s3, s8, v5
	s_delay_alu instid0(VALU_DEP_1)
	v_add_co_ci_u32_e64 v6, s3, s9, v6, s3
	global_load_b64 v[5:6], v[5:6], off
.LBB40_36:                              ;   in Loop: Header=BB40_37 Depth=1
	s_waitcnt vmcnt(1)
	v_add_nc_u32_e32 v7, v40, v36
	v_add_co_u32 v15, s3, v3, s4
	s_delay_alu instid0(VALU_DEP_1) | instskip(NEXT) | instid1(VALU_DEP_3)
	v_add_co_ci_u32_e64 v16, s3, s5, v4, s3
	v_or_b32_e32 v43, 0xffffe400, v7
	v_cvt_f32_i32_e32 v7, v7
	v_add_nc_u32_e32 v1, v39, v36
	s_add_i32 s15, s15, 32
	global_load_b128 v[11:14], v[15:16], off
	v_add_co_u32 v15, s3, v15, s4
	v_cvt_f16_f32_e32 v7, v7
	v_or_b32_e32 v19, 0xffffe400, v1
	v_cvt_f32_i32_e32 v1, v1
	v_add_co_ci_u32_e64 v16, s3, s5, v16, s3
	s_delay_alu instid0(VALU_DEP_4)
	v_sub_f16_e32 v44, 0xd800, v7
	v_sub_f16_e32 v45, 0xcc00, v7
	v_add_nc_u32_e32 v7, v41, v36
	v_cvt_f16_f32_e32 v1, v1
	s_add_i32 s3, s18, 0x400
	global_load_b128 v[15:18], v[15:16], off
	v_or_b32_e32 v46, 0xffffe400, v7
	v_cvt_f32_i32_e32 v7, v7
	v_sub_f16_e32 v20, 0xd800, v1
	v_sub_f16_e32 v1, 0xcc00, v1
	s_delay_alu instid0(VALU_DEP_3) | instskip(NEXT) | instid1(VALU_DEP_1)
	v_cvt_f16_f32_e32 v7, v7
	v_sub_f16_e32 v47, 0xd800, v7
	v_sub_f16_e32 v48, 0xcc00, v7
	v_add_nc_u32_e32 v7, v42, v36
	s_delay_alu instid0(VALU_DEP_1) | instskip(SKIP_1) | instid1(VALU_DEP_1)
	v_or_b32_e32 v106, 0xffffe400, v7
	v_cvt_f32_i32_e32 v7, v7
	v_cvt_f16_f32_e32 v7, v7
	s_delay_alu instid0(VALU_DEP_1)
	v_sub_f16_e32 v107, 0xd800, v7
	v_sub_f16_e32 v108, 0xcc00, v7
	global_load_b128 v[7:10], v[3:4], off
	s_waitcnt vmcnt(2)
	v_and_or_b32 v54, v11, s17, 0x64006400
	v_and_or_b32 v55, v11, s23, 0x64006400
	v_lshrrev_b32_e32 v56, 6, v11
	v_lshrrev_b32_e32 v11, 14, v11
	s_delay_alu instid0(VALU_DEP_4) | instskip(NEXT) | instid1(VALU_DEP_4)
	v_pk_add_f16 v100, v19, v54 op_sel_hi:[0,1]
	v_pk_fma_f16 v99, 0x3000, v55, v20 op_sel_hi:[0,1,0]
	s_delay_alu instid0(VALU_DEP_4) | instskip(NEXT) | instid1(VALU_DEP_4)
	v_and_or_b32 v58, v56, s23, 0x64006400
	v_and_b32_e32 v11, 0x20002, v11
	v_and_or_b32 v57, v56, s17, 0x64006400
	v_and_or_b32 v56, v56, s24, 0x64006400
	s_delay_alu instid0(VALU_DEP_4)
	v_pk_fma_f16 v97, 0x3000, v58, v20 op_sel_hi:[0,1,0]
	s_waitcnt vmcnt(1)
	v_and_or_b32 v59, v15, s17, 0x64006400
	v_and_or_b32 v60, v15, s23, 0x64006400
	v_lshrrev_b32_e32 v61, 6, v15
	v_lshrrev_b32_e32 v15, 13, v15
	v_pk_fma_f16 v96, 0x2400, v56, v1 op_sel_hi:[0,1,0]
	v_and_or_b32 v54, v16, s23, 0x64006400
	v_lshrrev_b32_e32 v55, 6, v16
	v_pk_add_f16 v98, v19, v57 op_sel_hi:[0,1]
	v_and_or_b32 v63, v61, s23, 0x64006400
	v_and_b32_e32 v15, 0x40004, v15
	v_and_or_b32 v62, v61, s17, 0x64006400
	v_and_or_b32 v61, v61, s24, 0x64006400
	v_pk_fma_f16 v94, 0x3000, v60, v20 op_sel_hi:[0,1,0]
	v_pk_add_f16 v95, v19, v59 op_sel_hi:[0,1]
	v_and_or_b32 v56, v55, s17, 0x64006400
	v_and_or_b32 v57, v55, s23, 0x64006400
	;; [unrolled: 1-line block ×3, first 2 shown]
	v_pk_fma_f16 v85, 0x3000, v54, v44 op_sel_hi:[0,1,0]
	v_pk_fma_f16 v92, 0x3000, v63, v20 op_sel_hi:[0,1,0]
	;; [unrolled: 1-line block ×3, first 2 shown]
	v_pk_add_f16 v93, v19, v62 op_sel_hi:[0,1]
	v_pk_add_f16 v86, v43, v56 op_sel_hi:[0,1]
	v_pk_fma_f16 v87, 0x3000, v57, v44 op_sel_hi:[0,1,0]
	v_pk_fma_f16 v88, 0x2400, v55, v45 op_sel_hi:[0,1,0]
	s_waitcnt vmcnt(0)
	v_and_or_b32 v49, v7, s17, 0x64006400
	v_and_or_b32 v50, v7, s23, 0x64006400
	v_lshrrev_b32_e32 v51, 6, v7
	v_lshrrev_b32_e32 v7, 15, v7
	s_delay_alu instid0(VALU_DEP_4) | instskip(NEXT) | instid1(VALU_DEP_4)
	v_pk_add_f16 v105, v19, v49 op_sel_hi:[0,1]
	v_pk_fma_f16 v104, 0x3000, v50, v20 op_sel_hi:[0,1,0]
	s_delay_alu instid0(VALU_DEP_4) | instskip(NEXT) | instid1(VALU_DEP_4)
	v_and_or_b32 v53, v51, s23, 0x64006400
	v_and_or_b32 v7, 0x10001, v7, v11
	;; [unrolled: 1-line block ×5, first 2 shown]
	v_pk_fma_f16 v102, 0x3000, v53, v20 op_sel_hi:[0,1,0]
	v_or3_b32 v7, v7, v15, 0x64006400
	v_and_or_b32 v20, v12, s17, 0x64006400
	v_lshrrev_b32_e32 v50, 6, v12
	v_lshrrev_b32_e32 v12, 14, v12
	v_pk_fma_f16 v101, 0x2400, v51, v1 op_sel_hi:[0,1,0]
	v_pk_add_f16 v91, v19, v7 op_sel_hi:[0,1]
	v_and_or_b32 v1, v8, s17, 0x64006400
	v_and_or_b32 v7, v8, s23, 0x64006400
	v_lshrrev_b32_e32 v11, 6, v8
	v_lshrrev_b32_e32 v8, 15, v8
	v_and_b32_e32 v12, 0x20002, v12
	v_and_or_b32 v53, v16, s17, 0x64006400
	v_lshrrev_b32_e32 v16, 13, v16
	v_pk_add_f16 v103, v19, v52 op_sel_hi:[0,1]
	v_and_or_b32 v15, v11, s17, 0x64006400
	v_and_or_b32 v8, 0x10001, v8, v12
	v_and_or_b32 v19, v11, s23, 0x64006400
	v_and_b32_e32 v16, 0x40004, v16
	v_and_or_b32 v11, v11, s24, 0x64006400
	v_pk_add_f16 v76, v43, v15 op_sel_hi:[0,1]
	v_and_or_b32 v15, v13, s17, 0x64006400
	v_pk_fma_f16 v77, 0x3000, v19, v44 op_sel_hi:[0,1,0]
	v_or3_b32 v8, v8, v16, 0x64006400
	v_and_or_b32 v16, v13, s23, 0x64006400
	v_lshrrev_b32_e32 v19, 6, v13
	v_lshrrev_b32_e32 v13, 14, v13
	v_and_or_b32 v51, v50, s17, 0x64006400
	v_pk_add_f16 v89, v43, v8 op_sel_hi:[0,1]
	v_lshrrev_b32_e32 v8, 6, v9
	v_and_or_b32 v52, v50, s23, 0x64006400
	v_and_or_b32 v50, v50, s24, 0x64006400
	v_pk_add_f16 v74, v43, v1 op_sel_hi:[0,1]
	v_pk_fma_f16 v75, 0x3000, v7, v44 op_sel_hi:[0,1,0]
	v_and_or_b32 v1, v9, s17, 0x64006400
	v_and_or_b32 v7, v9, s23, 0x64006400
	;; [unrolled: 1-line block ×3, first 2 shown]
	v_lshrrev_b32_e32 v9, 15, v9
	v_and_b32_e32 v13, 0x20002, v13
	v_pk_fma_f16 v78, 0x2400, v11, v45 op_sel_hi:[0,1,0]
	v_pk_add_f16 v79, v43, v20 op_sel_hi:[0,1]
	v_pk_fma_f16 v80, 0x3000, v49, v44 op_sel_hi:[0,1,0]
	v_pk_add_f16 v81, v43, v51 op_sel_hi:[0,1]
	v_pk_fma_f16 v82, 0x3000, v52, v44 op_sel_hi:[0,1,0]
	v_pk_fma_f16 v83, 0x2400, v50, v45 op_sel_hi:[0,1,0]
	v_pk_add_f16 v84, v43, v53 op_sel_hi:[0,1]
	v_and_or_b32 v11, v8, s17, 0x64006400
	v_and_or_b32 v8, v8, s24, 0x64006400
	;; [unrolled: 1-line block ×7, first 2 shown]
	v_lshrrev_b32_e32 v49, 6, v17
	v_lshrrev_b32_e32 v17, 13, v17
	v_and_or_b32 v9, 0x10001, v9, v13
	v_pk_fma_f16 v61, 0x3000, v12, v47 op_sel_hi:[0,1,0]
	v_pk_add_f16 v63, v46, v15 op_sel_hi:[0,1]
	v_and_or_b32 v12, v14, s17, 0x64006400
	v_and_or_b32 v13, v14, s23, 0x64006400
	v_lshrrev_b32_e32 v15, 6, v14
	v_lshrrev_b32_e32 v14, 14, v14
	v_and_b32_e32 v17, 0x40004, v17
	v_pk_add_f16 v58, v46, v1 op_sel_hi:[0,1]
	v_pk_fma_f16 v59, 0x3000, v7, v47 op_sel_hi:[0,1,0]
	v_pk_fma_f16 v62, 0x2400, v8, v48 op_sel_hi:[0,1,0]
	v_pk_add_f16 v65, v46, v20 op_sel_hi:[0,1]
	v_pk_fma_f16 v66, 0x3000, v43, v47 op_sel_hi:[0,1,0]
	v_pk_fma_f16 v67, 0x2400, v19, v48 op_sel_hi:[0,1,0]
	v_and_or_b32 v1, v10, s17, 0x64006400
	v_and_or_b32 v7, v10, s23, 0x64006400
	v_lshrrev_b32_e32 v8, 6, v10
	v_lshrrev_b32_e32 v10, 15, v10
	v_and_b32_e32 v14, 0x20002, v14
	v_and_or_b32 v19, v18, s17, 0x64006400
	v_and_or_b32 v20, v18, s23, 0x64006400
	v_lshrrev_b32_e32 v43, 6, v18
	v_lshrrev_b32_e32 v18, 13, v18
	v_or3_b32 v9, v9, v17, 0x64006400
	v_and_or_b32 v10, 0x10001, v10, v14
	v_and_or_b32 v50, v49, s17, 0x64006400
	;; [unrolled: 1-line block ×3, first 2 shown]
	v_and_b32_e32 v18, 0x40004, v18
	v_pk_fma_f16 v64, 0x3000, v16, v47 op_sel_hi:[0,1,0]
	v_pk_add_f16 v68, v46, v44 op_sel_hi:[0,1]
	v_pk_add_f16 v73, v46, v9 op_sel_hi:[0,1]
	v_and_or_b32 v9, v8, s17, 0x64006400
	v_and_or_b32 v16, v15, s17, 0x64006400
	v_and_or_b32 v44, v43, s17, 0x64006400
	v_or3_b32 v10, v10, v18, 0x64006400
	v_pk_add_f16 v60, v46, v11 op_sel_hi:[0,1]
	v_pk_fma_f16 v69, 0x3000, v45, v47 op_sel_hi:[0,1,0]
	v_pk_add_f16 v70, v46, v50 op_sel_hi:[0,1]
	v_pk_fma_f16 v71, 0x3000, v51, v47 op_sel_hi:[0,1,0]
	v_and_or_b32 v11, v8, s23, 0x64006400
	v_and_or_b32 v8, v8, s24, 0x64006400
	v_pk_add_f16 v57, v106, v1 op_sel_hi:[0,1]
	v_pk_add_f16 v55, v106, v9 op_sel_hi:[0,1]
	;; [unrolled: 1-line block ×7, first 2 shown]
	v_mov_b32_e32 v106, s18
	v_pk_fma_f16 v56, 0x3000, v7, v107 op_sel_hi:[0,1,0]
	v_pk_fma_f16 v53, 0x2400, v8, v108 op_sel_hi:[0,1,0]
	;; [unrolled: 1-line block ×4, first 2 shown]
	ds_load_2addr_b32 v[7:8], v106 offset1:1
	v_and_or_b32 v49, v49, s24, 0x64006400
	v_and_or_b32 v17, v15, s23, 0x64006400
	;; [unrolled: 1-line block ×4, first 2 shown]
	v_pk_fma_f16 v46, 0x3000, v20, v107 op_sel_hi:[0,1,0]
	v_pk_fma_f16 v72, 0x2400, v49, v48 op_sel_hi:[0,1,0]
	;; [unrolled: 1-line block ×5, first 2 shown]
	v_and_or_b32 v43, v43, s24, 0x64006400
	s_delay_alu instid0(VALU_DEP_1) | instskip(SKIP_3) | instid1(VALU_DEP_2)
	v_pk_fma_f16 v43, 0x2400, v43, v108 op_sel_hi:[0,1,0]
	s_waitcnt lgkmcnt(0)
	v_pk_fma_f16 v9, v105, v7, 0
	v_pk_fma_f16 v110, v74, v7, 0
	;; [unrolled: 1-line block ×3, first 2 shown]
	ds_load_2addr_b32 v[9:10], v106 offset0:2 offset1:3
	v_pk_fma_f16 v110, v75, v8, v110
	s_waitcnt lgkmcnt(0)
	v_pk_fma_f16 v11, v103, v9, v11
	s_delay_alu instid0(VALU_DEP_2) | instskip(NEXT) | instid1(VALU_DEP_2)
	v_pk_fma_f16 v110, v76, v9, v110
	v_pk_fma_f16 v13, v102, v10, v11
	ds_load_2addr_b32 v[11:12], v106 offset0:4 offset1:5
	v_pk_fma_f16 v110, v77, v10, v110
	s_waitcnt lgkmcnt(0)
	v_pk_fma_f16 v13, v101, v11, v13
	s_delay_alu instid0(VALU_DEP_2) | instskip(NEXT) | instid1(VALU_DEP_2)
	v_pk_fma_f16 v110, v78, v11, v110
	v_pk_fma_f16 v15, v100, v12, v13
	;; [unrolled: 7-line block ×7, first 2 shown]
	s_delay_alu instid0(VALU_DEP_2) | instskip(NEXT) | instid1(VALU_DEP_1)
	v_pk_fma_f16 v110, v89, v108, v110
	v_pack_b32_f16 v111, v109, v110
	v_perm_b32 v109, v110, v109, 0x7060302
	s_delay_alu instid0(VALU_DEP_1) | instskip(NEXT) | instid1(VALU_DEP_1)
	v_pk_add_f16 v109, v111, v109
	v_pk_fma_f16 v35, v109, v5, v35
	v_pk_fma_f16 v109, v58, v7, 0
	;; [unrolled: 1-line block ×3, first 2 shown]
	s_delay_alu instid0(VALU_DEP_2) | instskip(NEXT) | instid1(VALU_DEP_2)
	v_pk_fma_f16 v109, v59, v8, v109
	v_pk_fma_f16 v7, v56, v8, v7
	s_delay_alu instid0(VALU_DEP_2) | instskip(NEXT) | instid1(VALU_DEP_2)
	v_pk_fma_f16 v109, v60, v9, v109
	v_pk_fma_f16 v7, v55, v9, v7
	;; [unrolled: 3-line block ×15, first 2 shown]
	s_delay_alu instid0(VALU_DEP_1) | instskip(SKIP_1) | instid1(VALU_DEP_1)
	v_pack_b32_f16 v8, v109, v7
	v_perm_b32 v7, v7, v109, 0x7060302
	v_pk_add_f16 v7, v8, v7
	s_delay_alu instid0(VALU_DEP_1) | instskip(SKIP_4) | instid1(VALU_DEP_2)
	v_pk_fma_f16 v34, v7, v6, v34
	ds_load_2addr_b32 v[7:8], v106 offset0:64 offset1:65
	s_waitcnt lgkmcnt(0)
	v_pk_fma_f16 v9, v105, v7, 0
	v_pk_fma_f16 v110, v74, v7, 0
	;; [unrolled: 1-line block ×3, first 2 shown]
	ds_load_2addr_b32 v[9:10], v106 offset0:66 offset1:67
	v_pk_fma_f16 v110, v75, v8, v110
	s_waitcnt lgkmcnt(0)
	v_pk_fma_f16 v11, v103, v9, v11
	s_delay_alu instid0(VALU_DEP_2) | instskip(NEXT) | instid1(VALU_DEP_2)
	v_pk_fma_f16 v110, v76, v9, v110
	v_pk_fma_f16 v13, v102, v10, v11
	ds_load_2addr_b32 v[11:12], v106 offset0:68 offset1:69
	v_pk_fma_f16 v110, v77, v10, v110
	s_waitcnt lgkmcnt(0)
	v_pk_fma_f16 v13, v101, v11, v13
	s_delay_alu instid0(VALU_DEP_2) | instskip(NEXT) | instid1(VALU_DEP_2)
	v_pk_fma_f16 v110, v78, v11, v110
	v_pk_fma_f16 v15, v100, v12, v13
	ds_load_2addr_b32 v[13:14], v106 offset0:70 offset1:71
	v_pk_fma_f16 v110, v79, v12, v110
	s_waitcnt lgkmcnt(0)
	v_pk_fma_f16 v15, v99, v13, v15
	s_delay_alu instid0(VALU_DEP_2) | instskip(NEXT) | instid1(VALU_DEP_2)
	v_pk_fma_f16 v110, v80, v13, v110
	v_pk_fma_f16 v17, v98, v14, v15
	ds_load_2addr_b32 v[15:16], v106 offset0:72 offset1:73
	v_pk_fma_f16 v110, v81, v14, v110
	s_waitcnt lgkmcnt(0)
	v_pk_fma_f16 v17, v97, v15, v17
	s_delay_alu instid0(VALU_DEP_2) | instskip(NEXT) | instid1(VALU_DEP_2)
	v_pk_fma_f16 v110, v82, v15, v110
	v_pk_fma_f16 v19, v96, v16, v17
	ds_load_2addr_b32 v[17:18], v106 offset0:74 offset1:75
	v_pk_fma_f16 v110, v83, v16, v110
	s_waitcnt lgkmcnt(0)
	v_pk_fma_f16 v19, v95, v17, v19
	s_delay_alu instid0(VALU_DEP_2) | instskip(NEXT) | instid1(VALU_DEP_2)
	v_pk_fma_f16 v110, v84, v17, v110
	v_pk_fma_f16 v107, v94, v18, v19
	ds_load_2addr_b32 v[19:20], v106 offset0:76 offset1:77
	v_pk_fma_f16 v110, v85, v18, v110
	s_waitcnt lgkmcnt(0)
	v_pk_fma_f16 v107, v93, v19, v107
	s_delay_alu instid0(VALU_DEP_2) | instskip(NEXT) | instid1(VALU_DEP_2)
	v_pk_fma_f16 v110, v86, v19, v110
	v_pk_fma_f16 v109, v92, v20, v107
	ds_load_2addr_b32 v[107:108], v106 offset0:78 offset1:79
	v_pk_fma_f16 v110, v87, v20, v110
	s_waitcnt lgkmcnt(0)
	v_pk_fma_f16 v109, v90, v107, v109
	s_delay_alu instid0(VALU_DEP_2) | instskip(NEXT) | instid1(VALU_DEP_2)
	v_pk_fma_f16 v110, v88, v107, v110
	v_pk_fma_f16 v109, v91, v108, v109
	s_delay_alu instid0(VALU_DEP_2) | instskip(NEXT) | instid1(VALU_DEP_1)
	v_pk_fma_f16 v110, v89, v108, v110
	v_pack_b32_f16 v111, v109, v110
	v_perm_b32 v109, v110, v109, 0x7060302
	s_delay_alu instid0(VALU_DEP_1) | instskip(NEXT) | instid1(VALU_DEP_1)
	v_pk_add_f16 v109, v111, v109
	v_pk_fma_f16 v33, v109, v5, v33
	v_pk_fma_f16 v109, v58, v7, 0
	;; [unrolled: 1-line block ×3, first 2 shown]
	s_delay_alu instid0(VALU_DEP_2) | instskip(NEXT) | instid1(VALU_DEP_2)
	v_pk_fma_f16 v109, v59, v8, v109
	v_pk_fma_f16 v7, v56, v8, v7
	s_delay_alu instid0(VALU_DEP_2) | instskip(NEXT) | instid1(VALU_DEP_2)
	v_pk_fma_f16 v109, v60, v9, v109
	v_pk_fma_f16 v7, v55, v9, v7
	;; [unrolled: 3-line block ×13, first 2 shown]
	ds_load_2addr_b32 v[19:20], v106 offset0:130 offset1:131
	v_pk_fma_f16 v109, v72, v107, v109
	v_pk_fma_f16 v7, v43, v107, v7
	s_delay_alu instid0(VALU_DEP_2) | instskip(NEXT) | instid1(VALU_DEP_2)
	v_pk_fma_f16 v109, v73, v108, v109
	v_pk_fma_f16 v7, v1, v108, v7
	ds_load_2addr_b32 v[107:108], v106 offset0:128 offset1:129
	v_pack_b32_f16 v8, v109, v7
	v_perm_b32 v7, v7, v109, 0x7060302
	s_delay_alu instid0(VALU_DEP_1) | instskip(NEXT) | instid1(VALU_DEP_1)
	v_pk_add_f16 v7, v8, v7
	v_pk_fma_f16 v32, v7, v6, v32
	s_waitcnt lgkmcnt(0)
	v_pk_fma_f16 v7, v105, v107, 0
	v_pk_fma_f16 v110, v74, v107, 0
	s_delay_alu instid0(VALU_DEP_2) | instskip(NEXT) | instid1(VALU_DEP_2)
	v_pk_fma_f16 v7, v104, v108, v7
	v_pk_fma_f16 v110, v75, v108, v110
	s_delay_alu instid0(VALU_DEP_2) | instskip(NEXT) | instid1(VALU_DEP_2)
	v_pk_fma_f16 v7, v103, v19, v7
	v_pk_fma_f16 v110, v76, v19, v110
	s_delay_alu instid0(VALU_DEP_2) | instskip(SKIP_4) | instid1(VALU_DEP_2)
	v_pk_fma_f16 v9, v102, v20, v7
	ds_load_2addr_b32 v[7:8], v106 offset0:132 offset1:133
	v_pk_fma_f16 v110, v77, v20, v110
	s_waitcnt lgkmcnt(0)
	v_pk_fma_f16 v9, v101, v7, v9
	v_pk_fma_f16 v110, v78, v7, v110
	s_delay_alu instid0(VALU_DEP_2) | instskip(SKIP_4) | instid1(VALU_DEP_2)
	v_pk_fma_f16 v11, v100, v8, v9
	ds_load_2addr_b32 v[9:10], v106 offset0:134 offset1:135
	v_pk_fma_f16 v110, v79, v8, v110
	s_waitcnt lgkmcnt(0)
	;; [unrolled: 7-line block ×6, first 2 shown]
	v_pk_fma_f16 v109, v90, v17, v109
	v_pk_fma_f16 v110, v88, v17, v110
	s_delay_alu instid0(VALU_DEP_2) | instskip(NEXT) | instid1(VALU_DEP_2)
	v_pk_fma_f16 v109, v91, v18, v109
	v_pk_fma_f16 v110, v89, v18, v110
	s_delay_alu instid0(VALU_DEP_1) | instskip(SKIP_1) | instid1(VALU_DEP_1)
	v_pack_b32_f16 v111, v109, v110
	v_perm_b32 v109, v110, v109, 0x7060302
	v_pk_add_f16 v109, v111, v109
	s_delay_alu instid0(VALU_DEP_1) | instskip(SKIP_2) | instid1(VALU_DEP_2)
	v_pk_fma_f16 v30, v109, v5, v30
	v_pk_fma_f16 v109, v58, v107, 0
	;; [unrolled: 1-line block ×4, first 2 shown]
	s_delay_alu instid0(VALU_DEP_2) | instskip(NEXT) | instid1(VALU_DEP_2)
	v_pk_fma_f16 v107, v56, v108, v107
	v_pk_fma_f16 v109, v60, v19, v109
	s_delay_alu instid0(VALU_DEP_2) | instskip(NEXT) | instid1(VALU_DEP_2)
	v_pk_fma_f16 v19, v55, v19, v107
	v_pk_fma_f16 v109, v61, v20, v109
	;; [unrolled: 3-line block ×14, first 2 shown]
	s_delay_alu instid0(VALU_DEP_2) | instskip(NEXT) | instid1(VALU_DEP_1)
	v_pk_fma_f16 v7, v1, v18, v7
	v_pack_b32_f16 v8, v109, v7
	v_perm_b32 v7, v7, v109, 0x7060302
	s_delay_alu instid0(VALU_DEP_1) | instskip(NEXT) | instid1(VALU_DEP_1)
	v_pk_add_f16 v7, v8, v7
	v_pk_fma_f16 v29, v7, v6, v29
	ds_load_2addr_b32 v[7:8], v106 offset0:192 offset1:193
	s_waitcnt lgkmcnt(0)
	v_pk_fma_f16 v9, v105, v7, 0
	v_pk_fma_f16 v109, v74, v7, 0
	s_delay_alu instid0(VALU_DEP_2) | instskip(SKIP_4) | instid1(VALU_DEP_2)
	v_pk_fma_f16 v11, v104, v8, v9
	ds_load_2addr_b32 v[9:10], v106 offset0:194 offset1:195
	v_pk_fma_f16 v109, v75, v8, v109
	s_waitcnt lgkmcnt(0)
	v_pk_fma_f16 v11, v103, v9, v11
	v_pk_fma_f16 v109, v76, v9, v109
	s_delay_alu instid0(VALU_DEP_2) | instskip(SKIP_4) | instid1(VALU_DEP_2)
	v_pk_fma_f16 v13, v102, v10, v11
	ds_load_2addr_b32 v[11:12], v106 offset0:196 offset1:197
	v_pk_fma_f16 v109, v77, v10, v109
	;; [unrolled: 7-line block ×7, first 2 shown]
	s_waitcnt lgkmcnt(0)
	v_pk_fma_f16 v108, v90, v106, v108
	v_pk_fma_f16 v109, v88, v106, v109
	s_delay_alu instid0(VALU_DEP_2) | instskip(NEXT) | instid1(VALU_DEP_2)
	v_pk_fma_f16 v108, v91, v107, v108
	v_pk_fma_f16 v109, v89, v107, v109
	s_delay_alu instid0(VALU_DEP_1) | instskip(SKIP_1) | instid1(VALU_DEP_1)
	v_pack_b32_f16 v110, v108, v109
	v_perm_b32 v108, v109, v108, 0x7060302
	v_pk_add_f16 v108, v110, v108
	s_delay_alu instid0(VALU_DEP_1) | instskip(SKIP_2) | instid1(VALU_DEP_2)
	v_pk_fma_f16 v28, v108, v5, v28
	v_pk_fma_f16 v108, v58, v7, 0
	;; [unrolled: 1-line block ×4, first 2 shown]
	s_delay_alu instid0(VALU_DEP_2) | instskip(NEXT) | instid1(VALU_DEP_2)
	v_pk_fma_f16 v7, v56, v8, v7
	v_pk_fma_f16 v108, v60, v9, v108
	s_delay_alu instid0(VALU_DEP_2) | instskip(NEXT) | instid1(VALU_DEP_2)
	v_pk_fma_f16 v7, v55, v9, v7
	v_pk_fma_f16 v108, v61, v10, v108
	;; [unrolled: 3-line block ×14, first 2 shown]
	s_delay_alu instid0(VALU_DEP_2) | instskip(NEXT) | instid1(VALU_DEP_1)
	v_pk_fma_f16 v7, v1, v107, v7
	v_pack_b32_f16 v8, v108, v7
	v_perm_b32 v7, v7, v108, 0x7060302
	s_delay_alu instid0(VALU_DEP_1) | instskip(NEXT) | instid1(VALU_DEP_1)
	v_pk_add_f16 v7, v8, v7
	v_pk_fma_f16 v27, v7, v6, v27
	v_mov_b32_e32 v7, s3
	s_add_i32 s3, s18, 0x408
	ds_load_2addr_b32 v[7:8], v7 offset1:1
	s_waitcnt lgkmcnt(0)
	v_pk_fma_f16 v9, v105, v7, 0
	v_pk_fma_f16 v109, v74, v7, 0
	s_delay_alu instid0(VALU_DEP_2) | instskip(SKIP_2) | instid1(VALU_DEP_3)
	v_pk_fma_f16 v11, v104, v8, v9
	v_mov_b32_e32 v9, s3
	s_add_i32 s3, s18, 0x410
	v_pk_fma_f16 v109, v75, v8, v109
	ds_load_2addr_b32 v[9:10], v9 offset1:1
	s_waitcnt lgkmcnt(0)
	v_pk_fma_f16 v11, v103, v9, v11
	v_pk_fma_f16 v109, v76, v9, v109
	s_delay_alu instid0(VALU_DEP_2) | instskip(SKIP_2) | instid1(VALU_DEP_3)
	v_pk_fma_f16 v13, v102, v10, v11
	v_mov_b32_e32 v11, s3
	s_add_i32 s3, s18, 0x418
	v_pk_fma_f16 v109, v77, v10, v109
	ds_load_2addr_b32 v[11:12], v11 offset1:1
	s_waitcnt lgkmcnt(0)
	v_pk_fma_f16 v13, v101, v11, v13
	v_pk_fma_f16 v109, v78, v11, v109
	s_delay_alu instid0(VALU_DEP_2) | instskip(SKIP_2) | instid1(VALU_DEP_3)
	v_pk_fma_f16 v15, v100, v12, v13
	v_mov_b32_e32 v13, s3
	s_add_i32 s3, s18, 0x420
	v_pk_fma_f16 v109, v79, v12, v109
	ds_load_2addr_b32 v[13:14], v13 offset1:1
	s_waitcnt lgkmcnt(0)
	v_pk_fma_f16 v15, v99, v13, v15
	v_pk_fma_f16 v109, v80, v13, v109
	s_delay_alu instid0(VALU_DEP_2) | instskip(SKIP_2) | instid1(VALU_DEP_3)
	v_pk_fma_f16 v17, v98, v14, v15
	v_mov_b32_e32 v15, s3
	s_add_i32 s3, s18, 0x428
	v_pk_fma_f16 v109, v81, v14, v109
	ds_load_2addr_b32 v[15:16], v15 offset1:1
	s_waitcnt lgkmcnt(0)
	v_pk_fma_f16 v17, v97, v15, v17
	v_pk_fma_f16 v109, v82, v15, v109
	s_delay_alu instid0(VALU_DEP_2) | instskip(SKIP_2) | instid1(VALU_DEP_3)
	v_pk_fma_f16 v19, v96, v16, v17
	v_mov_b32_e32 v17, s3
	s_add_i32 s3, s18, 0x430
	v_pk_fma_f16 v109, v83, v16, v109
	ds_load_2addr_b32 v[17:18], v17 offset1:1
	s_waitcnt lgkmcnt(0)
	v_pk_fma_f16 v19, v95, v17, v19
	v_pk_fma_f16 v109, v84, v17, v109
	s_delay_alu instid0(VALU_DEP_2) | instskip(SKIP_2) | instid1(VALU_DEP_3)
	v_pk_fma_f16 v106, v94, v18, v19
	v_mov_b32_e32 v19, s3
	s_add_i32 s3, s18, 0x438
	v_pk_fma_f16 v109, v85, v18, v109
	ds_load_2addr_b32 v[19:20], v19 offset1:1
	s_waitcnt lgkmcnt(0)
	v_pk_fma_f16 v106, v93, v19, v106
	v_pk_fma_f16 v109, v86, v19, v109
	s_delay_alu instid0(VALU_DEP_2) | instskip(SKIP_1) | instid1(VALU_DEP_3)
	v_pk_fma_f16 v108, v92, v20, v106
	v_mov_b32_e32 v106, s3
	v_pk_fma_f16 v109, v87, v20, v109
	s_add_i32 s3, s18, 0x500
	ds_load_2addr_b32 v[106:107], v106 offset1:1
	s_waitcnt lgkmcnt(0)
	v_pk_fma_f16 v108, v90, v106, v108
	v_pk_fma_f16 v109, v88, v106, v109
	s_delay_alu instid0(VALU_DEP_2) | instskip(NEXT) | instid1(VALU_DEP_2)
	v_pk_fma_f16 v108, v91, v107, v108
	v_pk_fma_f16 v109, v89, v107, v109
	s_delay_alu instid0(VALU_DEP_1) | instskip(SKIP_1) | instid1(VALU_DEP_1)
	v_pack_b32_f16 v110, v108, v109
	v_perm_b32 v108, v109, v108, 0x7060302
	v_pk_add_f16 v108, v110, v108
	s_delay_alu instid0(VALU_DEP_1) | instskip(SKIP_2) | instid1(VALU_DEP_2)
	v_pk_fma_f16 v26, v108, v5, v26
	v_pk_fma_f16 v108, v58, v7, 0
	;; [unrolled: 1-line block ×4, first 2 shown]
	s_delay_alu instid0(VALU_DEP_2) | instskip(NEXT) | instid1(VALU_DEP_2)
	v_pk_fma_f16 v7, v56, v8, v7
	v_pk_fma_f16 v108, v60, v9, v108
	s_delay_alu instid0(VALU_DEP_2) | instskip(NEXT) | instid1(VALU_DEP_2)
	v_pk_fma_f16 v7, v55, v9, v7
	v_pk_fma_f16 v108, v61, v10, v108
	;; [unrolled: 3-line block ×14, first 2 shown]
	s_delay_alu instid0(VALU_DEP_2) | instskip(NEXT) | instid1(VALU_DEP_1)
	v_pk_fma_f16 v7, v1, v107, v7
	v_pack_b32_f16 v8, v108, v7
	v_perm_b32 v7, v7, v108, 0x7060302
	s_delay_alu instid0(VALU_DEP_1) | instskip(NEXT) | instid1(VALU_DEP_1)
	v_pk_add_f16 v7, v8, v7
	v_pk_fma_f16 v25, v7, v6, v25
	v_mov_b32_e32 v7, s3
	s_add_i32 s3, s18, 0x508
	ds_load_2addr_b32 v[7:8], v7 offset1:1
	s_waitcnt lgkmcnt(0)
	v_pk_fma_f16 v9, v105, v7, 0
	v_pk_fma_f16 v109, v74, v7, 0
	s_delay_alu instid0(VALU_DEP_2) | instskip(SKIP_2) | instid1(VALU_DEP_3)
	v_pk_fma_f16 v11, v104, v8, v9
	v_mov_b32_e32 v9, s3
	s_add_i32 s3, s18, 0x510
	v_pk_fma_f16 v109, v75, v8, v109
	ds_load_2addr_b32 v[9:10], v9 offset1:1
	s_waitcnt lgkmcnt(0)
	v_pk_fma_f16 v11, v103, v9, v11
	v_pk_fma_f16 v109, v76, v9, v109
	s_delay_alu instid0(VALU_DEP_2) | instskip(SKIP_2) | instid1(VALU_DEP_3)
	v_pk_fma_f16 v13, v102, v10, v11
	v_mov_b32_e32 v11, s3
	s_add_i32 s3, s18, 0x518
	v_pk_fma_f16 v109, v77, v10, v109
	ds_load_2addr_b32 v[11:12], v11 offset1:1
	s_waitcnt lgkmcnt(0)
	v_pk_fma_f16 v13, v101, v11, v13
	v_pk_fma_f16 v109, v78, v11, v109
	s_delay_alu instid0(VALU_DEP_2) | instskip(SKIP_2) | instid1(VALU_DEP_3)
	v_pk_fma_f16 v15, v100, v12, v13
	v_mov_b32_e32 v13, s3
	s_add_i32 s3, s18, 0x520
	v_pk_fma_f16 v109, v79, v12, v109
	ds_load_2addr_b32 v[13:14], v13 offset1:1
	s_waitcnt lgkmcnt(0)
	v_pk_fma_f16 v15, v99, v13, v15
	v_pk_fma_f16 v109, v80, v13, v109
	s_delay_alu instid0(VALU_DEP_2) | instskip(SKIP_2) | instid1(VALU_DEP_3)
	v_pk_fma_f16 v17, v98, v14, v15
	v_mov_b32_e32 v15, s3
	s_add_i32 s3, s18, 0x528
	v_pk_fma_f16 v109, v81, v14, v109
	ds_load_2addr_b32 v[15:16], v15 offset1:1
	s_waitcnt lgkmcnt(0)
	v_pk_fma_f16 v17, v97, v15, v17
	v_pk_fma_f16 v109, v82, v15, v109
	s_delay_alu instid0(VALU_DEP_2) | instskip(SKIP_2) | instid1(VALU_DEP_3)
	v_pk_fma_f16 v19, v96, v16, v17
	v_mov_b32_e32 v17, s3
	s_add_i32 s3, s18, 0x530
	v_pk_fma_f16 v109, v83, v16, v109
	ds_load_2addr_b32 v[17:18], v17 offset1:1
	s_waitcnt lgkmcnt(0)
	v_pk_fma_f16 v19, v95, v17, v19
	v_pk_fma_f16 v109, v84, v17, v109
	s_delay_alu instid0(VALU_DEP_2) | instskip(SKIP_2) | instid1(VALU_DEP_3)
	v_pk_fma_f16 v106, v94, v18, v19
	v_mov_b32_e32 v19, s3
	s_add_i32 s3, s18, 0x538
	v_pk_fma_f16 v109, v85, v18, v109
	ds_load_2addr_b32 v[19:20], v19 offset1:1
	s_waitcnt lgkmcnt(0)
	v_pk_fma_f16 v106, v93, v19, v106
	v_pk_fma_f16 v109, v86, v19, v109
	s_delay_alu instid0(VALU_DEP_2) | instskip(SKIP_1) | instid1(VALU_DEP_3)
	v_pk_fma_f16 v108, v92, v20, v106
	v_mov_b32_e32 v106, s3
	v_pk_fma_f16 v109, v87, v20, v109
	s_add_i32 s3, s18, 0x600
	ds_load_2addr_b32 v[106:107], v106 offset1:1
	s_waitcnt lgkmcnt(0)
	v_pk_fma_f16 v108, v90, v106, v108
	v_pk_fma_f16 v109, v88, v106, v109
	s_delay_alu instid0(VALU_DEP_2) | instskip(NEXT) | instid1(VALU_DEP_2)
	v_pk_fma_f16 v108, v91, v107, v108
	v_pk_fma_f16 v109, v89, v107, v109
	s_delay_alu instid0(VALU_DEP_1) | instskip(SKIP_1) | instid1(VALU_DEP_1)
	v_pack_b32_f16 v110, v108, v109
	v_perm_b32 v108, v109, v108, 0x7060302
	v_pk_add_f16 v108, v110, v108
	s_delay_alu instid0(VALU_DEP_1) | instskip(SKIP_2) | instid1(VALU_DEP_2)
	v_pk_fma_f16 v24, v108, v5, v24
	v_pk_fma_f16 v108, v58, v7, 0
	;; [unrolled: 1-line block ×4, first 2 shown]
	s_delay_alu instid0(VALU_DEP_2) | instskip(NEXT) | instid1(VALU_DEP_2)
	v_pk_fma_f16 v7, v56, v8, v7
	v_pk_fma_f16 v108, v60, v9, v108
	s_delay_alu instid0(VALU_DEP_2) | instskip(NEXT) | instid1(VALU_DEP_2)
	v_pk_fma_f16 v7, v55, v9, v7
	v_pk_fma_f16 v108, v61, v10, v108
	;; [unrolled: 3-line block ×14, first 2 shown]
	s_delay_alu instid0(VALU_DEP_2) | instskip(NEXT) | instid1(VALU_DEP_1)
	v_pk_fma_f16 v7, v1, v107, v7
	v_pack_b32_f16 v8, v108, v7
	v_perm_b32 v7, v7, v108, 0x7060302
	s_delay_alu instid0(VALU_DEP_1) | instskip(NEXT) | instid1(VALU_DEP_1)
	v_pk_add_f16 v7, v8, v7
	v_pk_fma_f16 v23, v7, v6, v23
	v_mov_b32_e32 v7, s3
	s_add_i32 s3, s18, 0x608
	s_delay_alu instid0(SALU_CYCLE_1)
	v_mov_b32_e32 v8, s3
	s_add_i32 s3, s18, 0x610
	ds_load_2addr_b32 v[106:107], v7 offset1:1
	ds_load_2addr_b32 v[19:20], v8 offset1:1
	v_mov_b32_e32 v8, s3
	s_add_i32 s3, s18, 0x618
	ds_load_2addr_b32 v[17:18], v8 offset1:1
	v_mov_b32_e32 v8, s3
	s_add_i32 s3, s18, 0x620
	;; [unrolled: 3-line block ×3, first 2 shown]
	s_waitcnt lgkmcnt(3)
	v_pk_fma_f16 v7, v105, v106, 0
	ds_load_2addr_b32 v[13:14], v8 offset1:1
	v_pk_fma_f16 v74, v74, v106, 0
	v_pk_fma_f16 v58, v58, v106, 0
	;; [unrolled: 1-line block ×4, first 2 shown]
	v_mov_b32_e32 v8, s3
	v_pk_fma_f16 v74, v75, v107, v74
	v_pk_fma_f16 v58, v59, v107, v58
	;; [unrolled: 1-line block ×3, first 2 shown]
	s_waitcnt lgkmcnt(3)
	v_pk_fma_f16 v7, v103, v19, v7
	ds_load_2addr_b32 v[11:12], v8 offset1:1
	v_pk_fma_f16 v74, v76, v19, v74
	v_pk_fma_f16 v58, v60, v19, v58
	;; [unrolled: 1-line block ×4, first 2 shown]
	s_add_i32 s3, s18, 0x630
	v_pk_fma_f16 v74, v77, v20, v74
	v_mov_b32_e32 v8, s3
	v_pk_fma_f16 v58, v61, v20, v58
	s_waitcnt lgkmcnt(3)
	v_pk_fma_f16 v7, v101, v17, v7
	v_pk_fma_f16 v19, v54, v20, v19
	;; [unrolled: 1-line block ×3, first 2 shown]
	ds_load_2addr_b32 v[9:10], v8 offset1:1
	v_pk_fma_f16 v58, v62, v17, v58
	v_pk_fma_f16 v7, v100, v18, v7
	;; [unrolled: 1-line block ×4, first 2 shown]
	s_add_i32 s3, s18, 0x638
	v_pk_fma_f16 v58, v63, v18, v58
	s_waitcnt lgkmcnt(3)
	v_pk_fma_f16 v7, v99, v15, v7
	v_pk_fma_f16 v17, v52, v18, v17
	;; [unrolled: 1-line block ×3, first 2 shown]
	s_add_i32 s18, s18, 64
	v_pk_fma_f16 v58, v64, v15, v58
	v_pk_fma_f16 v7, v98, v16, v7
	;; [unrolled: 1-line block ×4, first 2 shown]
	s_cmp_ge_i32 s15, s20
	v_pk_fma_f16 v58, v65, v16, v58
	s_waitcnt lgkmcnt(2)
	v_pk_fma_f16 v7, v97, v13, v7
	v_pk_fma_f16 v15, v50, v16, v15
	;; [unrolled: 1-line block ×4, first 2 shown]
	s_delay_alu instid0(VALU_DEP_4) | instskip(NEXT) | instid1(VALU_DEP_4)
	v_pk_fma_f16 v7, v96, v14, v7
	v_pk_fma_f16 v13, v49, v13, v15
	s_delay_alu instid0(VALU_DEP_4) | instskip(NEXT) | instid1(VALU_DEP_4)
	v_pk_fma_f16 v74, v83, v14, v74
	v_pk_fma_f16 v58, v67, v14, v58
	s_waitcnt lgkmcnt(1)
	v_pk_fma_f16 v7, v95, v11, v7
	v_pk_fma_f16 v13, v48, v14, v13
	;; [unrolled: 1-line block ×4, first 2 shown]
	s_delay_alu instid0(VALU_DEP_4) | instskip(NEXT) | instid1(VALU_DEP_4)
	v_pk_fma_f16 v7, v94, v12, v7
	v_pk_fma_f16 v11, v47, v11, v13
	s_delay_alu instid0(VALU_DEP_4) | instskip(NEXT) | instid1(VALU_DEP_4)
	v_pk_fma_f16 v74, v85, v12, v74
	v_pk_fma_f16 v58, v69, v12, v58
	s_waitcnt lgkmcnt(0)
	v_pk_fma_f16 v7, v93, v9, v7
	v_pk_fma_f16 v11, v46, v12, v11
	;; [unrolled: 1-line block ×4, first 2 shown]
	s_delay_alu instid0(VALU_DEP_4)
	v_pk_fma_f16 v92, v92, v10, v7
	v_mov_b32_e32 v7, s3
	v_pk_fma_f16 v9, v45, v9, v11
	v_pk_fma_f16 v74, v87, v10, v74
	;; [unrolled: 1-line block ×3, first 2 shown]
	v_add_co_u32 v3, s3, v3, s22
	ds_load_2addr_b32 v[7:8], v7 offset1:1
	v_pk_fma_f16 v9, v44, v10, v9
	v_add_co_ci_u32_e64 v4, s3, s19, v4, s3
	s_waitcnt lgkmcnt(0)
	v_pk_fma_f16 v90, v90, v7, v92
	v_pk_fma_f16 v74, v88, v7, v74
	;; [unrolled: 1-line block ×4, first 2 shown]
	s_delay_alu instid0(VALU_DEP_4) | instskip(NEXT) | instid1(VALU_DEP_4)
	v_pk_fma_f16 v90, v91, v8, v90
	v_pk_fma_f16 v74, v89, v8, v74
	s_delay_alu instid0(VALU_DEP_4) | instskip(NEXT) | instid1(VALU_DEP_4)
	v_pk_fma_f16 v58, v73, v8, v58
	v_pk_fma_f16 v1, v1, v8, v7
	s_delay_alu instid0(VALU_DEP_3) | instskip(SKIP_1) | instid1(VALU_DEP_3)
	v_pack_b32_f16 v75, v90, v74
	v_perm_b32 v74, v74, v90, 0x7060302
	v_pack_b32_f16 v7, v58, v1
	v_perm_b32 v1, v1, v58, 0x7060302
	s_delay_alu instid0(VALU_DEP_3) | instskip(NEXT) | instid1(VALU_DEP_2)
	v_pk_add_f16 v74, v75, v74
	v_pk_add_f16 v1, v7, v1
	s_delay_alu instid0(VALU_DEP_2) | instskip(NEXT) | instid1(VALU_DEP_2)
	v_pk_fma_f16 v22, v74, v5, v22
	v_pk_fma_f16 v21, v1, v6, v21
	s_cbranch_scc1 .LBB40_54
.LBB40_37:                              ; =>This Inner Loop Header: Depth=1
	s_cmp_lg_u32 s15, s21
	s_cbranch_scc1 .LBB40_36
; %bb.38:                               ;   in Loop: Header=BB40_37 Depth=1
	s_add_i32 s14, s14, 1
                                        ; implicit-def: $vgpr1
	s_delay_alu instid0(SALU_CYCLE_1) | instskip(NEXT) | instid1(SALU_CYCLE_1)
	s_mul_i32 s25, s14, s16
	s_ashr_i32 s3, s25, 31
	s_delay_alu instid0(SALU_CYCLE_1) | instskip(NEXT) | instid1(SALU_CYCLE_1)
	s_lshr_b32 s3, s3, 27
	s_add_i32 s3, s25, s3
	s_delay_alu instid0(SALU_CYCLE_1) | instskip(SKIP_2) | instid1(VALU_DEP_1)
	s_ashr_i32 s3, s3, 5
	s_waitcnt vmcnt(0)
	v_mad_u64_u32 v[5:6], null, s3, 3, v[2:3]
	v_ashrrev_i32_e32 v6, 31, v5
	s_delay_alu instid0(VALU_DEP_1) | instskip(NEXT) | instid1(VALU_DEP_1)
	v_lshlrev_b64 v[5:6], 2, v[5:6]
	v_add_co_u32 v5, s3, s6, v5
	s_delay_alu instid0(VALU_DEP_1) | instskip(SKIP_2) | instid1(SALU_CYCLE_1)
	v_add_co_ci_u32_e64 v6, s3, s7, v6, s3
	global_load_b32 v7, v[5:6], off
	s_and_saveexec_b32 s3, vcc_lo
	s_xor_b32 s3, exec_lo, s3
	s_cbranch_execz .LBB40_52
; %bb.39:                               ;   in Loop: Header=BB40_37 Depth=1
                                        ; implicit-def: $vgpr1
	s_and_saveexec_b32 s26, s0
	s_delay_alu instid0(SALU_CYCLE_1)
	s_xor_b32 s26, exec_lo, s26
	s_cbranch_execz .LBB40_49
; %bb.40:                               ;   in Loop: Header=BB40_37 Depth=1
                                        ; implicit-def: $vgpr1
	s_and_saveexec_b32 s27, s1
	s_delay_alu instid0(SALU_CYCLE_1)
	;; [unrolled: 6-line block ×3, first 2 shown]
	s_xor_b32 s28, exec_lo, s28
	s_cbranch_execz .LBB40_43
; %bb.42:                               ;   in Loop: Header=BB40_37 Depth=1
	s_waitcnt vmcnt(0)
	v_lshrrev_b32_e32 v1, v37, v7
                                        ; implicit-def: $vgpr5_vgpr6
                                        ; implicit-def: $vgpr7
.LBB40_43:                              ;   in Loop: Header=BB40_37 Depth=1
	s_and_not1_saveexec_b32 s28, s28
	s_cbranch_execz .LBB40_45
; %bb.44:                               ;   in Loop: Header=BB40_37 Depth=1
	global_load_b32 v1, v[5:6], off offset:4
	s_waitcnt vmcnt(0)
	v_alignbit_b32 v1, v1, v7, 28
	s_delay_alu instid0(VALU_DEP_1)
	v_and_b32_e32 v1, 0xfff, v1
.LBB40_45:                              ;   in Loop: Header=BB40_37 Depth=1
	s_or_b32 exec_lo, exec_lo, s28
                                        ; implicit-def: $vgpr7
.LBB40_46:                              ;   in Loop: Header=BB40_37 Depth=1
	s_and_not1_saveexec_b32 s27, s27
	s_cbranch_execz .LBB40_48
; %bb.47:                               ;   in Loop: Header=BB40_37 Depth=1
	s_waitcnt vmcnt(0)
	v_lshrrev_b32_e32 v1, v38, v7
.LBB40_48:                              ;   in Loop: Header=BB40_37 Depth=1
	s_or_b32 exec_lo, exec_lo, s27
                                        ; implicit-def: $vgpr5_vgpr6
                                        ; implicit-def: $vgpr7
.LBB40_49:                              ;   in Loop: Header=BB40_37 Depth=1
	s_and_not1_saveexec_b32 s26, s26
	s_cbranch_execz .LBB40_51
; %bb.50:                               ;   in Loop: Header=BB40_37 Depth=1
	global_load_b32 v1, v[5:6], off offset:4
	s_waitcnt vmcnt(0)
	v_perm_b32 v1, v7, v1, 0x2010007
	s_delay_alu instid0(VALU_DEP_1)
	v_and_b32_e32 v1, 0xfff, v1
.LBB40_51:                              ;   in Loop: Header=BB40_37 Depth=1
	s_or_b32 exec_lo, exec_lo, s26
                                        ; implicit-def: $vgpr7
.LBB40_52:                              ;   in Loop: Header=BB40_37 Depth=1
	s_and_not1_saveexec_b32 s3, s3
	s_cbranch_execz .LBB40_35
; %bb.53:                               ;   in Loop: Header=BB40_37 Depth=1
	s_waitcnt vmcnt(0)
	v_lshrrev_b32_e32 v1, v31, v7
	s_branch .LBB40_35
.LBB40_54:
	v_mad_u64_u32 v[1:2], null, s12, s16, v[0:1]
	s_mov_b32 s0, 0
	s_delay_alu instid0(VALU_DEP_1) | instskip(NEXT) | instid1(VALU_DEP_1)
	v_ashrrev_i32_e32 v2, 31, v1
	v_lshlrev_b64 v[2:3], 1, v[1:2]
	s_delay_alu instid0(VALU_DEP_1) | instskip(NEXT) | instid1(VALU_DEP_2)
	v_add_co_u32 v2, vcc_lo, s10, v2
	v_add_co_ci_u32_e32 v3, vcc_lo, s11, v3, vcc_lo
	global_load_b32 v5, v[2:3], off
.LBB40_55:                              ; =>This Inner Loop Header: Depth=1
	s_waitcnt vmcnt(0)
	v_pk_add_f16 v4, v35, v5
	global_atomic_cmpswap_b32 v0, v[2:3], v[4:5], off glc
	s_waitcnt vmcnt(0)
	v_cmp_eq_u32_e32 vcc_lo, v5, v0
	v_mov_b32_e32 v5, v0
	s_or_b32 s0, vcc_lo, s0
	s_delay_alu instid0(SALU_CYCLE_1)
	s_and_not1_b32 exec_lo, exec_lo, s0
	s_cbranch_execnz .LBB40_55
; %bb.56:
	s_or_b32 exec_lo, exec_lo, s0
	global_load_b32 v5, v[2:3], off offset:4
	s_mov_b32 s0, 0
.LBB40_57:                              ; =>This Inner Loop Header: Depth=1
	s_waitcnt vmcnt(0)
	v_pk_add_f16 v4, v34, v5
	global_atomic_cmpswap_b32 v0, v[2:3], v[4:5], off offset:4 glc
	s_waitcnt vmcnt(0)
	v_cmp_eq_u32_e32 vcc_lo, v5, v0
	v_mov_b32_e32 v5, v0
	s_or_b32 s0, vcc_lo, s0
	s_delay_alu instid0(SALU_CYCLE_1)
	s_and_not1_b32 exec_lo, exec_lo, s0
	s_cbranch_execnz .LBB40_57
; %bb.58:
	s_or_b32 exec_lo, exec_lo, s0
	v_add_nc_u32_e32 v0, s16, v1
	s_mov_b32 s0, 0
	s_delay_alu instid0(VALU_DEP_1) | instskip(NEXT) | instid1(VALU_DEP_1)
	v_ashrrev_i32_e32 v1, 31, v0
	v_lshlrev_b64 v[1:2], 1, v[0:1]
	s_delay_alu instid0(VALU_DEP_1) | instskip(NEXT) | instid1(VALU_DEP_2)
	v_add_co_u32 v1, vcc_lo, s10, v1
	v_add_co_ci_u32_e32 v2, vcc_lo, s11, v2, vcc_lo
	global_load_b32 v4, v[1:2], off
.LBB40_59:                              ; =>This Inner Loop Header: Depth=1
	s_waitcnt vmcnt(0)
	v_pk_add_f16 v3, v33, v4
	global_atomic_cmpswap_b32 v3, v[1:2], v[3:4], off glc
	s_waitcnt vmcnt(0)
	v_cmp_eq_u32_e32 vcc_lo, v4, v3
	v_mov_b32_e32 v4, v3
	s_or_b32 s0, vcc_lo, s0
	s_delay_alu instid0(SALU_CYCLE_1)
	s_and_not1_b32 exec_lo, exec_lo, s0
	s_cbranch_execnz .LBB40_59
; %bb.60:
	s_or_b32 exec_lo, exec_lo, s0
	global_load_b32 v4, v[1:2], off offset:4
	s_mov_b32 s0, 0
.LBB40_61:                              ; =>This Inner Loop Header: Depth=1
	s_waitcnt vmcnt(0)
	v_pk_add_f16 v3, v32, v4
	global_atomic_cmpswap_b32 v3, v[1:2], v[3:4], off offset:4 glc
	s_waitcnt vmcnt(0)
	v_cmp_eq_u32_e32 vcc_lo, v4, v3
	v_mov_b32_e32 v4, v3
	s_or_b32 s0, vcc_lo, s0
	s_delay_alu instid0(SALU_CYCLE_1)
	s_and_not1_b32 exec_lo, exec_lo, s0
	s_cbranch_execnz .LBB40_61
; %bb.62:
	s_or_b32 exec_lo, exec_lo, s0
	v_add_nc_u32_e32 v0, s16, v0
	;; [unrolled: 37-line block ×6, first 2 shown]
	s_mov_b32 s0, 0
	s_delay_alu instid0(VALU_DEP_1) | instskip(NEXT) | instid1(VALU_DEP_1)
	v_ashrrev_i32_e32 v1, 31, v0
	v_lshlrev_b64 v[0:1], 1, v[0:1]
	s_delay_alu instid0(VALU_DEP_1) | instskip(NEXT) | instid1(VALU_DEP_2)
	v_add_co_u32 v0, vcc_lo, s10, v0
	v_add_co_ci_u32_e32 v1, vcc_lo, s11, v1, vcc_lo
	global_load_b32 v3, v[0:1], off
.LBB40_79:                              ; =>This Inner Loop Header: Depth=1
	s_waitcnt vmcnt(0)
	v_pk_add_f16 v2, v22, v3
	global_atomic_cmpswap_b32 v2, v[0:1], v[2:3], off glc
	s_waitcnt vmcnt(0)
	v_cmp_eq_u32_e32 vcc_lo, v3, v2
	v_mov_b32_e32 v3, v2
	s_or_b32 s0, vcc_lo, s0
	s_delay_alu instid0(SALU_CYCLE_1)
	s_and_not1_b32 exec_lo, exec_lo, s0
	s_cbranch_execnz .LBB40_79
; %bb.80:
	s_or_b32 exec_lo, exec_lo, s0
	global_load_b32 v3, v[0:1], off offset:4
	s_mov_b32 s0, 0
.LBB40_81:                              ; =>This Inner Loop Header: Depth=1
	s_waitcnt vmcnt(0)
	v_pk_add_f16 v2, v21, v3
	global_atomic_cmpswap_b32 v2, v[0:1], v[2:3], off offset:4 glc
	s_waitcnt vmcnt(0)
	v_cmp_eq_u32_e32 vcc_lo, v3, v2
	v_mov_b32_e32 v3, v2
	s_or_b32 s0, vcc_lo, s0
	s_delay_alu instid0(SALU_CYCLE_1)
	s_and_not1_b32 exec_lo, exec_lo, s0
	s_cbranch_execnz .LBB40_81
.LBB40_82:
	s_endpgm
	.section	.rodata,"a",@progbits
	.p2align	6, 0x0
	.amdhsa_kernel _ZN4vllm4gptq33gemm_half_q_half_gptq_3bit_kernelILb1ELi7EEEvPK6__halfPKjS6_S4_PS2_iiiibPKi
		.amdhsa_group_segment_fixed_size 1792
		.amdhsa_private_segment_fixed_size 0
		.amdhsa_kernarg_size 72
		.amdhsa_user_sgpr_count 13
		.amdhsa_user_sgpr_dispatch_ptr 0
		.amdhsa_user_sgpr_queue_ptr 0
		.amdhsa_user_sgpr_kernarg_segment_ptr 1
		.amdhsa_user_sgpr_dispatch_id 0
		.amdhsa_user_sgpr_private_segment_size 0
		.amdhsa_wavefront_size32 1
		.amdhsa_uses_dynamic_stack 0
		.amdhsa_enable_private_segment 0
		.amdhsa_system_sgpr_workgroup_id_x 1
		.amdhsa_system_sgpr_workgroup_id_y 1
		.amdhsa_system_sgpr_workgroup_id_z 1
		.amdhsa_system_sgpr_workgroup_info 0
		.amdhsa_system_vgpr_workitem_id 0
		.amdhsa_next_free_vgpr 112
		.amdhsa_next_free_sgpr 29
		.amdhsa_reserve_vcc 1
		.amdhsa_float_round_mode_32 0
		.amdhsa_float_round_mode_16_64 0
		.amdhsa_float_denorm_mode_32 3
		.amdhsa_float_denorm_mode_16_64 3
		.amdhsa_dx10_clamp 1
		.amdhsa_ieee_mode 1
		.amdhsa_fp16_overflow 0
		.amdhsa_workgroup_processor_mode 1
		.amdhsa_memory_ordered 1
		.amdhsa_forward_progress 0
		.amdhsa_shared_vgpr_count 0
		.amdhsa_exception_fp_ieee_invalid_op 0
		.amdhsa_exception_fp_denorm_src 0
		.amdhsa_exception_fp_ieee_div_zero 0
		.amdhsa_exception_fp_ieee_overflow 0
		.amdhsa_exception_fp_ieee_underflow 0
		.amdhsa_exception_fp_ieee_inexact 0
		.amdhsa_exception_int_div_zero 0
	.end_amdhsa_kernel
	.section	.text._ZN4vllm4gptq33gemm_half_q_half_gptq_3bit_kernelILb1ELi7EEEvPK6__halfPKjS6_S4_PS2_iiiibPKi,"axG",@progbits,_ZN4vllm4gptq33gemm_half_q_half_gptq_3bit_kernelILb1ELi7EEEvPK6__halfPKjS6_S4_PS2_iiiibPKi,comdat
.Lfunc_end40:
	.size	_ZN4vllm4gptq33gemm_half_q_half_gptq_3bit_kernelILb1ELi7EEEvPK6__halfPKjS6_S4_PS2_iiiibPKi, .Lfunc_end40-_ZN4vllm4gptq33gemm_half_q_half_gptq_3bit_kernelILb1ELi7EEEvPK6__halfPKjS6_S4_PS2_iiiibPKi
                                        ; -- End function
	.section	.AMDGPU.csdata,"",@progbits
; Kernel info:
; codeLenInByte = 11440
; NumSgprs: 31
; NumVgprs: 112
; ScratchSize: 0
; MemoryBound: 0
; FloatMode: 240
; IeeeMode: 1
; LDSByteSize: 1792 bytes/workgroup (compile time only)
; SGPRBlocks: 3
; VGPRBlocks: 13
; NumSGPRsForWavesPerEU: 31
; NumVGPRsForWavesPerEU: 112
; Occupancy: 12
; WaveLimiterHint : 0
; COMPUTE_PGM_RSRC2:SCRATCH_EN: 0
; COMPUTE_PGM_RSRC2:USER_SGPR: 13
; COMPUTE_PGM_RSRC2:TRAP_HANDLER: 0
; COMPUTE_PGM_RSRC2:TGID_X_EN: 1
; COMPUTE_PGM_RSRC2:TGID_Y_EN: 1
; COMPUTE_PGM_RSRC2:TGID_Z_EN: 1
; COMPUTE_PGM_RSRC2:TIDIG_COMP_CNT: 0
	.section	.text._ZN4vllm4gptq33gemm_half_q_half_gptq_4bit_kernelILb1ELi7EEEvPK6__halfPKjS6_S4_PS2_iiiibPKi,"axG",@progbits,_ZN4vllm4gptq33gemm_half_q_half_gptq_4bit_kernelILb1ELi7EEEvPK6__halfPKjS6_S4_PS2_iiiibPKi,comdat
	.protected	_ZN4vllm4gptq33gemm_half_q_half_gptq_4bit_kernelILb1ELi7EEEvPK6__halfPKjS6_S4_PS2_iiiibPKi ; -- Begin function _ZN4vllm4gptq33gemm_half_q_half_gptq_4bit_kernelILb1ELi7EEEvPK6__halfPKjS6_S4_PS2_iiiibPKi
	.globl	_ZN4vllm4gptq33gemm_half_q_half_gptq_4bit_kernelILb1ELi7EEEvPK6__halfPKjS6_S4_PS2_iiiibPKi
	.p2align	8
	.type	_ZN4vllm4gptq33gemm_half_q_half_gptq_4bit_kernelILb1ELi7EEEvPK6__halfPKjS6_S4_PS2_iiiibPKi,@function
_ZN4vllm4gptq33gemm_half_q_half_gptq_4bit_kernelILb1ELi7EEEvPK6__halfPKjS6_S4_PS2_iiiibPKi: ; @_ZN4vllm4gptq33gemm_half_q_half_gptq_4bit_kernelILb1ELi7EEEvPK6__halfPKjS6_S4_PS2_iiiibPKi
; %bb.0:
	s_load_b128 s[16:19], s[0:1], 0x2c
	s_lshl_b32 s15, s15, 7
	s_load_b256 s[4:11], s[0:1], 0x8
	s_add_i32 s2, s15, 0x80
	s_mul_i32 s12, s14, 7
	v_cvt_f64_u32_e32 v[1:2], s2
	s_mov_b32 s14, exec_lo
	s_waitcnt lgkmcnt(0)
	v_cvt_f64_i32_e32 v[3:4], s17
	s_delay_alu instid0(VALU_DEP_1) | instskip(NEXT) | instid1(VALU_DEP_1)
	v_min_f64 v[1:2], v[1:2], v[3:4]
	v_cvt_i32_f64_e32 v2, v[1:2]
	v_add_nc_u32_e32 v1, s15, v0
	s_delay_alu instid0(VALU_DEP_2) | instskip(NEXT) | instid1(VALU_DEP_2)
	v_readfirstlane_b32 s20, v2
	v_cmpx_lt_u32_e64 v1, v2
	s_cbranch_execz .LBB41_16
; %bb.1:
	s_clause 0x1
	s_load_b64 s[2:3], s[0:1], 0x40
	s_load_b64 s[0:1], s[0:1], 0x0
	v_mov_b32_e32 v2, 0
	s_delay_alu instid0(VALU_DEP_1) | instskip(SKIP_2) | instid1(VALU_DEP_2)
	v_lshlrev_b64 v[3:4], 2, v[1:2]
	v_dual_mov_b32 v6, v2 :: v_dual_mov_b32 v5, v1
	s_waitcnt lgkmcnt(0)
	v_add_co_u32 v3, vcc_lo, s2, v3
	s_delay_alu instid0(VALU_DEP_3)
	v_add_co_ci_u32_e32 v4, vcc_lo, s3, v4, vcc_lo
	s_cmp_lg_u64 s[2:3], 0
	s_cselect_b32 s21, -1, 0
	s_cmp_eq_u64 s[2:3], 0
	s_cbranch_scc1 .LBB41_3
; %bb.2:
	global_load_b32 v5, v[3:4], off
	s_waitcnt vmcnt(0)
	v_ashrrev_i32_e32 v6, 31, v5
.LBB41_3:
	s_mul_i32 s2, s12, s17
	s_delay_alu instid0(VALU_DEP_1)
	v_lshlrev_b64 v[5:6], 1, v[5:6]
	s_ashr_i32 s3, s2, 31
	v_lshlrev_b32_e32 v7, 1, v0
	s_lshl_b64 s[22:23], s[2:3], 1
	v_cndmask_b32_e64 v8, 0, 1, s21
	s_add_u32 s3, s0, s22
	s_addc_u32 s22, s1, s23
	v_add_co_u32 v5, vcc_lo, s3, v5
	v_add_co_ci_u32_e32 v6, vcc_lo, s22, v6, vcc_lo
	s_and_not1_b32 vcc_lo, exec_lo, s21
	global_load_u16 v9, v[5:6], off
	v_dual_mov_b32 v6, v2 :: v_dual_mov_b32 v5, v1
	s_waitcnt vmcnt(0)
	ds_store_b16 v7, v9
	s_cbranch_vccnz .LBB41_5
; %bb.4:
	global_load_b32 v5, v[3:4], off
	s_waitcnt vmcnt(0)
	v_ashrrev_i32_e32 v6, 31, v5
.LBB41_5:
	s_add_i32 s2, s2, s17
	s_delay_alu instid0(VALU_DEP_1) | instskip(SKIP_1) | instid1(SALU_CYCLE_1)
	v_lshlrev_b64 v[5:6], 1, v[5:6]
	s_ashr_i32 s3, s2, 31
	s_lshl_b64 s[22:23], s[2:3], 1
	s_delay_alu instid0(SALU_CYCLE_1) | instskip(SKIP_1) | instid1(VALU_DEP_1)
	s_add_u32 s3, s0, s22
	s_addc_u32 s21, s1, s23
	v_add_co_u32 v5, vcc_lo, s3, v5
	v_add_co_ci_u32_e32 v6, vcc_lo, s21, v6, vcc_lo
	v_cmp_ne_u32_e32 vcc_lo, 1, v8
	global_load_u16 v9, v[5:6], off
	v_dual_mov_b32 v6, v2 :: v_dual_mov_b32 v5, v1
	s_waitcnt vmcnt(0)
	ds_store_b16 v7, v9 offset:256
	s_cbranch_vccnz .LBB41_7
; %bb.6:
	global_load_b32 v5, v[3:4], off
	s_waitcnt vmcnt(0)
	v_ashrrev_i32_e32 v6, 31, v5
.LBB41_7:
	s_add_i32 s2, s2, s17
	s_delay_alu instid0(VALU_DEP_1) | instskip(SKIP_1) | instid1(SALU_CYCLE_1)
	v_lshlrev_b64 v[5:6], 1, v[5:6]
	s_ashr_i32 s3, s2, 31
	s_lshl_b64 s[22:23], s[2:3], 1
	s_delay_alu instid0(SALU_CYCLE_1) | instskip(SKIP_1) | instid1(VALU_DEP_1)
	s_add_u32 s3, s0, s22
	s_addc_u32 s21, s1, s23
	v_add_co_u32 v5, vcc_lo, s3, v5
	v_add_co_ci_u32_e32 v6, vcc_lo, s21, v6, vcc_lo
	v_cmp_ne_u32_e32 vcc_lo, 1, v8
	global_load_u16 v9, v[5:6], off
	v_dual_mov_b32 v6, v2 :: v_dual_mov_b32 v5, v1
	s_waitcnt vmcnt(0)
	ds_store_b16 v7, v9 offset:512
	s_cbranch_vccnz .LBB41_9
; %bb.8:
	global_load_b32 v5, v[3:4], off
	s_waitcnt vmcnt(0)
	v_ashrrev_i32_e32 v6, 31, v5
.LBB41_9:
	s_add_i32 s2, s2, s17
	s_delay_alu instid0(VALU_DEP_1) | instskip(SKIP_1) | instid1(SALU_CYCLE_1)
	v_lshlrev_b64 v[5:6], 1, v[5:6]
	s_ashr_i32 s3, s2, 31
	s_lshl_b64 s[22:23], s[2:3], 1
	s_delay_alu instid0(SALU_CYCLE_1) | instskip(SKIP_1) | instid1(VALU_DEP_1)
	s_add_u32 s3, s0, s22
	s_addc_u32 s21, s1, s23
	v_add_co_u32 v5, vcc_lo, s3, v5
	v_add_co_ci_u32_e32 v6, vcc_lo, s21, v6, vcc_lo
	v_cmp_ne_u32_e32 vcc_lo, 1, v8
	global_load_u16 v9, v[5:6], off
	v_dual_mov_b32 v6, v2 :: v_dual_mov_b32 v5, v1
	s_waitcnt vmcnt(0)
	ds_store_b16 v7, v9 offset:768
	s_cbranch_vccnz .LBB41_11
; %bb.10:
	global_load_b32 v5, v[3:4], off
	s_waitcnt vmcnt(0)
	v_ashrrev_i32_e32 v6, 31, v5
.LBB41_11:
	s_add_i32 s2, s2, s17
	s_delay_alu instid0(VALU_DEP_1) | instskip(SKIP_1) | instid1(SALU_CYCLE_1)
	v_lshlrev_b64 v[5:6], 1, v[5:6]
	s_ashr_i32 s3, s2, 31
	s_lshl_b64 s[22:23], s[2:3], 1
	s_delay_alu instid0(SALU_CYCLE_1) | instskip(SKIP_1) | instid1(VALU_DEP_1)
	s_add_u32 s3, s0, s22
	s_addc_u32 s21, s1, s23
	v_add_co_u32 v5, vcc_lo, s3, v5
	v_add_co_ci_u32_e32 v6, vcc_lo, s21, v6, vcc_lo
	v_cmp_ne_u32_e32 vcc_lo, 1, v8
	global_load_u16 v9, v[5:6], off
	v_dual_mov_b32 v6, v2 :: v_dual_mov_b32 v5, v1
	s_waitcnt vmcnt(0)
	ds_store_b16 v7, v9 offset:1024
	s_cbranch_vccnz .LBB41_13
; %bb.12:
	global_load_b32 v5, v[3:4], off
	s_waitcnt vmcnt(0)
	v_ashrrev_i32_e32 v6, 31, v5
.LBB41_13:
	s_add_i32 s2, s2, s17
	s_delay_alu instid0(VALU_DEP_1) | instskip(SKIP_1) | instid1(SALU_CYCLE_1)
	v_lshlrev_b64 v[5:6], 1, v[5:6]
	s_ashr_i32 s3, s2, 31
	s_lshl_b64 s[22:23], s[2:3], 1
	s_delay_alu instid0(SALU_CYCLE_1) | instskip(SKIP_1) | instid1(VALU_DEP_1)
	s_add_u32 s3, s0, s22
	s_addc_u32 s21, s1, s23
	v_add_co_u32 v5, vcc_lo, s3, v5
	v_add_co_ci_u32_e32 v6, vcc_lo, s21, v6, vcc_lo
	v_cmp_ne_u32_e32 vcc_lo, 1, v8
	global_load_u16 v5, v[5:6], off
	s_waitcnt vmcnt(0)
	ds_store_b16 v7, v5 offset:1280
	s_cbranch_vccnz .LBB41_15
; %bb.14:
	global_load_b32 v1, v[3:4], off
	s_waitcnt vmcnt(0)
	v_ashrrev_i32_e32 v2, 31, v1
.LBB41_15:
	s_add_i32 s2, s2, s17
	s_delay_alu instid0(VALU_DEP_1) | instskip(SKIP_1) | instid1(SALU_CYCLE_1)
	v_lshlrev_b64 v[1:2], 1, v[1:2]
	s_ashr_i32 s3, s2, 31
	s_lshl_b64 s[2:3], s[2:3], 1
	s_delay_alu instid0(SALU_CYCLE_1) | instskip(SKIP_1) | instid1(VALU_DEP_1)
	s_add_u32 s0, s0, s2
	s_addc_u32 s1, s1, s3
	v_add_co_u32 v1, vcc_lo, s0, v1
	v_add_co_ci_u32_e32 v2, vcc_lo, s1, v2, vcc_lo
	global_load_u16 v1, v[1:2], off
	s_waitcnt vmcnt(0)
	ds_store_b16 v7, v1 offset:1536
.LBB41_16:
	s_or_b32 exec_lo, exec_lo, s14
	v_lshlrev_b32_e32 v1, 2, v0
	s_mov_b32 s0, exec_lo
	s_delay_alu instid0(VALU_DEP_1) | instskip(NEXT) | instid1(VALU_DEP_1)
	v_lshl_add_u32 v1, s13, 9, v1
	v_cmpx_gt_i32_e64 s16, v1
	s_cbranch_execz .LBB41_51
; %bb.17:
	s_abs_i32 s0, s18
	v_dual_mov_b32 v5, 0 :: v_dual_mov_b32 v6, 0
	v_cvt_f32_u32_e32 v2, s0
	v_dual_mov_b32 v7, 0 :: v_dual_mov_b32 v8, 0
	v_dual_mov_b32 v9, 0 :: v_dual_mov_b32 v10, 0
	s_delay_alu instid0(VALU_DEP_3)
	v_rcp_iflag_f32_e32 v2, v2
	v_mov_b32_e32 v17, 0
	v_dual_mov_b32 v11, 0 :: v_dual_mov_b32 v12, 0
	v_dual_mov_b32 v13, 0 :: v_dual_mov_b32 v14, 0
	;; [unrolled: 1-line block ×4, first 2 shown]
	s_waitcnt_depctr 0xfff
	v_dual_mul_f32 v2, 0x4f7ffffe, v2 :: v_dual_mov_b32 v33, 0
	v_mov_b32_e32 v34, 0
	v_dual_mov_b32 v36, 0 :: v_dual_mov_b32 v37, 0
	s_delay_alu instid0(VALU_DEP_3) | instskip(SKIP_2) | instid1(VALU_DEP_3)
	v_cvt_u32_f32_e32 v2, v2
	v_dual_mov_b32 v38, 0 :: v_dual_mov_b32 v39, 0
	v_dual_mov_b32 v40, 0 :: v_dual_mov_b32 v41, 0
	v_readfirstlane_b32 s1, v2
	v_dual_mov_b32 v42, 0 :: v_dual_mov_b32 v43, 0
	v_dual_mov_b32 v44, 0 :: v_dual_mov_b32 v45, 0
	v_mov_b32_e32 v46, 0
	s_cmp_ge_i32 s15, s20
	s_mov_b32 s13, 0
	s_waitcnt lgkmcnt(0)
	s_barrier
	buffer_gl0_inv
	s_cbranch_scc1 .LBB41_23
; %bb.18:
	s_sub_i32 s2, 0, s0
	s_abs_i32 s3, s17
	s_mul_i32 s2, s2, s1
	s_ashr_i32 s14, s18, 31
	s_mul_hi_u32 s2, s1, s2
	v_dual_mov_b32 v10, 0 :: v_dual_lshlrev_b32 v37, 4, v0
	s_add_i32 s1, s1, s2
	s_ashr_i32 s2, s17, 31
	s_mul_hi_u32 s1, s3, s1
	s_xor_b32 s2, s2, s14
	s_mul_i32 s17, s1, s0
	s_add_i32 s14, s1, 1
	s_sub_i32 s3, s3, s17
	v_and_b32_e32 v33, 16, v37
	s_sub_i32 s17, s3, s0
	s_cmp_ge_u32 s3, s0
	v_dual_mov_b32 v9, 0 :: v_dual_mov_b32 v14, 0
	s_cselect_b32 s1, s14, s1
	s_cselect_b32 s3, s17, s3
	s_add_i32 s14, s1, 1
	s_cmp_ge_u32 s3, s0
	v_dual_mov_b32 v11, 0 :: v_dual_mov_b32 v16, 0
	s_cselect_b32 s0, s14, s1
	v_dual_mov_b32 v13, 0 :: v_dual_mov_b32 v18, 0
	s_xor_b32 s0, s0, s2
	v_dual_mov_b32 v15, 0 :: v_dual_mov_b32 v20, 0
	s_sub_i32 s14, s0, s2
	s_bitcmp1_b32 s19, 0
	v_cvt_f32_u32_e32 v2, s14
	s_cselect_b32 s1, -1, 0
	s_sub_i32 s2, 0, s14
	s_xor_b32 s3, s1, -1
	v_dual_mov_b32 v17, 0 :: v_dual_mov_b32 v22, 0
	v_rcp_iflag_f32_e32 v2, v2
	v_cndmask_b32_e64 v34, 0, 1, s3
	v_dual_mov_b32 v19, 0 :: v_dual_mov_b32 v24, 0
	v_dual_mov_b32 v21, 0 :: v_dual_mov_b32 v26, 0
	v_dual_mov_b32 v23, 0 :: v_dual_mov_b32 v28, 0
	v_dual_mov_b32 v25, 0 :: v_dual_mov_b32 v30, 0
	s_waitcnt_depctr 0xfff
	v_dual_mul_f32 v2, 0x4f7ffffe, v2 :: v_dual_mov_b32 v27, 0
	v_mov_b32_e32 v32, 0
	v_mov_b32_e32 v0, 0
	v_mov_b32_e32 v12, 0
	s_delay_alu instid0(VALU_DEP_4) | instskip(NEXT) | instid1(VALU_DEP_1)
	v_cvt_u32_f32_e32 v2, v2
	v_readfirstlane_b32 s0, v2
	v_ashrrev_i32_e32 v2, 31, v1
	s_delay_alu instid0(VALU_DEP_2) | instskip(NEXT) | instid1(VALU_DEP_1)
	s_mul_i32 s2, s2, s0
	v_lshrrev_b32_e32 v3, 29, v2
	s_mul_hi_u32 s2, s0, s2
	s_delay_alu instid0(SALU_CYCLE_1) | instskip(NEXT) | instid1(SALU_CYCLE_1)
	s_add_i32 s0, s0, s2
	s_mul_hi_u32 s0, s15, s0
	s_delay_alu instid0(VALU_DEP_1) | instskip(SKIP_1) | instid1(SALU_CYCLE_1)
	v_add_nc_u32_e32 v3, v1, v3
	s_mul_i32 s2, s0, s14
	s_sub_i32 s1, s15, s2
	s_add_i32 s2, s0, 1
	s_sub_i32 s17, s1, s14
	s_cmp_ge_u32 s1, s14
	v_ashrrev_i32_e32 v6, 3, v3
	s_cselect_b32 s0, s2, s0
	s_cselect_b32 s1, s17, s1
	s_add_i32 s2, s0, 1
	s_cmp_ge_u32 s1, s14
	s_cselect_b32 s18, s2, s0
	s_delay_alu instid0(SALU_CYCLE_1) | instskip(NEXT) | instid1(SALU_CYCLE_1)
	s_mul_i32 s0, s18, s16
	s_ashr_i32 s1, s0, 31
	v_add_nc_u32_e32 v3, s0, v1
	s_lshr_b32 s1, s1, 29
	s_delay_alu instid0(SALU_CYCLE_1) | instskip(NEXT) | instid1(SALU_CYCLE_1)
	s_add_i32 s0, s0, s1
	s_ashr_i32 s0, s0, 3
	s_delay_alu instid0(VALU_DEP_1) | instskip(SKIP_2) | instid1(SALU_CYCLE_1)
	v_ashrrev_i32_e32 v4, 31, v3
	v_add_nc_u32_e32 v7, s0, v6
	s_lshr_b32 s0, s15, 3
	s_mul_i32 s0, s0, s16
	s_delay_alu instid0(VALU_DEP_2) | instskip(NEXT) | instid1(VALU_DEP_2)
	v_lshlrev_b64 v[3:4], 1, v[3:4]
	v_ashrrev_i32_e32 v8, 31, v7
	s_ashr_i32 s1, s0, 31
	s_delay_alu instid0(SALU_CYCLE_1) | instskip(NEXT) | instid1(VALU_DEP_1)
	s_lshl_b64 s[0:1], s[0:1], 2
	v_lshlrev_b64 v[7:8], 2, v[7:8]
	s_delay_alu instid0(VALU_DEP_3) | instskip(SKIP_2) | instid1(VALU_DEP_3)
	v_add_co_u32 v3, vcc_lo, s8, v3
	v_add_co_ci_u32_e32 v4, vcc_lo, s9, v4, vcc_lo
	s_add_u32 s0, s4, s0
	v_add_co_u32 v7, vcc_lo, s6, v7
	s_delay_alu instid0(VALU_DEP_4)
	v_add_co_ci_u32_e32 v8, vcc_lo, s7, v8, vcc_lo
	global_load_b64 v[4:5], v[3:4], off
	global_load_b32 v35, v[7:8], off
	v_mov_b32_e32 v8, 0
	v_lshlrev_b64 v[2:3], 2, v[1:2]
	s_addc_u32 s1, s5, s1
	v_mov_b32_e32 v7, 0
	s_ashr_i32 s17, s16, 31
	s_add_i32 s4, s14, s15
	s_lshl_b64 s[2:3], s[16:17], 2
	v_add_co_u32 v2, vcc_lo, s0, v2
	v_add_co_ci_u32_e32 v3, vcc_lo, s1, v3, vcc_lo
	s_lshl_b64 s[0:1], s[16:17], 4
	s_mov_b32 s5, 0xf000f
	s_mov_b32 s17, 0xf000f0
	s_waitcnt vmcnt(1)
	v_cvt_f32_f16_e32 v36, v4
	v_lshrrev_b32_e32 v4, 16, v4
	s_waitcnt vmcnt(0)
	v_lshrrev_b32_e32 v39, v37, v35
	v_cvt_f32_f16_e32 v37, v5
	v_lshrrev_b32_e32 v5, 16, v5
	v_bfe_u32 v35, v35, v33, 4
	v_cvt_f32_f16_e32 v38, v4
	v_bfe_u32 v4, v39, 12, 4
	v_bfe_u32 v40, v39, 8, 4
	;; [unrolled: 1-line block ×3, first 2 shown]
	v_mov_b32_e32 v29, 0
	v_mov_b32_e32 v31, 0
	v_add_nc_u32_e32 v35, v35, v34
	v_cvt_f32_f16_e32 v39, v5
	v_add_nc_u32_e32 v4, v4, v34
	v_add_nc_u32_e32 v5, v40, v34
	;; [unrolled: 1-line block ×3, first 2 shown]
	v_cvt_f32_ubyte0_e32 v41, v35
	v_or_b32_e32 v35, 0xffffe400, v35
	v_cvt_f32_ubyte0_e32 v42, v4
	v_or_b32_e32 v4, 0xffffe400, v4
	v_cvt_f32_ubyte0_e32 v43, v5
	v_cvt_f32_ubyte0_e32 v44, v40
	v_or_b32_e32 v5, 0xffffe400, v5
	v_or_b32_e32 v45, 0xffffe400, v40
	v_cvt_f16_f32_e32 v46, v41
	v_perm_b32 v40, v35, v35, 0x5040100
	v_cvt_f16_f32_e32 v35, v42
	v_perm_b32 v42, v4, v4, 0x5040100
	v_cvt_f16_f32_e32 v4, v43
	v_cvt_f16_f32_e32 v43, v44
	v_perm_b32 v41, v5, v5, 0x5040100
	v_sub_f16_e32 v5, 0xd400, v46
	v_sub_f16_e32 v35, 0xd400, v35
	;; [unrolled: 1-line block ×4, first 2 shown]
	v_perm_b32 v43, v45, v45, 0x5040100
	v_pack_b32_f16 v44, v5, v5
	v_pack_b32_f16 v45, v35, v35
	;; [unrolled: 1-line block ×4, first 2 shown]
	v_mov_b32_e32 v35, 0
	s_branch .LBB41_20
.LBB41_19:                              ;   in Loop: Header=BB41_20 Depth=1
	global_load_b128 v[48:51], v[2:3], off
	s_add_i32 s19, s13, 0x400
	s_add_i32 s15, s15, 32
	s_waitcnt vmcnt(0)
	v_and_or_b32 v4, v48, s5, 0x64006400
	v_and_or_b32 v5, v48, s17, 0x64006400
	v_lshrrev_b32_e32 v48, 8, v48
	s_delay_alu instid0(VALU_DEP_3) | instskip(NEXT) | instid1(VALU_DEP_3)
	v_pk_add_f16 v53, v40, v4
	v_pk_fma_f16 v54, 0x2c00, v5, v44 op_sel_hi:[0,1,1]
	s_delay_alu instid0(VALU_DEP_3) | instskip(SKIP_3) | instid1(VALU_DEP_4)
	v_and_or_b32 v52, v48, s5, 0x64006400
	v_and_or_b32 v48, v48, s17, 0x64006400
	;; [unrolled: 1-line block ×4, first 2 shown]
	v_pk_add_f16 v52, v40, v52
	s_delay_alu instid0(VALU_DEP_4)
	v_pk_fma_f16 v55, 0x2c00, v48, v44 op_sel_hi:[0,1,1]
	v_lshrrev_b32_e32 v48, 8, v49
	v_pk_add_f16 v56, v43, v4
	v_pk_fma_f16 v57, 0x2c00, v5, v47 op_sel_hi:[0,1,1]
	v_and_or_b32 v4, v50, s5, 0x64006400
	v_and_or_b32 v5, v50, s17, 0x64006400
	;; [unrolled: 1-line block ×4, first 2 shown]
	s_delay_alu instid0(VALU_DEP_4) | instskip(NEXT) | instid1(VALU_DEP_4)
	v_pk_add_f16 v60, v41, v4
	v_pk_fma_f16 v61, 0x2c00, v5, v46 op_sel_hi:[0,1,1]
	s_delay_alu instid0(VALU_DEP_4) | instskip(NEXT) | instid1(VALU_DEP_4)
	v_pk_add_f16 v58, v43, v49
	v_pk_fma_f16 v59, 0x2c00, v48, v47 op_sel_hi:[0,1,1]
	v_lshrrev_b32_e32 v48, 8, v50
	v_and_or_b32 v4, v51, s5, 0x64006400
	v_and_or_b32 v5, v51, s17, 0x64006400
	s_delay_alu instid0(VALU_DEP_3) | instskip(SKIP_1) | instid1(VALU_DEP_3)
	v_and_or_b32 v49, v48, s5, 0x64006400
	v_and_or_b32 v48, v48, s17, 0x64006400
	v_pk_fma_f16 v64, 0x2c00, v5, v45 op_sel_hi:[0,1,1]
	s_delay_alu instid0(VALU_DEP_3) | instskip(NEXT) | instid1(VALU_DEP_3)
	v_pk_add_f16 v62, v41, v49
	v_pk_fma_f16 v63, 0x2c00, v48, v46 op_sel_hi:[0,1,1]
	v_lshrrev_b32_e32 v48, 8, v51
	v_pk_add_f16 v51, v42, v4
	s_delay_alu instid0(VALU_DEP_2) | instskip(SKIP_1) | instid1(VALU_DEP_2)
	v_and_or_b32 v49, v48, s5, 0x64006400
	v_and_or_b32 v48, v48, s17, 0x64006400
	v_pk_add_f16 v65, v42, v49
	s_delay_alu instid0(VALU_DEP_2) | instskip(SKIP_4) | instid1(VALU_DEP_1)
	v_pk_fma_f16 v66, 0x2c00, v48, v45 op_sel_hi:[0,1,1]
	v_mov_b32_e32 v48, s13
	ds_load_2addr_b32 v[4:5], v48 offset1:1
	s_waitcnt lgkmcnt(0)
	v_pk_fma_f16 v49, v53, v4, 0
	v_pk_fma_f16 v67, v54, v5, v49
	ds_load_2addr_b32 v[49:50], v48 offset0:2 offset1:3
	s_waitcnt lgkmcnt(0)
	v_pk_fma_f16 v67, v52, v49, v67
	s_delay_alu instid0(VALU_DEP_1) | instskip(NEXT) | instid1(VALU_DEP_1)
	v_pk_fma_f16 v67, v55, v50, v67
	v_cvt_f32_f16_e32 v68, v67
	v_lshrrev_b32_e32 v67, 16, v67
	s_delay_alu instid0(VALU_DEP_1) | instskip(NEXT) | instid1(VALU_DEP_1)
	v_cvt_f32_f16_e32 v67, v67
	v_add_f32_e32 v67, v68, v67
	s_delay_alu instid0(VALU_DEP_1) | instskip(SKIP_1) | instid1(VALU_DEP_1)
	v_fmac_f32_e32 v0, v67, v36
	v_pk_fma_f16 v67, v56, v4, 0
	v_pk_fma_f16 v67, v57, v5, v67
	s_delay_alu instid0(VALU_DEP_1) | instskip(NEXT) | instid1(VALU_DEP_1)
	v_pk_fma_f16 v67, v58, v49, v67
	v_pk_fma_f16 v67, v59, v50, v67
	s_delay_alu instid0(VALU_DEP_1) | instskip(SKIP_1) | instid1(VALU_DEP_1)
	v_cvt_f32_f16_e32 v68, v67
	v_lshrrev_b32_e32 v67, 16, v67
	v_cvt_f32_f16_e32 v67, v67
	s_delay_alu instid0(VALU_DEP_1) | instskip(NEXT) | instid1(VALU_DEP_1)
	v_add_f32_e32 v67, v68, v67
	v_fmac_f32_e32 v7, v67, v38
	v_pk_fma_f16 v67, v60, v4, 0
	v_pk_fma_f16 v4, v51, v4, 0
	s_delay_alu instid0(VALU_DEP_2) | instskip(NEXT) | instid1(VALU_DEP_2)
	v_pk_fma_f16 v67, v61, v5, v67
	v_pk_fma_f16 v4, v64, v5, v4
	s_delay_alu instid0(VALU_DEP_2) | instskip(NEXT) | instid1(VALU_DEP_2)
	;; [unrolled: 3-line block ×3, first 2 shown]
	v_pk_fma_f16 v67, v63, v50, v67
	v_pk_fma_f16 v4, v66, v50, v4
	s_delay_alu instid0(VALU_DEP_2) | instskip(SKIP_1) | instid1(VALU_DEP_3)
	v_cvt_f32_f16_e32 v68, v67
	v_lshrrev_b32_e32 v67, 16, v67
	v_cvt_f32_f16_e32 v5, v4
	v_lshrrev_b32_e32 v4, 16, v4
	s_delay_alu instid0(VALU_DEP_3) | instskip(NEXT) | instid1(VALU_DEP_2)
	v_cvt_f32_f16_e32 v67, v67
	v_cvt_f32_f16_e32 v4, v4
	s_delay_alu instid0(VALU_DEP_1) | instskip(NEXT) | instid1(VALU_DEP_1)
	v_dual_add_f32 v67, v68, v67 :: v_dual_add_f32 v4, v5, v4
	v_dual_fmac_f32 v8, v67, v37 :: v_dual_fmac_f32 v9, v4, v39
	ds_load_2addr_b32 v[4:5], v48 offset0:64 offset1:65
	s_waitcnt lgkmcnt(0)
	v_pk_fma_f16 v49, v53, v4, 0
	s_delay_alu instid0(VALU_DEP_1) | instskip(SKIP_3) | instid1(VALU_DEP_1)
	v_pk_fma_f16 v67, v54, v5, v49
	ds_load_2addr_b32 v[49:50], v48 offset0:66 offset1:67
	s_waitcnt lgkmcnt(0)
	v_pk_fma_f16 v67, v52, v49, v67
	v_pk_fma_f16 v67, v55, v50, v67
	s_delay_alu instid0(VALU_DEP_1) | instskip(SKIP_1) | instid1(VALU_DEP_1)
	v_cvt_f32_f16_e32 v68, v67
	v_lshrrev_b32_e32 v67, 16, v67
	v_cvt_f32_f16_e32 v67, v67
	s_delay_alu instid0(VALU_DEP_1) | instskip(NEXT) | instid1(VALU_DEP_1)
	v_add_f32_e32 v67, v68, v67
	v_fmac_f32_e32 v10, v67, v36
	v_pk_fma_f16 v67, v56, v4, 0
	s_delay_alu instid0(VALU_DEP_1) | instskip(NEXT) | instid1(VALU_DEP_1)
	v_pk_fma_f16 v67, v57, v5, v67
	v_pk_fma_f16 v67, v58, v49, v67
	s_delay_alu instid0(VALU_DEP_1) | instskip(NEXT) | instid1(VALU_DEP_1)
	v_pk_fma_f16 v67, v59, v50, v67
	v_cvt_f32_f16_e32 v68, v67
	v_lshrrev_b32_e32 v67, 16, v67
	s_delay_alu instid0(VALU_DEP_1) | instskip(NEXT) | instid1(VALU_DEP_1)
	v_cvt_f32_f16_e32 v67, v67
	v_add_f32_e32 v67, v68, v67
	s_delay_alu instid0(VALU_DEP_1) | instskip(SKIP_2) | instid1(VALU_DEP_2)
	v_fmac_f32_e32 v11, v67, v38
	v_pk_fma_f16 v67, v60, v4, 0
	v_pk_fma_f16 v4, v51, v4, 0
	;; [unrolled: 1-line block ×3, first 2 shown]
	s_delay_alu instid0(VALU_DEP_2) | instskip(NEXT) | instid1(VALU_DEP_2)
	v_pk_fma_f16 v4, v64, v5, v4
	v_pk_fma_f16 v67, v62, v49, v67
	s_delay_alu instid0(VALU_DEP_2) | instskip(NEXT) | instid1(VALU_DEP_2)
	v_pk_fma_f16 v4, v65, v49, v4
	v_pk_fma_f16 v67, v63, v50, v67
	s_delay_alu instid0(VALU_DEP_2) | instskip(NEXT) | instid1(VALU_DEP_2)
	v_pk_fma_f16 v4, v66, v50, v4
	v_cvt_f32_f16_e32 v68, v67
	v_lshrrev_b32_e32 v67, 16, v67
	s_delay_alu instid0(VALU_DEP_3) | instskip(SKIP_1) | instid1(VALU_DEP_3)
	v_cvt_f32_f16_e32 v5, v4
	v_lshrrev_b32_e32 v4, 16, v4
	v_cvt_f32_f16_e32 v67, v67
	s_delay_alu instid0(VALU_DEP_2) | instskip(NEXT) | instid1(VALU_DEP_1)
	v_cvt_f32_f16_e32 v4, v4
	v_dual_add_f32 v67, v68, v67 :: v_dual_add_f32 v4, v5, v4
	s_delay_alu instid0(VALU_DEP_1) | instskip(SKIP_3) | instid1(VALU_DEP_1)
	v_dual_fmac_f32 v12, v67, v37 :: v_dual_fmac_f32 v13, v4, v39
	ds_load_2addr_b32 v[4:5], v48 offset0:128 offset1:129
	s_waitcnt lgkmcnt(0)
	v_pk_fma_f16 v49, v53, v4, 0
	v_pk_fma_f16 v67, v54, v5, v49
	ds_load_2addr_b32 v[49:50], v48 offset0:130 offset1:131
	s_waitcnt lgkmcnt(0)
	v_pk_fma_f16 v67, v52, v49, v67
	s_delay_alu instid0(VALU_DEP_1) | instskip(NEXT) | instid1(VALU_DEP_1)
	v_pk_fma_f16 v67, v55, v50, v67
	v_cvt_f32_f16_e32 v68, v67
	v_lshrrev_b32_e32 v67, 16, v67
	s_delay_alu instid0(VALU_DEP_1) | instskip(NEXT) | instid1(VALU_DEP_1)
	v_cvt_f32_f16_e32 v67, v67
	v_add_f32_e32 v67, v68, v67
	s_delay_alu instid0(VALU_DEP_1) | instskip(SKIP_1) | instid1(VALU_DEP_1)
	v_fmac_f32_e32 v14, v67, v36
	v_pk_fma_f16 v67, v56, v4, 0
	v_pk_fma_f16 v67, v57, v5, v67
	s_delay_alu instid0(VALU_DEP_1) | instskip(NEXT) | instid1(VALU_DEP_1)
	v_pk_fma_f16 v67, v58, v49, v67
	v_pk_fma_f16 v67, v59, v50, v67
	s_delay_alu instid0(VALU_DEP_1) | instskip(SKIP_1) | instid1(VALU_DEP_1)
	v_cvt_f32_f16_e32 v68, v67
	v_lshrrev_b32_e32 v67, 16, v67
	v_cvt_f32_f16_e32 v67, v67
	s_delay_alu instid0(VALU_DEP_1) | instskip(NEXT) | instid1(VALU_DEP_1)
	v_add_f32_e32 v67, v68, v67
	v_fmac_f32_e32 v15, v67, v38
	v_pk_fma_f16 v67, v60, v4, 0
	v_pk_fma_f16 v4, v51, v4, 0
	s_delay_alu instid0(VALU_DEP_2) | instskip(NEXT) | instid1(VALU_DEP_2)
	v_pk_fma_f16 v67, v61, v5, v67
	v_pk_fma_f16 v4, v64, v5, v4
	s_delay_alu instid0(VALU_DEP_2) | instskip(NEXT) | instid1(VALU_DEP_2)
	;; [unrolled: 3-line block ×3, first 2 shown]
	v_pk_fma_f16 v67, v63, v50, v67
	v_pk_fma_f16 v4, v66, v50, v4
	s_delay_alu instid0(VALU_DEP_2) | instskip(SKIP_1) | instid1(VALU_DEP_3)
	v_cvt_f32_f16_e32 v68, v67
	v_lshrrev_b32_e32 v67, 16, v67
	v_cvt_f32_f16_e32 v5, v4
	v_lshrrev_b32_e32 v4, 16, v4
	s_delay_alu instid0(VALU_DEP_3) | instskip(NEXT) | instid1(VALU_DEP_2)
	v_cvt_f32_f16_e32 v67, v67
	v_cvt_f32_f16_e32 v4, v4
	s_delay_alu instid0(VALU_DEP_1) | instskip(NEXT) | instid1(VALU_DEP_1)
	v_dual_add_f32 v67, v68, v67 :: v_dual_add_f32 v4, v5, v4
	v_dual_fmac_f32 v16, v67, v37 :: v_dual_fmac_f32 v17, v4, v39
	ds_load_2addr_b32 v[4:5], v48 offset0:192 offset1:193
	s_waitcnt lgkmcnt(0)
	v_pk_fma_f16 v49, v53, v4, 0
	s_delay_alu instid0(VALU_DEP_1) | instskip(SKIP_3) | instid1(VALU_DEP_1)
	v_pk_fma_f16 v67, v54, v5, v49
	ds_load_2addr_b32 v[49:50], v48 offset0:194 offset1:195
	s_waitcnt lgkmcnt(0)
	v_pk_fma_f16 v67, v52, v49, v67
	v_pk_fma_f16 v67, v55, v50, v67
	s_delay_alu instid0(VALU_DEP_1) | instskip(SKIP_1) | instid1(VALU_DEP_1)
	v_cvt_f32_f16_e32 v68, v67
	v_lshrrev_b32_e32 v67, 16, v67
	v_cvt_f32_f16_e32 v67, v67
	s_delay_alu instid0(VALU_DEP_1) | instskip(NEXT) | instid1(VALU_DEP_1)
	v_add_f32_e32 v67, v68, v67
	v_fmac_f32_e32 v18, v67, v36
	v_pk_fma_f16 v67, v56, v4, 0
	s_delay_alu instid0(VALU_DEP_1) | instskip(NEXT) | instid1(VALU_DEP_1)
	v_pk_fma_f16 v67, v57, v5, v67
	v_pk_fma_f16 v67, v58, v49, v67
	s_delay_alu instid0(VALU_DEP_1) | instskip(NEXT) | instid1(VALU_DEP_1)
	v_pk_fma_f16 v67, v59, v50, v67
	v_cvt_f32_f16_e32 v68, v67
	v_lshrrev_b32_e32 v67, 16, v67
	s_delay_alu instid0(VALU_DEP_1) | instskip(NEXT) | instid1(VALU_DEP_1)
	v_cvt_f32_f16_e32 v67, v67
	v_add_f32_e32 v67, v68, v67
	s_delay_alu instid0(VALU_DEP_1) | instskip(SKIP_2) | instid1(VALU_DEP_2)
	v_fmac_f32_e32 v19, v67, v38
	v_pk_fma_f16 v67, v60, v4, 0
	v_pk_fma_f16 v4, v51, v4, 0
	;; [unrolled: 1-line block ×3, first 2 shown]
	s_delay_alu instid0(VALU_DEP_2) | instskip(NEXT) | instid1(VALU_DEP_2)
	v_pk_fma_f16 v4, v64, v5, v4
	v_pk_fma_f16 v67, v62, v49, v67
	s_delay_alu instid0(VALU_DEP_2) | instskip(NEXT) | instid1(VALU_DEP_2)
	v_pk_fma_f16 v4, v65, v49, v4
	v_pk_fma_f16 v67, v63, v50, v67
	s_delay_alu instid0(VALU_DEP_2) | instskip(NEXT) | instid1(VALU_DEP_2)
	v_pk_fma_f16 v4, v66, v50, v4
	v_cvt_f32_f16_e32 v68, v67
	v_lshrrev_b32_e32 v67, 16, v67
	s_delay_alu instid0(VALU_DEP_3) | instskip(SKIP_1) | instid1(VALU_DEP_3)
	v_cvt_f32_f16_e32 v5, v4
	v_lshrrev_b32_e32 v4, 16, v4
	v_cvt_f32_f16_e32 v67, v67
	s_delay_alu instid0(VALU_DEP_2) | instskip(NEXT) | instid1(VALU_DEP_1)
	v_cvt_f32_f16_e32 v4, v4
	v_dual_add_f32 v67, v68, v67 :: v_dual_add_f32 v4, v5, v4
	s_delay_alu instid0(VALU_DEP_1)
	v_dual_fmac_f32 v20, v67, v37 :: v_dual_fmac_f32 v21, v4, v39
	v_mov_b32_e32 v4, s19
	s_add_i32 s19, s13, 0x408
	ds_load_2addr_b32 v[4:5], v4 offset1:1
	s_waitcnt lgkmcnt(0)
	v_pk_fma_f16 v49, v53, v4, 0
	s_delay_alu instid0(VALU_DEP_1)
	v_pk_fma_f16 v67, v54, v5, v49
	v_mov_b32_e32 v49, s19
	s_add_i32 s19, s13, 0x500
	ds_load_2addr_b32 v[49:50], v49 offset1:1
	s_waitcnt lgkmcnt(0)
	v_pk_fma_f16 v67, v52, v49, v67
	s_delay_alu instid0(VALU_DEP_1) | instskip(NEXT) | instid1(VALU_DEP_1)
	v_pk_fma_f16 v67, v55, v50, v67
	v_cvt_f32_f16_e32 v68, v67
	v_lshrrev_b32_e32 v67, 16, v67
	s_delay_alu instid0(VALU_DEP_1) | instskip(NEXT) | instid1(VALU_DEP_1)
	v_cvt_f32_f16_e32 v67, v67
	v_add_f32_e32 v67, v68, v67
	s_delay_alu instid0(VALU_DEP_1) | instskip(SKIP_1) | instid1(VALU_DEP_1)
	v_fmac_f32_e32 v22, v67, v36
	v_pk_fma_f16 v67, v56, v4, 0
	v_pk_fma_f16 v67, v57, v5, v67
	s_delay_alu instid0(VALU_DEP_1) | instskip(NEXT) | instid1(VALU_DEP_1)
	v_pk_fma_f16 v67, v58, v49, v67
	v_pk_fma_f16 v67, v59, v50, v67
	s_delay_alu instid0(VALU_DEP_1) | instskip(SKIP_1) | instid1(VALU_DEP_1)
	v_cvt_f32_f16_e32 v68, v67
	v_lshrrev_b32_e32 v67, 16, v67
	v_cvt_f32_f16_e32 v67, v67
	s_delay_alu instid0(VALU_DEP_1) | instskip(NEXT) | instid1(VALU_DEP_1)
	v_add_f32_e32 v67, v68, v67
	v_fmac_f32_e32 v23, v67, v38
	v_pk_fma_f16 v67, v60, v4, 0
	v_pk_fma_f16 v4, v51, v4, 0
	s_delay_alu instid0(VALU_DEP_2) | instskip(NEXT) | instid1(VALU_DEP_2)
	v_pk_fma_f16 v67, v61, v5, v67
	v_pk_fma_f16 v4, v64, v5, v4
	s_delay_alu instid0(VALU_DEP_2) | instskip(NEXT) | instid1(VALU_DEP_2)
	;; [unrolled: 3-line block ×3, first 2 shown]
	v_pk_fma_f16 v67, v63, v50, v67
	v_pk_fma_f16 v4, v66, v50, v4
	s_delay_alu instid0(VALU_DEP_2) | instskip(SKIP_1) | instid1(VALU_DEP_3)
	v_cvt_f32_f16_e32 v68, v67
	v_lshrrev_b32_e32 v67, 16, v67
	v_cvt_f32_f16_e32 v5, v4
	v_lshrrev_b32_e32 v4, 16, v4
	s_delay_alu instid0(VALU_DEP_3) | instskip(NEXT) | instid1(VALU_DEP_2)
	v_cvt_f32_f16_e32 v67, v67
	v_cvt_f32_f16_e32 v4, v4
	s_delay_alu instid0(VALU_DEP_1) | instskip(NEXT) | instid1(VALU_DEP_1)
	v_dual_add_f32 v67, v68, v67 :: v_dual_add_f32 v4, v5, v4
	v_dual_fmac_f32 v24, v67, v37 :: v_dual_fmac_f32 v25, v4, v39
	v_mov_b32_e32 v4, s19
	s_add_i32 s19, s13, 0x508
	ds_load_2addr_b32 v[4:5], v4 offset1:1
	s_waitcnt lgkmcnt(0)
	v_pk_fma_f16 v49, v53, v4, 0
	s_delay_alu instid0(VALU_DEP_1)
	v_pk_fma_f16 v67, v54, v5, v49
	v_mov_b32_e32 v49, s19
	s_add_i32 s19, s13, 0x600
	ds_load_2addr_b32 v[49:50], v49 offset1:1
	s_waitcnt lgkmcnt(0)
	v_pk_fma_f16 v67, v52, v49, v67
	s_delay_alu instid0(VALU_DEP_1) | instskip(NEXT) | instid1(VALU_DEP_1)
	v_pk_fma_f16 v67, v55, v50, v67
	v_cvt_f32_f16_e32 v68, v67
	v_lshrrev_b32_e32 v67, 16, v67
	s_delay_alu instid0(VALU_DEP_1) | instskip(NEXT) | instid1(VALU_DEP_1)
	v_cvt_f32_f16_e32 v67, v67
	v_add_f32_e32 v67, v68, v67
	s_delay_alu instid0(VALU_DEP_1) | instskip(SKIP_1) | instid1(VALU_DEP_1)
	v_fmac_f32_e32 v26, v67, v36
	v_pk_fma_f16 v67, v56, v4, 0
	v_pk_fma_f16 v67, v57, v5, v67
	s_delay_alu instid0(VALU_DEP_1) | instskip(NEXT) | instid1(VALU_DEP_1)
	v_pk_fma_f16 v67, v58, v49, v67
	v_pk_fma_f16 v67, v59, v50, v67
	s_delay_alu instid0(VALU_DEP_1) | instskip(SKIP_1) | instid1(VALU_DEP_1)
	v_cvt_f32_f16_e32 v68, v67
	v_lshrrev_b32_e32 v67, 16, v67
	v_cvt_f32_f16_e32 v67, v67
	s_delay_alu instid0(VALU_DEP_1) | instskip(NEXT) | instid1(VALU_DEP_1)
	v_add_f32_e32 v67, v68, v67
	v_fmac_f32_e32 v27, v67, v38
	v_pk_fma_f16 v67, v60, v4, 0
	v_pk_fma_f16 v4, v51, v4, 0
	s_delay_alu instid0(VALU_DEP_2) | instskip(NEXT) | instid1(VALU_DEP_2)
	v_pk_fma_f16 v67, v61, v5, v67
	v_pk_fma_f16 v4, v64, v5, v4
	s_delay_alu instid0(VALU_DEP_2) | instskip(NEXT) | instid1(VALU_DEP_2)
	;; [unrolled: 3-line block ×3, first 2 shown]
	v_pk_fma_f16 v67, v63, v50, v67
	v_pk_fma_f16 v4, v66, v50, v4
	s_delay_alu instid0(VALU_DEP_2) | instskip(SKIP_1) | instid1(VALU_DEP_3)
	v_cvt_f32_f16_e32 v68, v67
	v_lshrrev_b32_e32 v67, 16, v67
	v_cvt_f32_f16_e32 v5, v4
	v_lshrrev_b32_e32 v4, 16, v4
	s_delay_alu instid0(VALU_DEP_3) | instskip(NEXT) | instid1(VALU_DEP_2)
	v_cvt_f32_f16_e32 v67, v67
	v_cvt_f32_f16_e32 v4, v4
	s_delay_alu instid0(VALU_DEP_1) | instskip(NEXT) | instid1(VALU_DEP_1)
	v_dual_add_f32 v67, v68, v67 :: v_dual_add_f32 v4, v5, v4
	v_dual_fmac_f32 v28, v67, v37 :: v_dual_fmac_f32 v29, v4, v39
	v_mov_b32_e32 v4, s19
	s_add_i32 s19, s13, 0x608
	ds_load_2addr_b32 v[4:5], v4 offset1:1
	s_waitcnt lgkmcnt(0)
	v_pk_fma_f16 v49, v53, v4, 0
	s_delay_alu instid0(VALU_DEP_1)
	v_pk_fma_f16 v53, v54, v5, v49
	v_mov_b32_e32 v49, s19
	s_add_i32 s19, s13, 0x410
	ds_load_2addr_b32 v[49:50], v49 offset1:1
	s_waitcnt lgkmcnt(0)
	v_pk_fma_f16 v52, v52, v49, v53
	s_delay_alu instid0(VALU_DEP_1) | instskip(NEXT) | instid1(VALU_DEP_1)
	v_pk_fma_f16 v52, v55, v50, v52
	v_cvt_f32_f16_e32 v53, v52
	v_lshrrev_b32_e32 v52, 16, v52
	s_delay_alu instid0(VALU_DEP_1) | instskip(NEXT) | instid1(VALU_DEP_1)
	v_cvt_f32_f16_e32 v52, v52
	v_add_f32_e32 v52, v53, v52
	s_delay_alu instid0(VALU_DEP_1) | instskip(SKIP_1) | instid1(VALU_DEP_1)
	v_fmac_f32_e32 v30, v52, v36
	v_pk_fma_f16 v52, v56, v4, 0
	v_pk_fma_f16 v52, v57, v5, v52
	s_delay_alu instid0(VALU_DEP_1) | instskip(NEXT) | instid1(VALU_DEP_1)
	v_pk_fma_f16 v52, v58, v49, v52
	v_pk_fma_f16 v52, v59, v50, v52
	s_delay_alu instid0(VALU_DEP_1) | instskip(SKIP_1) | instid1(VALU_DEP_1)
	v_cvt_f32_f16_e32 v53, v52
	v_lshrrev_b32_e32 v52, 16, v52
	v_cvt_f32_f16_e32 v52, v52
	s_delay_alu instid0(VALU_DEP_1) | instskip(NEXT) | instid1(VALU_DEP_1)
	v_add_f32_e32 v52, v53, v52
	v_fmac_f32_e32 v31, v52, v38
	v_pk_fma_f16 v52, v60, v4, 0
	v_pk_fma_f16 v4, v51, v4, 0
	s_delay_alu instid0(VALU_DEP_2) | instskip(NEXT) | instid1(VALU_DEP_2)
	v_pk_fma_f16 v52, v61, v5, v52
	v_pk_fma_f16 v4, v64, v5, v4
	s_delay_alu instid0(VALU_DEP_2) | instskip(NEXT) | instid1(VALU_DEP_2)
	;; [unrolled: 3-line block ×4, first 2 shown]
	v_cvt_f32_f16_e32 v53, v52
	v_cvt_f32_f16_e32 v5, v4
	v_lshrrev_b32_e32 v4, 16, v4
	v_lshrrev_b32_e32 v52, 16, v52
	s_delay_alu instid0(VALU_DEP_2) | instskip(NEXT) | instid1(VALU_DEP_2)
	v_cvt_f32_f16_e32 v4, v4
	v_cvt_f32_f16_e32 v52, v52
	s_delay_alu instid0(VALU_DEP_2) | instskip(NEXT) | instid1(VALU_DEP_1)
	v_add_f32_e32 v4, v5, v4
	v_dual_add_f32 v52, v53, v52 :: v_dual_fmac_f32 v35, v4, v39
	v_add_co_u32 v4, vcc_lo, v2, s2
	v_add_co_ci_u32_e32 v5, vcc_lo, s3, v3, vcc_lo
	s_delay_alu instid0(VALU_DEP_3)
	v_fmac_f32_e32 v32, v52, v37
	global_load_b128 v[56:59], v[4:5], off
	v_add_co_u32 v4, vcc_lo, v4, s2
	v_add_co_ci_u32_e32 v5, vcc_lo, s3, v5, vcc_lo
	s_waitcnt vmcnt(0)
	v_lshrrev_b32_e32 v51, 8, v56
	v_and_or_b32 v49, v56, s5, 0x64006400
	v_and_or_b32 v50, v56, s17, 0x64006400
	v_lshrrev_b32_e32 v53, 8, v57
	v_and_or_b32 v56, v58, s17, 0x64006400
	v_and_or_b32 v52, v51, s5, 0x64006400
	;; [unrolled: 1-line block ×3, first 2 shown]
	v_pk_add_f16 v64, v40, v49
	v_pk_fma_f16 v63, 0x2c00, v50, v44 op_sel_hi:[0,1,1]
	v_and_or_b32 v54, v53, s5, 0x64006400
	v_pk_add_f16 v49, v40, v52
	v_pk_fma_f16 v50, 0x2c00, v51, v44 op_sel_hi:[0,1,1]
	v_and_or_b32 v51, v57, s5, 0x64006400
	v_and_or_b32 v52, v57, s17, 0x64006400
	;; [unrolled: 1-line block ×3, first 2 shown]
	v_lshrrev_b32_e32 v57, 8, v58
	v_pk_add_f16 v53, v43, v54
	v_and_or_b32 v61, v59, s17, 0x64006400
	v_pk_add_f16 v51, v43, v51
	v_pk_fma_f16 v54, 0x2c00, v55, v47 op_sel_hi:[0,1,1]
	v_and_or_b32 v55, v58, s5, 0x64006400
	v_and_or_b32 v58, v57, s5, 0x64006400
	;; [unrolled: 1-line block ×3, first 2 shown]
	v_pk_fma_f16 v52, 0x2c00, v52, v47 op_sel_hi:[0,1,1]
	v_pk_fma_f16 v56, 0x2c00, v56, v46 op_sel_hi:[0,1,1]
	v_pk_add_f16 v55, v41, v55
	v_pk_add_f16 v57, v41, v58
	v_pk_fma_f16 v58, 0x2c00, v60, v46 op_sel_hi:[0,1,1]
	v_and_or_b32 v60, v59, s5, 0x64006400
	v_lshrrev_b32_e32 v59, 8, v59
	s_delay_alu instid0(VALU_DEP_1) | instskip(SKIP_1) | instid1(VALU_DEP_4)
	v_and_or_b32 v62, v59, s5, 0x64006400
	v_and_or_b32 v65, v59, s17, 0x64006400
	v_pk_add_f16 v59, v42, v60
	v_pk_fma_f16 v60, 0x2c00, v61, v45 op_sel_hi:[0,1,1]
	s_delay_alu instid0(VALU_DEP_4) | instskip(NEXT) | instid1(VALU_DEP_4)
	v_pk_add_f16 v61, v42, v62
	v_pk_fma_f16 v62, 0x2c00, v65, v45 op_sel_hi:[0,1,1]
	ds_load_2addr_b32 v[65:66], v48 offset0:4 offset1:5
	s_waitcnt lgkmcnt(0)
	v_pk_fma_f16 v67, v64, v65, 0
	s_delay_alu instid0(VALU_DEP_1) | instskip(SKIP_3) | instid1(VALU_DEP_1)
	v_pk_fma_f16 v69, v63, v66, v67
	ds_load_2addr_b32 v[67:68], v48 offset0:6 offset1:7
	s_waitcnt lgkmcnt(0)
	v_pk_fma_f16 v69, v49, v67, v69
	v_pk_fma_f16 v69, v50, v68, v69
	s_delay_alu instid0(VALU_DEP_1) | instskip(SKIP_1) | instid1(VALU_DEP_1)
	v_cvt_f32_f16_e32 v70, v69
	v_lshrrev_b32_e32 v69, 16, v69
	v_cvt_f32_f16_e32 v69, v69
	s_delay_alu instid0(VALU_DEP_1) | instskip(NEXT) | instid1(VALU_DEP_1)
	v_add_f32_e32 v69, v70, v69
	v_fmac_f32_e32 v0, v69, v36
	v_pk_fma_f16 v69, v51, v65, 0
	s_delay_alu instid0(VALU_DEP_1) | instskip(NEXT) | instid1(VALU_DEP_1)
	v_pk_fma_f16 v69, v52, v66, v69
	v_pk_fma_f16 v69, v53, v67, v69
	s_delay_alu instid0(VALU_DEP_1) | instskip(NEXT) | instid1(VALU_DEP_1)
	v_pk_fma_f16 v69, v54, v68, v69
	v_cvt_f32_f16_e32 v70, v69
	v_lshrrev_b32_e32 v69, 16, v69
	s_delay_alu instid0(VALU_DEP_1) | instskip(NEXT) | instid1(VALU_DEP_1)
	v_cvt_f32_f16_e32 v69, v69
	v_add_f32_e32 v69, v70, v69
	s_delay_alu instid0(VALU_DEP_1) | instskip(SKIP_2) | instid1(VALU_DEP_2)
	v_fmac_f32_e32 v7, v69, v38
	v_pk_fma_f16 v69, v55, v65, 0
	v_pk_fma_f16 v65, v59, v65, 0
	v_pk_fma_f16 v69, v56, v66, v69
	s_delay_alu instid0(VALU_DEP_2) | instskip(NEXT) | instid1(VALU_DEP_2)
	v_pk_fma_f16 v65, v60, v66, v65
	v_pk_fma_f16 v69, v57, v67, v69
	s_delay_alu instid0(VALU_DEP_2) | instskip(NEXT) | instid1(VALU_DEP_2)
	v_pk_fma_f16 v65, v61, v67, v65
	v_pk_fma_f16 v69, v58, v68, v69
	s_delay_alu instid0(VALU_DEP_2) | instskip(NEXT) | instid1(VALU_DEP_2)
	v_pk_fma_f16 v65, v62, v68, v65
	v_cvt_f32_f16_e32 v70, v69
	s_delay_alu instid0(VALU_DEP_2) | instskip(SKIP_2) | instid1(VALU_DEP_2)
	v_cvt_f32_f16_e32 v66, v65
	v_lshrrev_b32_e32 v65, 16, v65
	v_lshrrev_b32_e32 v69, 16, v69
	v_cvt_f32_f16_e32 v65, v65
	s_delay_alu instid0(VALU_DEP_2) | instskip(NEXT) | instid1(VALU_DEP_2)
	v_cvt_f32_f16_e32 v69, v69
	v_add_f32_e32 v65, v66, v65
	s_delay_alu instid0(VALU_DEP_2) | instskip(NEXT) | instid1(VALU_DEP_2)
	v_add_f32_e32 v69, v70, v69
	v_fmac_f32_e32 v9, v65, v39
	ds_load_2addr_b32 v[65:66], v48 offset0:68 offset1:69
	v_fmac_f32_e32 v8, v69, v37
	s_waitcnt lgkmcnt(0)
	v_pk_fma_f16 v67, v64, v65, 0
	s_delay_alu instid0(VALU_DEP_1) | instskip(SKIP_3) | instid1(VALU_DEP_1)
	v_pk_fma_f16 v69, v63, v66, v67
	ds_load_2addr_b32 v[67:68], v48 offset0:70 offset1:71
	s_waitcnt lgkmcnt(0)
	v_pk_fma_f16 v69, v49, v67, v69
	v_pk_fma_f16 v69, v50, v68, v69
	s_delay_alu instid0(VALU_DEP_1) | instskip(SKIP_1) | instid1(VALU_DEP_1)
	v_cvt_f32_f16_e32 v70, v69
	v_lshrrev_b32_e32 v69, 16, v69
	v_cvt_f32_f16_e32 v69, v69
	s_delay_alu instid0(VALU_DEP_1) | instskip(NEXT) | instid1(VALU_DEP_1)
	v_add_f32_e32 v69, v70, v69
	v_fmac_f32_e32 v10, v69, v36
	v_pk_fma_f16 v69, v51, v65, 0
	s_delay_alu instid0(VALU_DEP_1) | instskip(NEXT) | instid1(VALU_DEP_1)
	v_pk_fma_f16 v69, v52, v66, v69
	v_pk_fma_f16 v69, v53, v67, v69
	s_delay_alu instid0(VALU_DEP_1) | instskip(NEXT) | instid1(VALU_DEP_1)
	v_pk_fma_f16 v69, v54, v68, v69
	v_cvt_f32_f16_e32 v70, v69
	v_lshrrev_b32_e32 v69, 16, v69
	s_delay_alu instid0(VALU_DEP_1) | instskip(NEXT) | instid1(VALU_DEP_1)
	v_cvt_f32_f16_e32 v69, v69
	v_add_f32_e32 v69, v70, v69
	s_delay_alu instid0(VALU_DEP_1) | instskip(SKIP_2) | instid1(VALU_DEP_2)
	v_fmac_f32_e32 v11, v69, v38
	v_pk_fma_f16 v69, v55, v65, 0
	v_pk_fma_f16 v65, v59, v65, 0
	v_pk_fma_f16 v69, v56, v66, v69
	s_delay_alu instid0(VALU_DEP_2) | instskip(NEXT) | instid1(VALU_DEP_2)
	v_pk_fma_f16 v65, v60, v66, v65
	v_pk_fma_f16 v69, v57, v67, v69
	s_delay_alu instid0(VALU_DEP_2) | instskip(NEXT) | instid1(VALU_DEP_2)
	v_pk_fma_f16 v65, v61, v67, v65
	v_pk_fma_f16 v69, v58, v68, v69
	s_delay_alu instid0(VALU_DEP_2) | instskip(NEXT) | instid1(VALU_DEP_2)
	v_pk_fma_f16 v65, v62, v68, v65
	v_cvt_f32_f16_e32 v70, v69
	s_delay_alu instid0(VALU_DEP_2) | instskip(SKIP_2) | instid1(VALU_DEP_2)
	v_cvt_f32_f16_e32 v66, v65
	v_lshrrev_b32_e32 v65, 16, v65
	v_lshrrev_b32_e32 v69, 16, v69
	v_cvt_f32_f16_e32 v65, v65
	s_delay_alu instid0(VALU_DEP_2) | instskip(NEXT) | instid1(VALU_DEP_2)
	v_cvt_f32_f16_e32 v69, v69
	v_add_f32_e32 v65, v66, v65
	s_delay_alu instid0(VALU_DEP_2) | instskip(NEXT) | instid1(VALU_DEP_2)
	v_add_f32_e32 v69, v70, v69
	v_fmac_f32_e32 v13, v65, v39
	ds_load_2addr_b32 v[65:66], v48 offset0:132 offset1:133
	v_fmac_f32_e32 v12, v69, v37
	;; [unrolled: 53-line block ×3, first 2 shown]
	s_waitcnt lgkmcnt(0)
	v_pk_fma_f16 v67, v64, v65, 0
	s_delay_alu instid0(VALU_DEP_1) | instskip(SKIP_3) | instid1(VALU_DEP_1)
	v_pk_fma_f16 v69, v63, v66, v67
	ds_load_2addr_b32 v[67:68], v48 offset0:198 offset1:199
	s_waitcnt lgkmcnt(0)
	v_pk_fma_f16 v69, v49, v67, v69
	v_pk_fma_f16 v69, v50, v68, v69
	s_delay_alu instid0(VALU_DEP_1) | instskip(SKIP_1) | instid1(VALU_DEP_1)
	v_cvt_f32_f16_e32 v70, v69
	v_lshrrev_b32_e32 v69, 16, v69
	v_cvt_f32_f16_e32 v69, v69
	s_delay_alu instid0(VALU_DEP_1) | instskip(NEXT) | instid1(VALU_DEP_1)
	v_add_f32_e32 v69, v70, v69
	v_fmac_f32_e32 v18, v69, v36
	v_pk_fma_f16 v69, v51, v65, 0
	s_delay_alu instid0(VALU_DEP_1) | instskip(NEXT) | instid1(VALU_DEP_1)
	v_pk_fma_f16 v69, v52, v66, v69
	v_pk_fma_f16 v69, v53, v67, v69
	s_delay_alu instid0(VALU_DEP_1) | instskip(NEXT) | instid1(VALU_DEP_1)
	v_pk_fma_f16 v69, v54, v68, v69
	v_cvt_f32_f16_e32 v70, v69
	v_lshrrev_b32_e32 v69, 16, v69
	s_delay_alu instid0(VALU_DEP_1) | instskip(NEXT) | instid1(VALU_DEP_1)
	v_cvt_f32_f16_e32 v69, v69
	v_add_f32_e32 v69, v70, v69
	s_delay_alu instid0(VALU_DEP_1) | instskip(SKIP_2) | instid1(VALU_DEP_2)
	v_fmac_f32_e32 v19, v69, v38
	v_pk_fma_f16 v69, v55, v65, 0
	v_pk_fma_f16 v65, v59, v65, 0
	;; [unrolled: 1-line block ×3, first 2 shown]
	s_delay_alu instid0(VALU_DEP_2) | instskip(NEXT) | instid1(VALU_DEP_2)
	v_pk_fma_f16 v65, v60, v66, v65
	v_pk_fma_f16 v69, v57, v67, v69
	s_delay_alu instid0(VALU_DEP_2) | instskip(NEXT) | instid1(VALU_DEP_2)
	v_pk_fma_f16 v65, v61, v67, v65
	v_pk_fma_f16 v69, v58, v68, v69
	s_delay_alu instid0(VALU_DEP_2) | instskip(NEXT) | instid1(VALU_DEP_2)
	v_pk_fma_f16 v65, v62, v68, v65
	v_cvt_f32_f16_e32 v70, v69
	v_lshrrev_b32_e32 v69, 16, v69
	s_delay_alu instid0(VALU_DEP_3) | instskip(SKIP_1) | instid1(VALU_DEP_3)
	v_cvt_f32_f16_e32 v66, v65
	v_lshrrev_b32_e32 v65, 16, v65
	v_cvt_f32_f16_e32 v69, v69
	s_delay_alu instid0(VALU_DEP_2) | instskip(NEXT) | instid1(VALU_DEP_2)
	v_cvt_f32_f16_e32 v65, v65
	v_add_f32_e32 v69, v70, v69
	s_delay_alu instid0(VALU_DEP_2) | instskip(NEXT) | instid1(VALU_DEP_2)
	v_add_f32_e32 v65, v66, v65
	v_fmac_f32_e32 v20, v69, v37
	s_delay_alu instid0(VALU_DEP_2)
	v_fmac_f32_e32 v21, v65, v39
	v_mov_b32_e32 v65, s19
	s_add_i32 s19, s13, 0x418
	ds_load_2addr_b32 v[65:66], v65 offset1:1
	s_waitcnt lgkmcnt(0)
	v_pk_fma_f16 v67, v64, v65, 0
	s_delay_alu instid0(VALU_DEP_1)
	v_pk_fma_f16 v69, v63, v66, v67
	v_mov_b32_e32 v67, s19
	s_add_i32 s19, s13, 0x510
	ds_load_2addr_b32 v[67:68], v67 offset1:1
	s_waitcnt lgkmcnt(0)
	v_pk_fma_f16 v69, v49, v67, v69
	s_delay_alu instid0(VALU_DEP_1) | instskip(NEXT) | instid1(VALU_DEP_1)
	v_pk_fma_f16 v69, v50, v68, v69
	v_cvt_f32_f16_e32 v70, v69
	v_lshrrev_b32_e32 v69, 16, v69
	s_delay_alu instid0(VALU_DEP_1) | instskip(NEXT) | instid1(VALU_DEP_1)
	v_cvt_f32_f16_e32 v69, v69
	v_add_f32_e32 v69, v70, v69
	s_delay_alu instid0(VALU_DEP_1) | instskip(SKIP_1) | instid1(VALU_DEP_1)
	v_fmac_f32_e32 v22, v69, v36
	v_pk_fma_f16 v69, v51, v65, 0
	v_pk_fma_f16 v69, v52, v66, v69
	s_delay_alu instid0(VALU_DEP_1) | instskip(NEXT) | instid1(VALU_DEP_1)
	v_pk_fma_f16 v69, v53, v67, v69
	v_pk_fma_f16 v69, v54, v68, v69
	s_delay_alu instid0(VALU_DEP_1) | instskip(SKIP_1) | instid1(VALU_DEP_1)
	v_cvt_f32_f16_e32 v70, v69
	v_lshrrev_b32_e32 v69, 16, v69
	v_cvt_f32_f16_e32 v69, v69
	s_delay_alu instid0(VALU_DEP_1) | instskip(NEXT) | instid1(VALU_DEP_1)
	v_add_f32_e32 v69, v70, v69
	v_fmac_f32_e32 v23, v69, v38
	v_pk_fma_f16 v69, v55, v65, 0
	v_pk_fma_f16 v65, v59, v65, 0
	s_delay_alu instid0(VALU_DEP_2) | instskip(NEXT) | instid1(VALU_DEP_2)
	v_pk_fma_f16 v69, v56, v66, v69
	v_pk_fma_f16 v65, v60, v66, v65
	s_delay_alu instid0(VALU_DEP_2) | instskip(NEXT) | instid1(VALU_DEP_2)
	;; [unrolled: 3-line block ×4, first 2 shown]
	v_cvt_f32_f16_e32 v70, v69
	v_cvt_f32_f16_e32 v66, v65
	v_lshrrev_b32_e32 v65, 16, v65
	v_lshrrev_b32_e32 v69, 16, v69
	s_delay_alu instid0(VALU_DEP_2) | instskip(NEXT) | instid1(VALU_DEP_2)
	v_cvt_f32_f16_e32 v65, v65
	v_cvt_f32_f16_e32 v69, v69
	s_delay_alu instid0(VALU_DEP_2) | instskip(NEXT) | instid1(VALU_DEP_2)
	v_add_f32_e32 v65, v66, v65
	v_add_f32_e32 v69, v70, v69
	s_delay_alu instid0(VALU_DEP_2) | instskip(SKIP_2) | instid1(VALU_DEP_3)
	v_fmac_f32_e32 v25, v65, v39
	v_mov_b32_e32 v65, s19
	s_add_i32 s19, s13, 0x518
	v_fmac_f32_e32 v24, v69, v37
	ds_load_2addr_b32 v[65:66], v65 offset1:1
	s_waitcnt lgkmcnt(0)
	v_pk_fma_f16 v67, v64, v65, 0
	s_delay_alu instid0(VALU_DEP_1)
	v_pk_fma_f16 v69, v63, v66, v67
	v_mov_b32_e32 v67, s19
	s_add_i32 s19, s13, 0x610
	ds_load_2addr_b32 v[67:68], v67 offset1:1
	s_waitcnt lgkmcnt(0)
	v_pk_fma_f16 v69, v49, v67, v69
	s_delay_alu instid0(VALU_DEP_1) | instskip(NEXT) | instid1(VALU_DEP_1)
	v_pk_fma_f16 v69, v50, v68, v69
	v_cvt_f32_f16_e32 v70, v69
	v_lshrrev_b32_e32 v69, 16, v69
	s_delay_alu instid0(VALU_DEP_1) | instskip(NEXT) | instid1(VALU_DEP_1)
	v_cvt_f32_f16_e32 v69, v69
	v_add_f32_e32 v69, v70, v69
	s_delay_alu instid0(VALU_DEP_1) | instskip(SKIP_1) | instid1(VALU_DEP_1)
	v_fmac_f32_e32 v26, v69, v36
	v_pk_fma_f16 v69, v51, v65, 0
	v_pk_fma_f16 v69, v52, v66, v69
	s_delay_alu instid0(VALU_DEP_1) | instskip(NEXT) | instid1(VALU_DEP_1)
	v_pk_fma_f16 v69, v53, v67, v69
	v_pk_fma_f16 v69, v54, v68, v69
	s_delay_alu instid0(VALU_DEP_1) | instskip(SKIP_1) | instid1(VALU_DEP_1)
	v_cvt_f32_f16_e32 v70, v69
	v_lshrrev_b32_e32 v69, 16, v69
	v_cvt_f32_f16_e32 v69, v69
	s_delay_alu instid0(VALU_DEP_1) | instskip(NEXT) | instid1(VALU_DEP_1)
	v_add_f32_e32 v69, v70, v69
	v_fmac_f32_e32 v27, v69, v38
	v_pk_fma_f16 v69, v55, v65, 0
	v_pk_fma_f16 v65, v59, v65, 0
	s_delay_alu instid0(VALU_DEP_2) | instskip(NEXT) | instid1(VALU_DEP_2)
	v_pk_fma_f16 v69, v56, v66, v69
	v_pk_fma_f16 v65, v60, v66, v65
	s_delay_alu instid0(VALU_DEP_2) | instskip(NEXT) | instid1(VALU_DEP_2)
	;; [unrolled: 3-line block ×4, first 2 shown]
	v_cvt_f32_f16_e32 v70, v69
	v_cvt_f32_f16_e32 v66, v65
	v_lshrrev_b32_e32 v65, 16, v65
	v_lshrrev_b32_e32 v69, 16, v69
	s_delay_alu instid0(VALU_DEP_2) | instskip(NEXT) | instid1(VALU_DEP_2)
	v_cvt_f32_f16_e32 v65, v65
	v_cvt_f32_f16_e32 v69, v69
	s_delay_alu instid0(VALU_DEP_2) | instskip(NEXT) | instid1(VALU_DEP_2)
	v_add_f32_e32 v65, v66, v65
	v_add_f32_e32 v69, v70, v69
	s_delay_alu instid0(VALU_DEP_2) | instskip(SKIP_2) | instid1(VALU_DEP_3)
	v_fmac_f32_e32 v29, v65, v39
	v_mov_b32_e32 v65, s19
	s_add_i32 s19, s13, 0x618
	v_fmac_f32_e32 v28, v69, v37
	ds_load_2addr_b32 v[65:66], v65 offset1:1
	s_waitcnt lgkmcnt(0)
	v_pk_fma_f16 v64, v64, v65, 0
	s_delay_alu instid0(VALU_DEP_1)
	v_pk_fma_f16 v67, v63, v66, v64
	v_mov_b32_e32 v63, s19
	s_add_i32 s19, s13, 0x420
	ds_load_2addr_b32 v[63:64], v63 offset1:1
	s_waitcnt lgkmcnt(0)
	v_pk_fma_f16 v49, v49, v63, v67
	s_delay_alu instid0(VALU_DEP_1) | instskip(NEXT) | instid1(VALU_DEP_1)
	v_pk_fma_f16 v49, v50, v64, v49
	v_cvt_f32_f16_e32 v50, v49
	v_lshrrev_b32_e32 v49, 16, v49
	s_delay_alu instid0(VALU_DEP_1) | instskip(NEXT) | instid1(VALU_DEP_1)
	v_cvt_f32_f16_e32 v49, v49
	v_add_f32_e32 v49, v50, v49
	s_delay_alu instid0(VALU_DEP_1) | instskip(SKIP_1) | instid1(VALU_DEP_1)
	v_fmac_f32_e32 v30, v49, v36
	v_pk_fma_f16 v49, v51, v65, 0
	v_pk_fma_f16 v49, v52, v66, v49
	s_delay_alu instid0(VALU_DEP_1) | instskip(NEXT) | instid1(VALU_DEP_1)
	v_pk_fma_f16 v49, v53, v63, v49
	v_pk_fma_f16 v49, v54, v64, v49
	s_delay_alu instid0(VALU_DEP_1) | instskip(SKIP_1) | instid1(VALU_DEP_1)
	v_cvt_f32_f16_e32 v50, v49
	v_lshrrev_b32_e32 v49, 16, v49
	v_cvt_f32_f16_e32 v49, v49
	s_delay_alu instid0(VALU_DEP_1) | instskip(NEXT) | instid1(VALU_DEP_1)
	v_add_f32_e32 v49, v50, v49
	v_fmac_f32_e32 v31, v49, v38
	v_pk_fma_f16 v49, v55, v65, 0
	s_delay_alu instid0(VALU_DEP_1) | instskip(NEXT) | instid1(VALU_DEP_1)
	v_pk_fma_f16 v49, v56, v66, v49
	v_pk_fma_f16 v49, v57, v63, v49
	s_delay_alu instid0(VALU_DEP_1) | instskip(NEXT) | instid1(VALU_DEP_1)
	v_pk_fma_f16 v49, v58, v64, v49
	v_cvt_f32_f16_e32 v50, v49
	v_lshrrev_b32_e32 v49, 16, v49
	s_delay_alu instid0(VALU_DEP_1) | instskip(NEXT) | instid1(VALU_DEP_1)
	v_cvt_f32_f16_e32 v49, v49
	v_add_f32_e32 v49, v50, v49
	s_delay_alu instid0(VALU_DEP_1) | instskip(SKIP_1) | instid1(VALU_DEP_1)
	v_fmac_f32_e32 v32, v49, v37
	v_pk_fma_f16 v49, v59, v65, 0
	v_pk_fma_f16 v49, v60, v66, v49
	s_delay_alu instid0(VALU_DEP_1) | instskip(NEXT) | instid1(VALU_DEP_1)
	v_pk_fma_f16 v49, v61, v63, v49
	v_pk_fma_f16 v49, v62, v64, v49
	s_delay_alu instid0(VALU_DEP_1) | instskip(SKIP_1) | instid1(VALU_DEP_1)
	v_cvt_f32_f16_e32 v50, v49
	v_lshrrev_b32_e32 v49, 16, v49
	v_cvt_f32_f16_e32 v49, v49
	s_delay_alu instid0(VALU_DEP_1) | instskip(NEXT) | instid1(VALU_DEP_1)
	v_add_f32_e32 v49, v50, v49
	v_fmac_f32_e32 v35, v49, v39
	global_load_b128 v[49:52], v[4:5], off
	v_add_co_u32 v4, vcc_lo, v4, s2
	v_add_co_ci_u32_e32 v5, vcc_lo, s3, v5, vcc_lo
	v_add_co_u32 v2, vcc_lo, v2, s0
	v_add_co_ci_u32_e32 v3, vcc_lo, s1, v3, vcc_lo
	s_waitcnt vmcnt(0)
	v_and_or_b32 v53, v49, s5, 0x64006400
	v_and_or_b32 v54, v49, s17, 0x64006400
	v_lshrrev_b32_e32 v49, 8, v49
	v_and_or_b32 v57, v50, s17, 0x64006400
	s_delay_alu instid0(VALU_DEP_4) | instskip(NEXT) | instid1(VALU_DEP_4)
	v_pk_add_f16 v53, v40, v53
	v_pk_fma_f16 v54, 0x2c00, v54, v44 op_sel_hi:[0,1,1]
	s_delay_alu instid0(VALU_DEP_4) | instskip(SKIP_2) | instid1(VALU_DEP_3)
	v_and_or_b32 v55, v49, s5, 0x64006400
	v_and_or_b32 v49, v49, s17, 0x64006400
	v_pk_fma_f16 v57, 0x2c00, v57, v47 op_sel_hi:[0,1,1]
	v_pk_add_f16 v55, v40, v55
	s_delay_alu instid0(VALU_DEP_3) | instskip(SKIP_2) | instid1(VALU_DEP_2)
	v_pk_fma_f16 v56, 0x2c00, v49, v44 op_sel_hi:[0,1,1]
	v_and_or_b32 v49, v50, s5, 0x64006400
	v_lshrrev_b32_e32 v50, 8, v50
	v_pk_add_f16 v59, v43, v49
	s_delay_alu instid0(VALU_DEP_2) | instskip(SKIP_2) | instid1(VALU_DEP_3)
	v_and_or_b32 v58, v50, s5, 0x64006400
	v_and_or_b32 v50, v50, s17, 0x64006400
	;; [unrolled: 1-line block ×3, first 2 shown]
	v_pk_add_f16 v58, v43, v58
	s_delay_alu instid0(VALU_DEP_3) | instskip(SKIP_1) | instid1(VALU_DEP_4)
	v_pk_fma_f16 v60, 0x2c00, v50, v47 op_sel_hi:[0,1,1]
	v_and_or_b32 v50, v51, s17, 0x64006400
	v_pk_add_f16 v62, v41, v49
	v_and_or_b32 v49, v52, s5, 0x64006400
	v_lshrrev_b32_e32 v51, 8, v51
	s_delay_alu instid0(VALU_DEP_4) | instskip(SKIP_1) | instid1(VALU_DEP_4)
	v_pk_fma_f16 v63, 0x2c00, v50, v46 op_sel_hi:[0,1,1]
	v_and_or_b32 v50, v52, s17, 0x64006400
	v_pk_add_f16 v65, v42, v49
	s_delay_alu instid0(VALU_DEP_4) | instskip(SKIP_1) | instid1(VALU_DEP_4)
	v_and_or_b32 v61, v51, s5, 0x64006400
	v_and_or_b32 v51, v51, s17, 0x64006400
	v_pk_fma_f16 v66, 0x2c00, v50, v45 op_sel_hi:[0,1,1]
	ds_load_2addr_b32 v[49:50], v48 offset0:8 offset1:9
	v_pk_add_f16 v61, v41, v61
	v_pk_fma_f16 v64, 0x2c00, v51, v46 op_sel_hi:[0,1,1]
	v_lshrrev_b32_e32 v51, 8, v52
	s_delay_alu instid0(VALU_DEP_1) | instskip(SKIP_1) | instid1(VALU_DEP_2)
	v_and_or_b32 v52, v51, s5, 0x64006400
	v_and_or_b32 v51, v51, s17, 0x64006400
	v_pk_add_f16 v67, v42, v52
	s_delay_alu instid0(VALU_DEP_2) | instskip(SKIP_2) | instid1(VALU_DEP_1)
	v_pk_fma_f16 v68, 0x2c00, v51, v45 op_sel_hi:[0,1,1]
	s_waitcnt lgkmcnt(0)
	v_pk_fma_f16 v51, v53, v49, 0
	v_pk_fma_f16 v69, v54, v50, v51
	ds_load_2addr_b32 v[51:52], v48 offset0:10 offset1:11
	s_waitcnt lgkmcnt(0)
	v_pk_fma_f16 v69, v55, v51, v69
	s_delay_alu instid0(VALU_DEP_1) | instskip(NEXT) | instid1(VALU_DEP_1)
	v_pk_fma_f16 v69, v56, v52, v69
	v_cvt_f32_f16_e32 v70, v69
	v_lshrrev_b32_e32 v69, 16, v69
	s_delay_alu instid0(VALU_DEP_1) | instskip(NEXT) | instid1(VALU_DEP_1)
	v_cvt_f32_f16_e32 v69, v69
	v_add_f32_e32 v69, v70, v69
	s_delay_alu instid0(VALU_DEP_1) | instskip(SKIP_1) | instid1(VALU_DEP_1)
	v_fmac_f32_e32 v0, v69, v36
	v_pk_fma_f16 v69, v59, v49, 0
	v_pk_fma_f16 v69, v57, v50, v69
	s_delay_alu instid0(VALU_DEP_1) | instskip(NEXT) | instid1(VALU_DEP_1)
	v_pk_fma_f16 v69, v58, v51, v69
	v_pk_fma_f16 v69, v60, v52, v69
	s_delay_alu instid0(VALU_DEP_1) | instskip(SKIP_1) | instid1(VALU_DEP_1)
	v_cvt_f32_f16_e32 v70, v69
	v_lshrrev_b32_e32 v69, 16, v69
	v_cvt_f32_f16_e32 v69, v69
	s_delay_alu instid0(VALU_DEP_1) | instskip(NEXT) | instid1(VALU_DEP_1)
	v_add_f32_e32 v69, v70, v69
	v_fmac_f32_e32 v7, v69, v38
	v_pk_fma_f16 v69, v62, v49, 0
	v_pk_fma_f16 v49, v65, v49, 0
	s_delay_alu instid0(VALU_DEP_2) | instskip(NEXT) | instid1(VALU_DEP_2)
	v_pk_fma_f16 v69, v63, v50, v69
	v_pk_fma_f16 v49, v66, v50, v49
	s_delay_alu instid0(VALU_DEP_2) | instskip(NEXT) | instid1(VALU_DEP_2)
	v_pk_fma_f16 v69, v61, v51, v69
	v_pk_fma_f16 v49, v67, v51, v49
	s_delay_alu instid0(VALU_DEP_2) | instskip(NEXT) | instid1(VALU_DEP_2)
	v_pk_fma_f16 v69, v64, v52, v69
	v_pk_fma_f16 v49, v68, v52, v49
	s_delay_alu instid0(VALU_DEP_2) | instskip(NEXT) | instid1(VALU_DEP_2)
	v_cvt_f32_f16_e32 v70, v69
	v_cvt_f32_f16_e32 v50, v49
	v_lshrrev_b32_e32 v49, 16, v49
	v_lshrrev_b32_e32 v69, 16, v69
	s_delay_alu instid0(VALU_DEP_2) | instskip(NEXT) | instid1(VALU_DEP_2)
	v_cvt_f32_f16_e32 v49, v49
	v_cvt_f32_f16_e32 v69, v69
	s_delay_alu instid0(VALU_DEP_2) | instskip(NEXT) | instid1(VALU_DEP_2)
	v_add_f32_e32 v49, v50, v49
	v_add_f32_e32 v69, v70, v69
	s_delay_alu instid0(VALU_DEP_2) | instskip(SKIP_4) | instid1(VALU_DEP_1)
	v_fmac_f32_e32 v9, v49, v39
	ds_load_2addr_b32 v[49:50], v48 offset0:72 offset1:73
	v_fmac_f32_e32 v8, v69, v37
	s_waitcnt lgkmcnt(0)
	v_pk_fma_f16 v51, v53, v49, 0
	v_pk_fma_f16 v69, v54, v50, v51
	ds_load_2addr_b32 v[51:52], v48 offset0:74 offset1:75
	s_waitcnt lgkmcnt(0)
	v_pk_fma_f16 v69, v55, v51, v69
	s_delay_alu instid0(VALU_DEP_1) | instskip(NEXT) | instid1(VALU_DEP_1)
	v_pk_fma_f16 v69, v56, v52, v69
	v_cvt_f32_f16_e32 v70, v69
	v_lshrrev_b32_e32 v69, 16, v69
	s_delay_alu instid0(VALU_DEP_1) | instskip(NEXT) | instid1(VALU_DEP_1)
	v_cvt_f32_f16_e32 v69, v69
	v_add_f32_e32 v69, v70, v69
	s_delay_alu instid0(VALU_DEP_1) | instskip(SKIP_1) | instid1(VALU_DEP_1)
	v_fmac_f32_e32 v10, v69, v36
	v_pk_fma_f16 v69, v59, v49, 0
	v_pk_fma_f16 v69, v57, v50, v69
	s_delay_alu instid0(VALU_DEP_1) | instskip(NEXT) | instid1(VALU_DEP_1)
	v_pk_fma_f16 v69, v58, v51, v69
	v_pk_fma_f16 v69, v60, v52, v69
	s_delay_alu instid0(VALU_DEP_1) | instskip(SKIP_1) | instid1(VALU_DEP_1)
	v_cvt_f32_f16_e32 v70, v69
	v_lshrrev_b32_e32 v69, 16, v69
	v_cvt_f32_f16_e32 v69, v69
	s_delay_alu instid0(VALU_DEP_1) | instskip(NEXT) | instid1(VALU_DEP_1)
	v_add_f32_e32 v69, v70, v69
	v_fmac_f32_e32 v11, v69, v38
	v_pk_fma_f16 v69, v62, v49, 0
	v_pk_fma_f16 v49, v65, v49, 0
	s_delay_alu instid0(VALU_DEP_2) | instskip(NEXT) | instid1(VALU_DEP_2)
	v_pk_fma_f16 v69, v63, v50, v69
	v_pk_fma_f16 v49, v66, v50, v49
	s_delay_alu instid0(VALU_DEP_2) | instskip(NEXT) | instid1(VALU_DEP_2)
	v_pk_fma_f16 v69, v61, v51, v69
	v_pk_fma_f16 v49, v67, v51, v49
	s_delay_alu instid0(VALU_DEP_2) | instskip(NEXT) | instid1(VALU_DEP_2)
	v_pk_fma_f16 v69, v64, v52, v69
	v_pk_fma_f16 v49, v68, v52, v49
	s_delay_alu instid0(VALU_DEP_2) | instskip(NEXT) | instid1(VALU_DEP_2)
	v_cvt_f32_f16_e32 v70, v69
	v_cvt_f32_f16_e32 v50, v49
	v_lshrrev_b32_e32 v49, 16, v49
	v_lshrrev_b32_e32 v69, 16, v69
	s_delay_alu instid0(VALU_DEP_2) | instskip(NEXT) | instid1(VALU_DEP_2)
	v_cvt_f32_f16_e32 v49, v49
	v_cvt_f32_f16_e32 v69, v69
	s_delay_alu instid0(VALU_DEP_2) | instskip(NEXT) | instid1(VALU_DEP_2)
	v_add_f32_e32 v49, v50, v49
	v_add_f32_e32 v69, v70, v69
	s_delay_alu instid0(VALU_DEP_2) | instskip(SKIP_4) | instid1(VALU_DEP_1)
	v_fmac_f32_e32 v13, v49, v39
	ds_load_2addr_b32 v[49:50], v48 offset0:136 offset1:137
	v_fmac_f32_e32 v12, v69, v37
	;; [unrolled: 53-line block ×3, first 2 shown]
	s_waitcnt lgkmcnt(0)
	v_pk_fma_f16 v51, v53, v49, 0
	v_pk_fma_f16 v69, v54, v50, v51
	ds_load_2addr_b32 v[51:52], v48 offset0:202 offset1:203
	s_waitcnt lgkmcnt(0)
	v_pk_fma_f16 v69, v55, v51, v69
	s_delay_alu instid0(VALU_DEP_1) | instskip(NEXT) | instid1(VALU_DEP_1)
	v_pk_fma_f16 v69, v56, v52, v69
	v_cvt_f32_f16_e32 v70, v69
	v_lshrrev_b32_e32 v69, 16, v69
	s_delay_alu instid0(VALU_DEP_1) | instskip(NEXT) | instid1(VALU_DEP_1)
	v_cvt_f32_f16_e32 v69, v69
	v_add_f32_e32 v69, v70, v69
	s_delay_alu instid0(VALU_DEP_1) | instskip(SKIP_1) | instid1(VALU_DEP_1)
	v_fmac_f32_e32 v18, v69, v36
	v_pk_fma_f16 v69, v59, v49, 0
	v_pk_fma_f16 v69, v57, v50, v69
	s_delay_alu instid0(VALU_DEP_1) | instskip(NEXT) | instid1(VALU_DEP_1)
	v_pk_fma_f16 v69, v58, v51, v69
	v_pk_fma_f16 v69, v60, v52, v69
	s_delay_alu instid0(VALU_DEP_1) | instskip(SKIP_1) | instid1(VALU_DEP_1)
	v_cvt_f32_f16_e32 v70, v69
	v_lshrrev_b32_e32 v69, 16, v69
	v_cvt_f32_f16_e32 v69, v69
	s_delay_alu instid0(VALU_DEP_1) | instskip(NEXT) | instid1(VALU_DEP_1)
	v_add_f32_e32 v69, v70, v69
	v_fmac_f32_e32 v19, v69, v38
	v_pk_fma_f16 v69, v62, v49, 0
	v_pk_fma_f16 v49, v65, v49, 0
	s_delay_alu instid0(VALU_DEP_2) | instskip(NEXT) | instid1(VALU_DEP_2)
	v_pk_fma_f16 v69, v63, v50, v69
	v_pk_fma_f16 v49, v66, v50, v49
	s_delay_alu instid0(VALU_DEP_2) | instskip(NEXT) | instid1(VALU_DEP_2)
	v_pk_fma_f16 v69, v61, v51, v69
	v_pk_fma_f16 v49, v67, v51, v49
	s_delay_alu instid0(VALU_DEP_2) | instskip(NEXT) | instid1(VALU_DEP_2)
	v_pk_fma_f16 v69, v64, v52, v69
	v_pk_fma_f16 v49, v68, v52, v49
	s_delay_alu instid0(VALU_DEP_2) | instskip(NEXT) | instid1(VALU_DEP_2)
	v_cvt_f32_f16_e32 v70, v69
	v_cvt_f32_f16_e32 v50, v49
	v_lshrrev_b32_e32 v49, 16, v49
	v_lshrrev_b32_e32 v69, 16, v69
	s_delay_alu instid0(VALU_DEP_2) | instskip(NEXT) | instid1(VALU_DEP_2)
	v_cvt_f32_f16_e32 v49, v49
	v_cvt_f32_f16_e32 v69, v69
	s_delay_alu instid0(VALU_DEP_2) | instskip(NEXT) | instid1(VALU_DEP_2)
	v_add_f32_e32 v49, v50, v49
	v_add_f32_e32 v69, v70, v69
	s_delay_alu instid0(VALU_DEP_2) | instskip(SKIP_2) | instid1(VALU_DEP_3)
	v_fmac_f32_e32 v21, v49, v39
	v_mov_b32_e32 v49, s19
	s_add_i32 s19, s13, 0x428
	v_fmac_f32_e32 v20, v69, v37
	ds_load_2addr_b32 v[49:50], v49 offset1:1
	s_waitcnt lgkmcnt(0)
	v_pk_fma_f16 v51, v53, v49, 0
	s_delay_alu instid0(VALU_DEP_1)
	v_pk_fma_f16 v69, v54, v50, v51
	v_mov_b32_e32 v51, s19
	s_add_i32 s19, s13, 0x520
	ds_load_2addr_b32 v[51:52], v51 offset1:1
	s_waitcnt lgkmcnt(0)
	v_pk_fma_f16 v69, v55, v51, v69
	s_delay_alu instid0(VALU_DEP_1) | instskip(NEXT) | instid1(VALU_DEP_1)
	v_pk_fma_f16 v69, v56, v52, v69
	v_cvt_f32_f16_e32 v70, v69
	v_lshrrev_b32_e32 v69, 16, v69
	s_delay_alu instid0(VALU_DEP_1) | instskip(NEXT) | instid1(VALU_DEP_1)
	v_cvt_f32_f16_e32 v69, v69
	v_add_f32_e32 v69, v70, v69
	s_delay_alu instid0(VALU_DEP_1) | instskip(SKIP_1) | instid1(VALU_DEP_1)
	v_fmac_f32_e32 v22, v69, v36
	v_pk_fma_f16 v69, v59, v49, 0
	v_pk_fma_f16 v69, v57, v50, v69
	s_delay_alu instid0(VALU_DEP_1) | instskip(NEXT) | instid1(VALU_DEP_1)
	v_pk_fma_f16 v69, v58, v51, v69
	v_pk_fma_f16 v69, v60, v52, v69
	s_delay_alu instid0(VALU_DEP_1) | instskip(SKIP_1) | instid1(VALU_DEP_1)
	v_cvt_f32_f16_e32 v70, v69
	v_lshrrev_b32_e32 v69, 16, v69
	v_cvt_f32_f16_e32 v69, v69
	s_delay_alu instid0(VALU_DEP_1) | instskip(NEXT) | instid1(VALU_DEP_1)
	v_add_f32_e32 v69, v70, v69
	v_fmac_f32_e32 v23, v69, v38
	v_pk_fma_f16 v69, v62, v49, 0
	v_pk_fma_f16 v49, v65, v49, 0
	s_delay_alu instid0(VALU_DEP_2) | instskip(NEXT) | instid1(VALU_DEP_2)
	v_pk_fma_f16 v69, v63, v50, v69
	v_pk_fma_f16 v49, v66, v50, v49
	s_delay_alu instid0(VALU_DEP_2) | instskip(NEXT) | instid1(VALU_DEP_2)
	;; [unrolled: 3-line block ×3, first 2 shown]
	v_pk_fma_f16 v69, v64, v52, v69
	v_pk_fma_f16 v49, v68, v52, v49
	s_delay_alu instid0(VALU_DEP_2) | instskip(SKIP_1) | instid1(VALU_DEP_3)
	v_cvt_f32_f16_e32 v70, v69
	v_lshrrev_b32_e32 v69, 16, v69
	v_cvt_f32_f16_e32 v50, v49
	v_lshrrev_b32_e32 v49, 16, v49
	s_delay_alu instid0(VALU_DEP_3) | instskip(NEXT) | instid1(VALU_DEP_2)
	v_cvt_f32_f16_e32 v69, v69
	v_cvt_f32_f16_e32 v49, v49
	s_delay_alu instid0(VALU_DEP_2) | instskip(NEXT) | instid1(VALU_DEP_2)
	v_add_f32_e32 v69, v70, v69
	v_add_f32_e32 v49, v50, v49
	s_delay_alu instid0(VALU_DEP_2) | instskip(NEXT) | instid1(VALU_DEP_2)
	v_fmac_f32_e32 v24, v69, v37
	v_fmac_f32_e32 v25, v49, v39
	v_mov_b32_e32 v49, s19
	s_add_i32 s19, s13, 0x528
	ds_load_2addr_b32 v[49:50], v49 offset1:1
	s_waitcnt lgkmcnt(0)
	v_pk_fma_f16 v51, v53, v49, 0
	s_delay_alu instid0(VALU_DEP_1)
	v_pk_fma_f16 v69, v54, v50, v51
	v_mov_b32_e32 v51, s19
	s_add_i32 s19, s13, 0x620
	ds_load_2addr_b32 v[51:52], v51 offset1:1
	s_waitcnt lgkmcnt(0)
	v_pk_fma_f16 v69, v55, v51, v69
	s_delay_alu instid0(VALU_DEP_1) | instskip(NEXT) | instid1(VALU_DEP_1)
	v_pk_fma_f16 v69, v56, v52, v69
	v_cvt_f32_f16_e32 v70, v69
	v_lshrrev_b32_e32 v69, 16, v69
	s_delay_alu instid0(VALU_DEP_1) | instskip(NEXT) | instid1(VALU_DEP_1)
	v_cvt_f32_f16_e32 v69, v69
	v_add_f32_e32 v69, v70, v69
	s_delay_alu instid0(VALU_DEP_1) | instskip(SKIP_1) | instid1(VALU_DEP_1)
	v_fmac_f32_e32 v26, v69, v36
	v_pk_fma_f16 v69, v59, v49, 0
	v_pk_fma_f16 v69, v57, v50, v69
	s_delay_alu instid0(VALU_DEP_1) | instskip(NEXT) | instid1(VALU_DEP_1)
	v_pk_fma_f16 v69, v58, v51, v69
	v_pk_fma_f16 v69, v60, v52, v69
	s_delay_alu instid0(VALU_DEP_1) | instskip(SKIP_1) | instid1(VALU_DEP_1)
	v_cvt_f32_f16_e32 v70, v69
	v_lshrrev_b32_e32 v69, 16, v69
	v_cvt_f32_f16_e32 v69, v69
	s_delay_alu instid0(VALU_DEP_1) | instskip(NEXT) | instid1(VALU_DEP_1)
	v_add_f32_e32 v69, v70, v69
	v_fmac_f32_e32 v27, v69, v38
	v_pk_fma_f16 v69, v62, v49, 0
	v_pk_fma_f16 v49, v65, v49, 0
	s_delay_alu instid0(VALU_DEP_2) | instskip(NEXT) | instid1(VALU_DEP_2)
	v_pk_fma_f16 v69, v63, v50, v69
	v_pk_fma_f16 v49, v66, v50, v49
	s_delay_alu instid0(VALU_DEP_2) | instskip(NEXT) | instid1(VALU_DEP_2)
	;; [unrolled: 3-line block ×4, first 2 shown]
	v_cvt_f32_f16_e32 v70, v69
	v_cvt_f32_f16_e32 v50, v49
	v_lshrrev_b32_e32 v49, 16, v49
	v_lshrrev_b32_e32 v69, 16, v69
	s_delay_alu instid0(VALU_DEP_2) | instskip(NEXT) | instid1(VALU_DEP_2)
	v_cvt_f32_f16_e32 v49, v49
	v_cvt_f32_f16_e32 v69, v69
	s_delay_alu instid0(VALU_DEP_2) | instskip(NEXT) | instid1(VALU_DEP_2)
	v_add_f32_e32 v49, v50, v49
	v_add_f32_e32 v69, v70, v69
	s_delay_alu instid0(VALU_DEP_2) | instskip(NEXT) | instid1(VALU_DEP_2)
	v_fmac_f32_e32 v29, v49, v39
	v_dual_fmac_f32 v28, v69, v37 :: v_dual_mov_b32 v49, s19
	s_add_i32 s19, s13, 0x628
	ds_load_2addr_b32 v[49:50], v49 offset1:1
	s_waitcnt lgkmcnt(0)
	v_pk_fma_f16 v51, v53, v49, 0
	s_delay_alu instid0(VALU_DEP_1)
	v_pk_fma_f16 v53, v54, v50, v51
	v_mov_b32_e32 v51, s19
	s_add_i32 s19, s13, 0x430
	ds_load_2addr_b32 v[51:52], v51 offset1:1
	s_waitcnt lgkmcnt(0)
	v_pk_fma_f16 v53, v55, v51, v53
	s_delay_alu instid0(VALU_DEP_1) | instskip(NEXT) | instid1(VALU_DEP_1)
	v_pk_fma_f16 v53, v56, v52, v53
	v_cvt_f32_f16_e32 v54, v53
	v_lshrrev_b32_e32 v53, 16, v53
	s_delay_alu instid0(VALU_DEP_1) | instskip(NEXT) | instid1(VALU_DEP_1)
	v_cvt_f32_f16_e32 v53, v53
	v_add_f32_e32 v53, v54, v53
	s_delay_alu instid0(VALU_DEP_1) | instskip(SKIP_1) | instid1(VALU_DEP_1)
	v_fmac_f32_e32 v30, v53, v36
	v_pk_fma_f16 v53, v59, v49, 0
	v_pk_fma_f16 v53, v57, v50, v53
	s_delay_alu instid0(VALU_DEP_1) | instskip(NEXT) | instid1(VALU_DEP_1)
	v_pk_fma_f16 v53, v58, v51, v53
	v_pk_fma_f16 v53, v60, v52, v53
	s_delay_alu instid0(VALU_DEP_1) | instskip(SKIP_1) | instid1(VALU_DEP_1)
	v_cvt_f32_f16_e32 v54, v53
	v_lshrrev_b32_e32 v53, 16, v53
	v_cvt_f32_f16_e32 v53, v53
	s_delay_alu instid0(VALU_DEP_1) | instskip(NEXT) | instid1(VALU_DEP_1)
	v_add_f32_e32 v53, v54, v53
	v_fmac_f32_e32 v31, v53, v38
	v_pk_fma_f16 v53, v62, v49, 0
	v_pk_fma_f16 v49, v65, v49, 0
	s_delay_alu instid0(VALU_DEP_2) | instskip(NEXT) | instid1(VALU_DEP_2)
	v_pk_fma_f16 v53, v63, v50, v53
	v_pk_fma_f16 v49, v66, v50, v49
	s_delay_alu instid0(VALU_DEP_2) | instskip(NEXT) | instid1(VALU_DEP_2)
	v_pk_fma_f16 v53, v61, v51, v53
	v_pk_fma_f16 v49, v67, v51, v49
	s_delay_alu instid0(VALU_DEP_2) | instskip(SKIP_4) | instid1(VALU_DEP_3)
	v_pk_fma_f16 v53, v64, v52, v53
	global_load_b128 v[62:65], v[4:5], off
	v_pk_fma_f16 v49, v68, v52, v49
	v_cvt_f32_f16_e32 v54, v53
	v_lshrrev_b32_e32 v53, 16, v53
	v_cvt_f32_f16_e32 v50, v49
	v_lshrrev_b32_e32 v49, 16, v49
	s_delay_alu instid0(VALU_DEP_3) | instskip(NEXT) | instid1(VALU_DEP_2)
	v_cvt_f32_f16_e32 v53, v53
	v_cvt_f32_f16_e32 v49, v49
	s_delay_alu instid0(VALU_DEP_2) | instskip(NEXT) | instid1(VALU_DEP_2)
	v_add_f32_e32 v53, v54, v53
	v_add_f32_e32 v49, v50, v49
	s_delay_alu instid0(VALU_DEP_2) | instskip(NEXT) | instid1(VALU_DEP_2)
	v_fmac_f32_e32 v32, v53, v37
	v_fmac_f32_e32 v35, v49, v39
	s_waitcnt vmcnt(0)
	v_lshrrev_b32_e32 v49, 8, v62
	v_and_or_b32 v4, v62, s5, 0x64006400
	v_and_or_b32 v5, v62, s17, 0x64006400
	s_delay_alu instid0(VALU_DEP_3) | instskip(SKIP_1) | instid1(VALU_DEP_4)
	v_and_or_b32 v50, v49, s5, 0x64006400
	v_and_or_b32 v49, v49, s17, 0x64006400
	v_pk_add_f16 v62, v40, v4
	s_delay_alu instid0(VALU_DEP_4)
	v_pk_fma_f16 v61, 0x2c00, v5, v44 op_sel_hi:[0,1,1]
	v_and_or_b32 v4, v63, s5, 0x64006400
	v_pk_add_f16 v59, v40, v50
	v_pk_fma_f16 v60, 0x2c00, v49, v44 op_sel_hi:[0,1,1]
	v_lshrrev_b32_e32 v49, 8, v63
	v_and_or_b32 v5, v63, s17, 0x64006400
	v_pk_add_f16 v55, v43, v4
	v_and_or_b32 v4, v64, s5, 0x64006400
	s_delay_alu instid0(VALU_DEP_4)
	v_and_or_b32 v50, v49, s5, 0x64006400
	v_and_or_b32 v49, v49, s17, 0x64006400
	v_pk_fma_f16 v56, 0x2c00, v5, v47 op_sel_hi:[0,1,1]
	v_and_or_b32 v5, v64, s17, 0x64006400
	v_pk_add_f16 v51, v41, v4
	v_pk_add_f16 v57, v43, v50
	v_pk_fma_f16 v58, 0x2c00, v49, v47 op_sel_hi:[0,1,1]
	v_lshrrev_b32_e32 v49, 8, v64
	v_pk_fma_f16 v52, 0x2c00, v5, v46 op_sel_hi:[0,1,1]
	v_and_or_b32 v4, v65, s5, 0x64006400
	v_and_or_b32 v5, v65, s17, 0x64006400
	s_delay_alu instid0(VALU_DEP_4) | instskip(SKIP_1) | instid1(VALU_DEP_2)
	v_and_or_b32 v50, v49, s5, 0x64006400
	v_and_or_b32 v49, v49, s17, 0x64006400
	v_pk_add_f16 v53, v41, v50
	s_delay_alu instid0(VALU_DEP_2) | instskip(SKIP_2) | instid1(VALU_DEP_2)
	v_pk_fma_f16 v54, 0x2c00, v49, v46 op_sel_hi:[0,1,1]
	v_lshrrev_b32_e32 v49, 8, v65
	v_pk_add_f16 v50, v42, v4
	v_and_or_b32 v63, v49, s5, 0x64006400
	v_and_or_b32 v64, v49, s17, 0x64006400
	v_pk_fma_f16 v49, 0x2c00, v5, v45 op_sel_hi:[0,1,1]
	s_delay_alu instid0(VALU_DEP_3) | instskip(NEXT) | instid1(VALU_DEP_3)
	v_pk_add_f16 v5, v42, v63
	v_pk_fma_f16 v4, 0x2c00, v64, v45 op_sel_hi:[0,1,1]
	ds_load_2addr_b32 v[63:64], v48 offset0:12 offset1:13
	s_waitcnt lgkmcnt(0)
	v_pk_fma_f16 v65, v62, v63, 0
	s_delay_alu instid0(VALU_DEP_1) | instskip(SKIP_3) | instid1(VALU_DEP_1)
	v_pk_fma_f16 v67, v61, v64, v65
	ds_load_2addr_b32 v[65:66], v48 offset0:14 offset1:15
	s_waitcnt lgkmcnt(0)
	v_pk_fma_f16 v67, v59, v65, v67
	v_pk_fma_f16 v67, v60, v66, v67
	s_delay_alu instid0(VALU_DEP_1) | instskip(SKIP_1) | instid1(VALU_DEP_1)
	v_cvt_f32_f16_e32 v68, v67
	v_lshrrev_b32_e32 v67, 16, v67
	v_cvt_f32_f16_e32 v67, v67
	s_delay_alu instid0(VALU_DEP_1) | instskip(NEXT) | instid1(VALU_DEP_1)
	v_add_f32_e32 v67, v68, v67
	v_fmac_f32_e32 v0, v67, v36
	v_pk_fma_f16 v67, v55, v63, 0
	s_delay_alu instid0(VALU_DEP_1) | instskip(NEXT) | instid1(VALU_DEP_1)
	v_pk_fma_f16 v67, v56, v64, v67
	v_pk_fma_f16 v67, v57, v65, v67
	s_delay_alu instid0(VALU_DEP_1) | instskip(NEXT) | instid1(VALU_DEP_1)
	v_pk_fma_f16 v67, v58, v66, v67
	v_cvt_f32_f16_e32 v68, v67
	v_lshrrev_b32_e32 v67, 16, v67
	s_delay_alu instid0(VALU_DEP_1) | instskip(NEXT) | instid1(VALU_DEP_1)
	v_cvt_f32_f16_e32 v67, v67
	v_add_f32_e32 v67, v68, v67
	s_delay_alu instid0(VALU_DEP_1) | instskip(SKIP_2) | instid1(VALU_DEP_2)
	v_fmac_f32_e32 v7, v67, v38
	v_pk_fma_f16 v67, v51, v63, 0
	v_pk_fma_f16 v63, v50, v63, 0
	v_pk_fma_f16 v67, v52, v64, v67
	s_delay_alu instid0(VALU_DEP_2) | instskip(NEXT) | instid1(VALU_DEP_2)
	v_pk_fma_f16 v63, v49, v64, v63
	v_pk_fma_f16 v67, v53, v65, v67
	s_delay_alu instid0(VALU_DEP_2) | instskip(NEXT) | instid1(VALU_DEP_2)
	v_pk_fma_f16 v63, v5, v65, v63
	v_pk_fma_f16 v67, v54, v66, v67
	s_delay_alu instid0(VALU_DEP_2) | instskip(NEXT) | instid1(VALU_DEP_2)
	v_pk_fma_f16 v63, v4, v66, v63
	v_cvt_f32_f16_e32 v68, v67
	s_delay_alu instid0(VALU_DEP_2) | instskip(SKIP_2) | instid1(VALU_DEP_2)
	v_cvt_f32_f16_e32 v64, v63
	v_lshrrev_b32_e32 v63, 16, v63
	v_lshrrev_b32_e32 v67, 16, v67
	v_cvt_f32_f16_e32 v63, v63
	s_delay_alu instid0(VALU_DEP_2) | instskip(NEXT) | instid1(VALU_DEP_2)
	v_cvt_f32_f16_e32 v67, v67
	v_add_f32_e32 v63, v64, v63
	s_delay_alu instid0(VALU_DEP_2) | instskip(NEXT) | instid1(VALU_DEP_2)
	v_add_f32_e32 v67, v68, v67
	v_fmac_f32_e32 v9, v63, v39
	ds_load_2addr_b32 v[63:64], v48 offset0:76 offset1:77
	v_fmac_f32_e32 v8, v67, v37
	s_waitcnt lgkmcnt(0)
	v_pk_fma_f16 v65, v62, v63, 0
	s_delay_alu instid0(VALU_DEP_1) | instskip(SKIP_3) | instid1(VALU_DEP_1)
	v_pk_fma_f16 v67, v61, v64, v65
	ds_load_2addr_b32 v[65:66], v48 offset0:78 offset1:79
	s_waitcnt lgkmcnt(0)
	v_pk_fma_f16 v67, v59, v65, v67
	v_pk_fma_f16 v67, v60, v66, v67
	s_delay_alu instid0(VALU_DEP_1) | instskip(SKIP_1) | instid1(VALU_DEP_1)
	v_cvt_f32_f16_e32 v68, v67
	v_lshrrev_b32_e32 v67, 16, v67
	v_cvt_f32_f16_e32 v67, v67
	s_delay_alu instid0(VALU_DEP_1) | instskip(NEXT) | instid1(VALU_DEP_1)
	v_add_f32_e32 v67, v68, v67
	v_fmac_f32_e32 v10, v67, v36
	v_pk_fma_f16 v67, v55, v63, 0
	s_delay_alu instid0(VALU_DEP_1) | instskip(NEXT) | instid1(VALU_DEP_1)
	v_pk_fma_f16 v67, v56, v64, v67
	v_pk_fma_f16 v67, v57, v65, v67
	s_delay_alu instid0(VALU_DEP_1) | instskip(NEXT) | instid1(VALU_DEP_1)
	v_pk_fma_f16 v67, v58, v66, v67
	v_cvt_f32_f16_e32 v68, v67
	v_lshrrev_b32_e32 v67, 16, v67
	s_delay_alu instid0(VALU_DEP_1) | instskip(NEXT) | instid1(VALU_DEP_1)
	v_cvt_f32_f16_e32 v67, v67
	v_add_f32_e32 v67, v68, v67
	s_delay_alu instid0(VALU_DEP_1) | instskip(SKIP_2) | instid1(VALU_DEP_2)
	v_fmac_f32_e32 v11, v67, v38
	v_pk_fma_f16 v67, v51, v63, 0
	v_pk_fma_f16 v63, v50, v63, 0
	v_pk_fma_f16 v67, v52, v64, v67
	s_delay_alu instid0(VALU_DEP_2) | instskip(NEXT) | instid1(VALU_DEP_2)
	v_pk_fma_f16 v63, v49, v64, v63
	v_pk_fma_f16 v67, v53, v65, v67
	s_delay_alu instid0(VALU_DEP_2) | instskip(NEXT) | instid1(VALU_DEP_2)
	v_pk_fma_f16 v63, v5, v65, v63
	v_pk_fma_f16 v67, v54, v66, v67
	s_delay_alu instid0(VALU_DEP_2) | instskip(NEXT) | instid1(VALU_DEP_2)
	v_pk_fma_f16 v63, v4, v66, v63
	v_cvt_f32_f16_e32 v68, v67
	s_delay_alu instid0(VALU_DEP_2) | instskip(SKIP_2) | instid1(VALU_DEP_2)
	v_cvt_f32_f16_e32 v64, v63
	v_lshrrev_b32_e32 v63, 16, v63
	v_lshrrev_b32_e32 v67, 16, v67
	v_cvt_f32_f16_e32 v63, v63
	s_delay_alu instid0(VALU_DEP_2) | instskip(NEXT) | instid1(VALU_DEP_2)
	v_cvt_f32_f16_e32 v67, v67
	v_add_f32_e32 v63, v64, v63
	s_delay_alu instid0(VALU_DEP_2) | instskip(NEXT) | instid1(VALU_DEP_2)
	v_add_f32_e32 v67, v68, v67
	v_fmac_f32_e32 v13, v63, v39
	ds_load_2addr_b32 v[63:64], v48 offset0:140 offset1:141
	v_fmac_f32_e32 v12, v67, v37
	;; [unrolled: 53-line block ×3, first 2 shown]
	s_waitcnt lgkmcnt(0)
	v_pk_fma_f16 v65, v62, v63, 0
	s_delay_alu instid0(VALU_DEP_1) | instskip(SKIP_3) | instid1(VALU_DEP_1)
	v_pk_fma_f16 v67, v61, v64, v65
	ds_load_2addr_b32 v[65:66], v48 offset0:206 offset1:207
	s_waitcnt lgkmcnt(0)
	v_pk_fma_f16 v48, v59, v65, v67
	v_pk_fma_f16 v48, v60, v66, v48
	s_delay_alu instid0(VALU_DEP_1) | instskip(SKIP_1) | instid1(VALU_DEP_1)
	v_cvt_f32_f16_e32 v67, v48
	v_lshrrev_b32_e32 v48, 16, v48
	v_cvt_f32_f16_e32 v48, v48
	s_delay_alu instid0(VALU_DEP_1) | instskip(NEXT) | instid1(VALU_DEP_1)
	v_add_f32_e32 v48, v67, v48
	v_fmac_f32_e32 v18, v48, v36
	v_pk_fma_f16 v48, v55, v63, 0
	s_delay_alu instid0(VALU_DEP_1) | instskip(NEXT) | instid1(VALU_DEP_1)
	v_pk_fma_f16 v48, v56, v64, v48
	v_pk_fma_f16 v48, v57, v65, v48
	s_delay_alu instid0(VALU_DEP_1) | instskip(NEXT) | instid1(VALU_DEP_1)
	v_pk_fma_f16 v48, v58, v66, v48
	v_cvt_f32_f16_e32 v67, v48
	v_lshrrev_b32_e32 v48, 16, v48
	s_delay_alu instid0(VALU_DEP_1) | instskip(NEXT) | instid1(VALU_DEP_1)
	v_cvt_f32_f16_e32 v48, v48
	v_add_f32_e32 v48, v67, v48
	s_delay_alu instid0(VALU_DEP_1) | instskip(SKIP_1) | instid1(VALU_DEP_1)
	v_fmac_f32_e32 v19, v48, v38
	v_pk_fma_f16 v48, v51, v63, 0
	v_pk_fma_f16 v48, v52, v64, v48
	s_delay_alu instid0(VALU_DEP_1) | instskip(NEXT) | instid1(VALU_DEP_1)
	v_pk_fma_f16 v48, v53, v65, v48
	v_pk_fma_f16 v48, v54, v66, v48
	s_delay_alu instid0(VALU_DEP_1) | instskip(SKIP_1) | instid1(VALU_DEP_1)
	v_cvt_f32_f16_e32 v67, v48
	v_lshrrev_b32_e32 v48, 16, v48
	v_cvt_f32_f16_e32 v48, v48
	s_delay_alu instid0(VALU_DEP_1) | instskip(NEXT) | instid1(VALU_DEP_1)
	v_add_f32_e32 v48, v67, v48
	v_fmac_f32_e32 v20, v48, v37
	v_pk_fma_f16 v48, v50, v63, 0
	s_delay_alu instid0(VALU_DEP_1) | instskip(NEXT) | instid1(VALU_DEP_1)
	v_pk_fma_f16 v48, v49, v64, v48
	v_pk_fma_f16 v48, v5, v65, v48
	s_delay_alu instid0(VALU_DEP_1) | instskip(NEXT) | instid1(VALU_DEP_1)
	v_pk_fma_f16 v48, v4, v66, v48
	v_cvt_f32_f16_e32 v63, v48
	v_lshrrev_b32_e32 v48, 16, v48
	s_delay_alu instid0(VALU_DEP_1) | instskip(NEXT) | instid1(VALU_DEP_1)
	v_cvt_f32_f16_e32 v48, v48
	v_add_f32_e32 v48, v63, v48
	s_delay_alu instid0(VALU_DEP_1) | instskip(SKIP_1) | instid1(SALU_CYCLE_1)
	v_dual_fmac_f32 v21, v48, v39 :: v_dual_mov_b32 v48, s19
	s_add_i32 s19, s13, 0x438
	v_mov_b32_e32 v65, s19
	s_add_i32 s19, s13, 0x530
	ds_load_2addr_b32 v[63:64], v48 offset1:1
	ds_load_2addr_b32 v[65:66], v65 offset1:1
	s_waitcnt lgkmcnt(1)
	v_pk_fma_f16 v48, v62, v63, 0
	s_delay_alu instid0(VALU_DEP_1) | instskip(SKIP_1) | instid1(VALU_DEP_1)
	v_pk_fma_f16 v48, v61, v64, v48
	s_waitcnt lgkmcnt(0)
	v_pk_fma_f16 v48, v59, v65, v48
	s_delay_alu instid0(VALU_DEP_1) | instskip(NEXT) | instid1(VALU_DEP_1)
	v_pk_fma_f16 v48, v60, v66, v48
	v_cvt_f32_f16_e32 v67, v48
	v_lshrrev_b32_e32 v48, 16, v48
	s_delay_alu instid0(VALU_DEP_1) | instskip(NEXT) | instid1(VALU_DEP_1)
	v_cvt_f32_f16_e32 v48, v48
	v_add_f32_e32 v48, v67, v48
	s_delay_alu instid0(VALU_DEP_1) | instskip(SKIP_1) | instid1(VALU_DEP_1)
	v_fmac_f32_e32 v22, v48, v36
	v_pk_fma_f16 v48, v55, v63, 0
	v_pk_fma_f16 v48, v56, v64, v48
	s_delay_alu instid0(VALU_DEP_1) | instskip(NEXT) | instid1(VALU_DEP_1)
	v_pk_fma_f16 v48, v57, v65, v48
	v_pk_fma_f16 v48, v58, v66, v48
	s_delay_alu instid0(VALU_DEP_1) | instskip(SKIP_1) | instid1(VALU_DEP_1)
	v_cvt_f32_f16_e32 v67, v48
	v_lshrrev_b32_e32 v48, 16, v48
	v_cvt_f32_f16_e32 v48, v48
	s_delay_alu instid0(VALU_DEP_1) | instskip(NEXT) | instid1(VALU_DEP_1)
	v_add_f32_e32 v48, v67, v48
	v_fmac_f32_e32 v23, v48, v38
	v_pk_fma_f16 v48, v51, v63, 0
	s_delay_alu instid0(VALU_DEP_1) | instskip(NEXT) | instid1(VALU_DEP_1)
	v_pk_fma_f16 v48, v52, v64, v48
	v_pk_fma_f16 v48, v53, v65, v48
	s_delay_alu instid0(VALU_DEP_1) | instskip(NEXT) | instid1(VALU_DEP_1)
	v_pk_fma_f16 v48, v54, v66, v48
	v_cvt_f32_f16_e32 v67, v48
	v_lshrrev_b32_e32 v48, 16, v48
	s_delay_alu instid0(VALU_DEP_1) | instskip(NEXT) | instid1(VALU_DEP_1)
	v_cvt_f32_f16_e32 v48, v48
	v_add_f32_e32 v48, v67, v48
	s_delay_alu instid0(VALU_DEP_1) | instskip(SKIP_1) | instid1(VALU_DEP_1)
	v_fmac_f32_e32 v24, v48, v37
	v_pk_fma_f16 v48, v50, v63, 0
	v_pk_fma_f16 v48, v49, v64, v48
	s_delay_alu instid0(VALU_DEP_1) | instskip(NEXT) | instid1(VALU_DEP_1)
	v_pk_fma_f16 v48, v5, v65, v48
	v_pk_fma_f16 v48, v4, v66, v48
	s_delay_alu instid0(VALU_DEP_1) | instskip(SKIP_1) | instid1(VALU_DEP_1)
	v_cvt_f32_f16_e32 v63, v48
	v_lshrrev_b32_e32 v48, 16, v48
	v_cvt_f32_f16_e32 v48, v48
	s_delay_alu instid0(VALU_DEP_1) | instskip(NEXT) | instid1(VALU_DEP_1)
	v_add_f32_e32 v48, v63, v48
	v_dual_fmac_f32 v25, v48, v39 :: v_dual_mov_b32 v48, s19
	s_add_i32 s19, s13, 0x538
	s_delay_alu instid0(SALU_CYCLE_1)
	v_mov_b32_e32 v65, s19
	s_add_i32 s19, s13, 0x630
	ds_load_2addr_b32 v[63:64], v48 offset1:1
	ds_load_2addr_b32 v[65:66], v65 offset1:1
	s_waitcnt lgkmcnt(1)
	v_pk_fma_f16 v48, v62, v63, 0
	s_delay_alu instid0(VALU_DEP_1) | instskip(SKIP_1) | instid1(VALU_DEP_1)
	v_pk_fma_f16 v48, v61, v64, v48
	s_waitcnt lgkmcnt(0)
	v_pk_fma_f16 v48, v59, v65, v48
	s_delay_alu instid0(VALU_DEP_1) | instskip(NEXT) | instid1(VALU_DEP_1)
	v_pk_fma_f16 v48, v60, v66, v48
	v_cvt_f32_f16_e32 v67, v48
	v_lshrrev_b32_e32 v48, 16, v48
	s_delay_alu instid0(VALU_DEP_1) | instskip(NEXT) | instid1(VALU_DEP_1)
	v_cvt_f32_f16_e32 v48, v48
	v_add_f32_e32 v48, v67, v48
	s_delay_alu instid0(VALU_DEP_1) | instskip(SKIP_1) | instid1(VALU_DEP_1)
	v_fmac_f32_e32 v26, v48, v36
	v_pk_fma_f16 v48, v55, v63, 0
	v_pk_fma_f16 v48, v56, v64, v48
	s_delay_alu instid0(VALU_DEP_1) | instskip(NEXT) | instid1(VALU_DEP_1)
	v_pk_fma_f16 v48, v57, v65, v48
	v_pk_fma_f16 v48, v58, v66, v48
	s_delay_alu instid0(VALU_DEP_1) | instskip(SKIP_1) | instid1(VALU_DEP_1)
	v_cvt_f32_f16_e32 v67, v48
	v_lshrrev_b32_e32 v48, 16, v48
	v_cvt_f32_f16_e32 v48, v48
	s_delay_alu instid0(VALU_DEP_1) | instskip(NEXT) | instid1(VALU_DEP_1)
	v_add_f32_e32 v48, v67, v48
	v_fmac_f32_e32 v27, v48, v38
	v_pk_fma_f16 v48, v51, v63, 0
	s_delay_alu instid0(VALU_DEP_1) | instskip(NEXT) | instid1(VALU_DEP_1)
	v_pk_fma_f16 v48, v52, v64, v48
	v_pk_fma_f16 v48, v53, v65, v48
	s_delay_alu instid0(VALU_DEP_1) | instskip(NEXT) | instid1(VALU_DEP_1)
	v_pk_fma_f16 v48, v54, v66, v48
	v_cvt_f32_f16_e32 v67, v48
	v_lshrrev_b32_e32 v48, 16, v48
	s_delay_alu instid0(VALU_DEP_1) | instskip(NEXT) | instid1(VALU_DEP_1)
	v_cvt_f32_f16_e32 v48, v48
	v_add_f32_e32 v48, v67, v48
	s_delay_alu instid0(VALU_DEP_1) | instskip(SKIP_1) | instid1(VALU_DEP_1)
	v_fmac_f32_e32 v28, v48, v37
	v_pk_fma_f16 v48, v50, v63, 0
	v_pk_fma_f16 v48, v49, v64, v48
	s_delay_alu instid0(VALU_DEP_1) | instskip(NEXT) | instid1(VALU_DEP_1)
	v_pk_fma_f16 v48, v5, v65, v48
	v_pk_fma_f16 v48, v4, v66, v48
	s_delay_alu instid0(VALU_DEP_1) | instskip(SKIP_1) | instid1(VALU_DEP_1)
	v_cvt_f32_f16_e32 v63, v48
	v_lshrrev_b32_e32 v48, 16, v48
	v_cvt_f32_f16_e32 v48, v48
	s_delay_alu instid0(VALU_DEP_1) | instskip(NEXT) | instid1(VALU_DEP_1)
	v_add_f32_e32 v48, v63, v48
	v_dual_fmac_f32 v29, v48, v39 :: v_dual_mov_b32 v48, s19
	s_add_i32 s19, s13, 0x638
	s_add_i32 s13, s13, 64
	s_cmp_ge_i32 s15, s20
	ds_load_2addr_b32 v[63:64], v48 offset1:1
	s_waitcnt lgkmcnt(0)
	v_pk_fma_f16 v48, v62, v63, 0
	s_delay_alu instid0(VALU_DEP_1) | instskip(SKIP_4) | instid1(VALU_DEP_1)
	v_pk_fma_f16 v48, v61, v64, v48
	v_mov_b32_e32 v61, s19
	ds_load_2addr_b32 v[61:62], v61 offset1:1
	s_waitcnt lgkmcnt(0)
	v_pk_fma_f16 v48, v59, v61, v48
	v_pk_fma_f16 v48, v60, v62, v48
	s_delay_alu instid0(VALU_DEP_1) | instskip(SKIP_1) | instid1(VALU_DEP_1)
	v_cvt_f32_f16_e32 v59, v48
	v_lshrrev_b32_e32 v48, 16, v48
	v_cvt_f32_f16_e32 v48, v48
	s_delay_alu instid0(VALU_DEP_1) | instskip(NEXT) | instid1(VALU_DEP_1)
	v_add_f32_e32 v48, v59, v48
	v_fmac_f32_e32 v30, v48, v36
	v_pk_fma_f16 v48, v55, v63, 0
	s_delay_alu instid0(VALU_DEP_1) | instskip(NEXT) | instid1(VALU_DEP_1)
	v_pk_fma_f16 v48, v56, v64, v48
	v_pk_fma_f16 v48, v57, v61, v48
	s_delay_alu instid0(VALU_DEP_1) | instskip(NEXT) | instid1(VALU_DEP_1)
	v_pk_fma_f16 v48, v58, v62, v48
	v_cvt_f32_f16_e32 v55, v48
	v_lshrrev_b32_e32 v48, 16, v48
	s_delay_alu instid0(VALU_DEP_1) | instskip(NEXT) | instid1(VALU_DEP_1)
	v_cvt_f32_f16_e32 v48, v48
	v_add_f32_e32 v48, v55, v48
	s_delay_alu instid0(VALU_DEP_1) | instskip(SKIP_1) | instid1(VALU_DEP_1)
	v_fmac_f32_e32 v31, v48, v38
	v_pk_fma_f16 v48, v51, v63, 0
	v_pk_fma_f16 v48, v52, v64, v48
	s_delay_alu instid0(VALU_DEP_1) | instskip(NEXT) | instid1(VALU_DEP_1)
	v_pk_fma_f16 v48, v53, v61, v48
	v_pk_fma_f16 v48, v54, v62, v48
	s_delay_alu instid0(VALU_DEP_1) | instskip(SKIP_1) | instid1(VALU_DEP_1)
	v_cvt_f32_f16_e32 v51, v48
	v_lshrrev_b32_e32 v48, 16, v48
	v_cvt_f32_f16_e32 v48, v48
	s_delay_alu instid0(VALU_DEP_1) | instskip(NEXT) | instid1(VALU_DEP_1)
	v_add_f32_e32 v48, v51, v48
	v_fmac_f32_e32 v32, v48, v37
	v_pk_fma_f16 v48, v50, v63, 0
	s_delay_alu instid0(VALU_DEP_1) | instskip(NEXT) | instid1(VALU_DEP_1)
	v_pk_fma_f16 v48, v49, v64, v48
	v_pk_fma_f16 v5, v5, v61, v48
	s_delay_alu instid0(VALU_DEP_1) | instskip(NEXT) | instid1(VALU_DEP_1)
	v_pk_fma_f16 v4, v4, v62, v5
	v_cvt_f32_f16_e32 v5, v4
	v_lshrrev_b32_e32 v4, 16, v4
	s_delay_alu instid0(VALU_DEP_1) | instskip(NEXT) | instid1(VALU_DEP_1)
	v_cvt_f32_f16_e32 v4, v4
	v_add_f32_e32 v4, v5, v4
	s_delay_alu instid0(VALU_DEP_1)
	v_fmac_f32_e32 v35, v4, v39
	s_cbranch_scc1 .LBB41_22
.LBB41_20:                              ; =>This Inner Loop Header: Depth=1
	s_cmp_lg_u32 s15, s4
	s_cbranch_scc1 .LBB41_19
; %bb.21:                               ;   in Loop: Header=BB41_20 Depth=1
	s_add_i32 s18, s18, 1
	s_add_i32 s4, s4, s14
	s_mul_i32 s19, s18, s16
	s_delay_alu instid0(SALU_CYCLE_1) | instskip(SKIP_2) | instid1(SALU_CYCLE_1)
	s_ashr_i32 s21, s19, 31
	v_add_nc_u32_e32 v4, s19, v1
	s_lshr_b32 s21, s21, 29
	s_add_i32 s19, s19, s21
	s_delay_alu instid0(VALU_DEP_1) | instskip(SKIP_1) | instid1(SALU_CYCLE_1)
	v_ashrrev_i32_e32 v5, 31, v4
	s_ashr_i32 s19, s19, 3
	v_add_nc_u32_e32 v36, s19, v6
	s_delay_alu instid0(VALU_DEP_2) | instskip(NEXT) | instid1(VALU_DEP_2)
	v_lshlrev_b64 v[4:5], 1, v[4:5]
	v_ashrrev_i32_e32 v37, 31, v36
	s_delay_alu instid0(VALU_DEP_2) | instskip(NEXT) | instid1(VALU_DEP_2)
	v_add_co_u32 v4, vcc_lo, s8, v4
	v_lshlrev_b64 v[36:37], 2, v[36:37]
	s_delay_alu instid0(VALU_DEP_4) | instskip(NEXT) | instid1(VALU_DEP_2)
	v_add_co_ci_u32_e32 v5, vcc_lo, s9, v5, vcc_lo
	v_add_co_u32 v36, vcc_lo, s6, v36
	s_delay_alu instid0(VALU_DEP_3)
	v_add_co_ci_u32_e32 v37, vcc_lo, s7, v37, vcc_lo
	global_load_b64 v[4:5], v[4:5], off
	global_load_b32 v37, v[36:37], off
	s_waitcnt vmcnt(1)
	v_cvt_f32_f16_e32 v36, v4
	v_lshrrev_b32_e32 v4, 16, v4
	s_waitcnt vmcnt(0)
	v_bfe_u32 v39, v37, v33, 4
	v_lshrrev_b32_e32 v40, 16, v5
	v_lshrrev_b32_e32 v41, v33, v37
	v_cvt_f32_f16_e32 v37, v5
	v_cvt_f32_f16_e32 v38, v4
	v_add_nc_u32_e32 v4, v39, v34
	v_cvt_f32_f16_e32 v39, v40
	v_bfe_u32 v5, v41, 4, 4
	v_bfe_u32 v40, v41, 8, 4
	;; [unrolled: 1-line block ×3, first 2 shown]
	v_cvt_f32_ubyte0_e32 v42, v4
	v_or_b32_e32 v4, 0xffffe400, v4
	v_add_nc_u32_e32 v5, v5, v34
	v_add_nc_u32_e32 v43, v40, v34
	;; [unrolled: 1-line block ×3, first 2 shown]
	v_cvt_f16_f32_e32 v42, v42
	v_perm_b32 v40, v4, v4, 0x5040100
	v_or_b32_e32 v4, 0xffffe400, v5
	v_cvt_f32_ubyte0_e32 v5, v5
	v_or_b32_e32 v44, 0xffffe400, v43
	v_cvt_f32_ubyte0_e32 v43, v43
	v_cvt_f32_ubyte0_e32 v45, v41
	v_sub_f16_e32 v47, 0xd400, v42
	v_cvt_f16_f32_e32 v5, v5
	v_or_b32_e32 v46, 0xffffe400, v41
	v_cvt_f16_f32_e32 v42, v43
	v_cvt_f16_f32_e32 v45, v45
	v_perm_b32 v43, v4, v4, 0x5040100
	v_sub_f16_e32 v4, 0xd400, v5
	v_perm_b32 v41, v44, v44, 0x5040100
	v_sub_f16_e32 v5, 0xd400, v42
	v_sub_f16_e32 v45, 0xd400, v45
	v_perm_b32 v42, v46, v46, 0x5040100
	v_pack_b32_f16 v44, v47, v47
	v_pack_b32_f16 v47, v4, v4
	;; [unrolled: 1-line block ×4, first 2 shown]
	s_branch .LBB41_19
.LBB41_22:
	v_cvt_f16_f32_e32 v46, v0
	v_cvt_f16_f32_e32 v45, v7
	;; [unrolled: 1-line block ×28, first 2 shown]
.LBB41_23:
	v_mad_u64_u32 v[2:3], null, s12, s16, v[1:2]
	v_perm_b32 v20, v45, v46, 0x5040100
	s_mov_b32 s0, 0
	s_delay_alu instid0(VALU_DEP_2) | instskip(NEXT) | instid1(VALU_DEP_1)
	v_ashrrev_i32_e32 v3, 31, v2
	v_lshlrev_b64 v[0:1], 1, v[2:3]
	s_delay_alu instid0(VALU_DEP_1) | instskip(NEXT) | instid1(VALU_DEP_2)
	v_add_co_u32 v0, vcc_lo, s10, v0
	v_add_co_ci_u32_e32 v1, vcc_lo, s11, v1, vcc_lo
	global_load_b32 v4, v[0:1], off
.LBB41_24:                              ; =>This Inner Loop Header: Depth=1
	s_waitcnt vmcnt(0)
	v_pk_add_f16 v3, v20, v4
	global_atomic_cmpswap_b32 v3, v[0:1], v[3:4], off glc
	s_waitcnt vmcnt(0)
	v_cmp_eq_u32_e32 vcc_lo, v4, v3
	v_mov_b32_e32 v4, v3
	s_or_b32 s0, vcc_lo, s0
	s_delay_alu instid0(SALU_CYCLE_1)
	s_and_not1_b32 exec_lo, exec_lo, s0
	s_cbranch_execnz .LBB41_24
; %bb.25:
	s_or_b32 exec_lo, exec_lo, s0
	global_load_b32 v4, v[0:1], off offset:4
	v_perm_b32 v20, v43, v44, 0x5040100
	s_mov_b32 s0, 0
.LBB41_26:                              ; =>This Inner Loop Header: Depth=1
	s_waitcnt vmcnt(0)
	s_delay_alu instid0(VALU_DEP_1)
	v_pk_add_f16 v3, v20, v4
	global_atomic_cmpswap_b32 v3, v[0:1], v[3:4], off offset:4 glc
	s_waitcnt vmcnt(0)
	v_cmp_eq_u32_e32 vcc_lo, v4, v3
	v_mov_b32_e32 v4, v3
	s_or_b32 s0, vcc_lo, s0
	s_delay_alu instid0(SALU_CYCLE_1)
	s_and_not1_b32 exec_lo, exec_lo, s0
	s_cbranch_execnz .LBB41_26
; %bb.27:
	s_or_b32 exec_lo, exec_lo, s0
	v_add_nc_u32_e32 v0, s16, v2
	v_perm_b32 v20, v41, v42, 0x5040100
	s_mov_b32 s0, 0
	s_delay_alu instid0(VALU_DEP_2) | instskip(NEXT) | instid1(VALU_DEP_1)
	v_ashrrev_i32_e32 v1, 31, v0
	v_lshlrev_b64 v[1:2], 1, v[0:1]
	s_delay_alu instid0(VALU_DEP_1) | instskip(NEXT) | instid1(VALU_DEP_2)
	v_add_co_u32 v1, vcc_lo, s10, v1
	v_add_co_ci_u32_e32 v2, vcc_lo, s11, v2, vcc_lo
	global_load_b32 v4, v[1:2], off
.LBB41_28:                              ; =>This Inner Loop Header: Depth=1
	s_waitcnt vmcnt(0)
	v_pk_add_f16 v3, v20, v4
	global_atomic_cmpswap_b32 v3, v[1:2], v[3:4], off glc
	s_waitcnt vmcnt(0)
	v_cmp_eq_u32_e32 vcc_lo, v4, v3
	v_mov_b32_e32 v4, v3
	s_or_b32 s0, vcc_lo, s0
	s_delay_alu instid0(SALU_CYCLE_1)
	s_and_not1_b32 exec_lo, exec_lo, s0
	s_cbranch_execnz .LBB41_28
; %bb.29:
	s_or_b32 exec_lo, exec_lo, s0
	global_load_b32 v4, v[1:2], off offset:4
	v_perm_b32 v20, v39, v40, 0x5040100
	s_mov_b32 s0, 0
.LBB41_30:                              ; =>This Inner Loop Header: Depth=1
	s_waitcnt vmcnt(0)
	s_delay_alu instid0(VALU_DEP_1)
	v_pk_add_f16 v3, v20, v4
	global_atomic_cmpswap_b32 v3, v[1:2], v[3:4], off offset:4 glc
	s_waitcnt vmcnt(0)
	v_cmp_eq_u32_e32 vcc_lo, v4, v3
	v_mov_b32_e32 v4, v3
	s_or_b32 s0, vcc_lo, s0
	s_delay_alu instid0(SALU_CYCLE_1)
	s_and_not1_b32 exec_lo, exec_lo, s0
	s_cbranch_execnz .LBB41_30
; %bb.31:
	s_or_b32 exec_lo, exec_lo, s0
	v_add_nc_u32_e32 v0, s16, v0
	;; [unrolled: 40-line block ×6, first 2 shown]
	v_perm_b32 v4, v7, v8, 0x5040100
	s_mov_b32 s0, 0
	s_delay_alu instid0(VALU_DEP_2) | instskip(NEXT) | instid1(VALU_DEP_1)
	v_ashrrev_i32_e32 v1, 31, v0
	v_lshlrev_b64 v[0:1], 1, v[0:1]
	s_delay_alu instid0(VALU_DEP_1) | instskip(NEXT) | instid1(VALU_DEP_2)
	v_add_co_u32 v0, vcc_lo, s10, v0
	v_add_co_ci_u32_e32 v1, vcc_lo, s11, v1, vcc_lo
	global_load_b32 v3, v[0:1], off
.LBB41_48:                              ; =>This Inner Loop Header: Depth=1
	s_waitcnt vmcnt(0)
	v_pk_add_f16 v2, v4, v3
	global_atomic_cmpswap_b32 v2, v[0:1], v[2:3], off glc
	s_waitcnt vmcnt(0)
	v_cmp_eq_u32_e32 vcc_lo, v3, v2
	v_mov_b32_e32 v3, v2
	s_or_b32 s0, vcc_lo, s0
	s_delay_alu instid0(SALU_CYCLE_1)
	s_and_not1_b32 exec_lo, exec_lo, s0
	s_cbranch_execnz .LBB41_48
; %bb.49:
	s_or_b32 exec_lo, exec_lo, s0
	global_load_b32 v3, v[0:1], off offset:4
	v_perm_b32 v4, v5, v6, 0x5040100
	s_mov_b32 s0, 0
.LBB41_50:                              ; =>This Inner Loop Header: Depth=1
	s_waitcnt vmcnt(0)
	s_delay_alu instid0(VALU_DEP_1)
	v_pk_add_f16 v2, v4, v3
	global_atomic_cmpswap_b32 v2, v[0:1], v[2:3], off offset:4 glc
	s_waitcnt vmcnt(0)
	v_cmp_eq_u32_e32 vcc_lo, v3, v2
	v_mov_b32_e32 v3, v2
	s_or_b32 s0, vcc_lo, s0
	s_delay_alu instid0(SALU_CYCLE_1)
	s_and_not1_b32 exec_lo, exec_lo, s0
	s_cbranch_execnz .LBB41_50
.LBB41_51:
	s_endpgm
	.section	.rodata,"a",@progbits
	.p2align	6, 0x0
	.amdhsa_kernel _ZN4vllm4gptq33gemm_half_q_half_gptq_4bit_kernelILb1ELi7EEEvPK6__halfPKjS6_S4_PS2_iiiibPKi
		.amdhsa_group_segment_fixed_size 1792
		.amdhsa_private_segment_fixed_size 0
		.amdhsa_kernarg_size 72
		.amdhsa_user_sgpr_count 13
		.amdhsa_user_sgpr_dispatch_ptr 0
		.amdhsa_user_sgpr_queue_ptr 0
		.amdhsa_user_sgpr_kernarg_segment_ptr 1
		.amdhsa_user_sgpr_dispatch_id 0
		.amdhsa_user_sgpr_private_segment_size 0
		.amdhsa_wavefront_size32 1
		.amdhsa_uses_dynamic_stack 0
		.amdhsa_enable_private_segment 0
		.amdhsa_system_sgpr_workgroup_id_x 1
		.amdhsa_system_sgpr_workgroup_id_y 1
		.amdhsa_system_sgpr_workgroup_id_z 1
		.amdhsa_system_sgpr_workgroup_info 0
		.amdhsa_system_vgpr_workitem_id 0
		.amdhsa_next_free_vgpr 71
		.amdhsa_next_free_sgpr 24
		.amdhsa_reserve_vcc 1
		.amdhsa_float_round_mode_32 0
		.amdhsa_float_round_mode_16_64 0
		.amdhsa_float_denorm_mode_32 3
		.amdhsa_float_denorm_mode_16_64 3
		.amdhsa_dx10_clamp 1
		.amdhsa_ieee_mode 1
		.amdhsa_fp16_overflow 0
		.amdhsa_workgroup_processor_mode 1
		.amdhsa_memory_ordered 1
		.amdhsa_forward_progress 0
		.amdhsa_shared_vgpr_count 0
		.amdhsa_exception_fp_ieee_invalid_op 0
		.amdhsa_exception_fp_denorm_src 0
		.amdhsa_exception_fp_ieee_div_zero 0
		.amdhsa_exception_fp_ieee_overflow 0
		.amdhsa_exception_fp_ieee_underflow 0
		.amdhsa_exception_fp_ieee_inexact 0
		.amdhsa_exception_int_div_zero 0
	.end_amdhsa_kernel
	.section	.text._ZN4vllm4gptq33gemm_half_q_half_gptq_4bit_kernelILb1ELi7EEEvPK6__halfPKjS6_S4_PS2_iiiibPKi,"axG",@progbits,_ZN4vllm4gptq33gemm_half_q_half_gptq_4bit_kernelILb1ELi7EEEvPK6__halfPKjS6_S4_PS2_iiiibPKi,comdat
.Lfunc_end41:
	.size	_ZN4vllm4gptq33gemm_half_q_half_gptq_4bit_kernelILb1ELi7EEEvPK6__halfPKjS6_S4_PS2_iiiibPKi, .Lfunc_end41-_ZN4vllm4gptq33gemm_half_q_half_gptq_4bit_kernelILb1ELi7EEEvPK6__halfPKjS6_S4_PS2_iiiibPKi
                                        ; -- End function
	.section	.AMDGPU.csdata,"",@progbits
; Kernel info:
; codeLenInByte = 13700
; NumSgprs: 26
; NumVgprs: 71
; ScratchSize: 0
; MemoryBound: 0
; FloatMode: 240
; IeeeMode: 1
; LDSByteSize: 1792 bytes/workgroup (compile time only)
; SGPRBlocks: 3
; VGPRBlocks: 8
; NumSGPRsForWavesPerEU: 26
; NumVGPRsForWavesPerEU: 71
; Occupancy: 16
; WaveLimiterHint : 0
; COMPUTE_PGM_RSRC2:SCRATCH_EN: 0
; COMPUTE_PGM_RSRC2:USER_SGPR: 13
; COMPUTE_PGM_RSRC2:TRAP_HANDLER: 0
; COMPUTE_PGM_RSRC2:TGID_X_EN: 1
; COMPUTE_PGM_RSRC2:TGID_Y_EN: 1
; COMPUTE_PGM_RSRC2:TGID_Z_EN: 1
; COMPUTE_PGM_RSRC2:TIDIG_COMP_CNT: 0
	.section	.text._ZN4vllm4gptq33gemm_half_q_half_gptq_8bit_kernelILb1ELi7EEEvPK6__halfPKjS6_S4_PS2_iiiibPKi,"axG",@progbits,_ZN4vllm4gptq33gemm_half_q_half_gptq_8bit_kernelILb1ELi7EEEvPK6__halfPKjS6_S4_PS2_iiiibPKi,comdat
	.protected	_ZN4vllm4gptq33gemm_half_q_half_gptq_8bit_kernelILb1ELi7EEEvPK6__halfPKjS6_S4_PS2_iiiibPKi ; -- Begin function _ZN4vllm4gptq33gemm_half_q_half_gptq_8bit_kernelILb1ELi7EEEvPK6__halfPKjS6_S4_PS2_iiiibPKi
	.globl	_ZN4vllm4gptq33gemm_half_q_half_gptq_8bit_kernelILb1ELi7EEEvPK6__halfPKjS6_S4_PS2_iiiibPKi
	.p2align	8
	.type	_ZN4vllm4gptq33gemm_half_q_half_gptq_8bit_kernelILb1ELi7EEEvPK6__halfPKjS6_S4_PS2_iiiibPKi,@function
_ZN4vllm4gptq33gemm_half_q_half_gptq_8bit_kernelILb1ELi7EEEvPK6__halfPKjS6_S4_PS2_iiiibPKi: ; @_ZN4vllm4gptq33gemm_half_q_half_gptq_8bit_kernelILb1ELi7EEEvPK6__halfPKjS6_S4_PS2_iiiibPKi
; %bb.0:
	s_load_b128 s[16:19], s[0:1], 0x2c
	s_lshl_b32 s15, s15, 7
	s_load_b256 s[4:11], s[0:1], 0x8
	s_add_i32 s2, s15, 0x80
	s_mul_i32 s12, s14, 7
	v_cvt_f64_u32_e32 v[1:2], s2
	s_mov_b32 s14, exec_lo
	s_waitcnt lgkmcnt(0)
	v_cvt_f64_i32_e32 v[3:4], s17
	s_delay_alu instid0(VALU_DEP_1) | instskip(NEXT) | instid1(VALU_DEP_1)
	v_min_f64 v[1:2], v[1:2], v[3:4]
	v_cvt_i32_f64_e32 v2, v[1:2]
	v_add_nc_u32_e32 v1, s15, v0
	s_delay_alu instid0(VALU_DEP_2) | instskip(NEXT) | instid1(VALU_DEP_2)
	v_readfirstlane_b32 s20, v2
	v_cmpx_lt_u32_e64 v1, v2
	s_cbranch_execz .LBB42_16
; %bb.1:
	s_clause 0x1
	s_load_b64 s[2:3], s[0:1], 0x40
	s_load_b64 s[0:1], s[0:1], 0x0
	v_mov_b32_e32 v2, 0
	s_delay_alu instid0(VALU_DEP_1) | instskip(SKIP_2) | instid1(VALU_DEP_2)
	v_lshlrev_b64 v[3:4], 2, v[1:2]
	v_dual_mov_b32 v6, v2 :: v_dual_mov_b32 v5, v1
	s_waitcnt lgkmcnt(0)
	v_add_co_u32 v3, vcc_lo, s2, v3
	s_delay_alu instid0(VALU_DEP_3)
	v_add_co_ci_u32_e32 v4, vcc_lo, s3, v4, vcc_lo
	s_cmp_lg_u64 s[2:3], 0
	s_cselect_b32 s21, -1, 0
	s_cmp_eq_u64 s[2:3], 0
	s_cbranch_scc1 .LBB42_3
; %bb.2:
	global_load_b32 v5, v[3:4], off
	s_waitcnt vmcnt(0)
	v_ashrrev_i32_e32 v6, 31, v5
.LBB42_3:
	s_mul_i32 s2, s12, s17
	s_delay_alu instid0(VALU_DEP_1)
	v_lshlrev_b64 v[5:6], 1, v[5:6]
	s_ashr_i32 s3, s2, 31
	v_lshlrev_b32_e32 v7, 1, v0
	s_lshl_b64 s[22:23], s[2:3], 1
	v_cndmask_b32_e64 v8, 0, 1, s21
	s_add_u32 s3, s0, s22
	s_addc_u32 s22, s1, s23
	v_add_co_u32 v5, vcc_lo, s3, v5
	v_add_co_ci_u32_e32 v6, vcc_lo, s22, v6, vcc_lo
	s_and_not1_b32 vcc_lo, exec_lo, s21
	global_load_u16 v9, v[5:6], off
	v_dual_mov_b32 v6, v2 :: v_dual_mov_b32 v5, v1
	s_waitcnt vmcnt(0)
	ds_store_b16 v7, v9
	s_cbranch_vccnz .LBB42_5
; %bb.4:
	global_load_b32 v5, v[3:4], off
	s_waitcnt vmcnt(0)
	v_ashrrev_i32_e32 v6, 31, v5
.LBB42_5:
	s_add_i32 s2, s2, s17
	s_delay_alu instid0(VALU_DEP_1) | instskip(SKIP_1) | instid1(SALU_CYCLE_1)
	v_lshlrev_b64 v[5:6], 1, v[5:6]
	s_ashr_i32 s3, s2, 31
	s_lshl_b64 s[22:23], s[2:3], 1
	s_delay_alu instid0(SALU_CYCLE_1) | instskip(SKIP_1) | instid1(VALU_DEP_1)
	s_add_u32 s3, s0, s22
	s_addc_u32 s21, s1, s23
	v_add_co_u32 v5, vcc_lo, s3, v5
	v_add_co_ci_u32_e32 v6, vcc_lo, s21, v6, vcc_lo
	v_cmp_ne_u32_e32 vcc_lo, 1, v8
	global_load_u16 v9, v[5:6], off
	v_dual_mov_b32 v6, v2 :: v_dual_mov_b32 v5, v1
	s_waitcnt vmcnt(0)
	ds_store_b16 v7, v9 offset:256
	s_cbranch_vccnz .LBB42_7
; %bb.6:
	global_load_b32 v5, v[3:4], off
	s_waitcnt vmcnt(0)
	v_ashrrev_i32_e32 v6, 31, v5
.LBB42_7:
	s_add_i32 s2, s2, s17
	s_delay_alu instid0(VALU_DEP_1) | instskip(SKIP_1) | instid1(SALU_CYCLE_1)
	v_lshlrev_b64 v[5:6], 1, v[5:6]
	s_ashr_i32 s3, s2, 31
	s_lshl_b64 s[22:23], s[2:3], 1
	s_delay_alu instid0(SALU_CYCLE_1) | instskip(SKIP_1) | instid1(VALU_DEP_1)
	s_add_u32 s3, s0, s22
	s_addc_u32 s21, s1, s23
	v_add_co_u32 v5, vcc_lo, s3, v5
	v_add_co_ci_u32_e32 v6, vcc_lo, s21, v6, vcc_lo
	v_cmp_ne_u32_e32 vcc_lo, 1, v8
	global_load_u16 v9, v[5:6], off
	v_dual_mov_b32 v6, v2 :: v_dual_mov_b32 v5, v1
	s_waitcnt vmcnt(0)
	ds_store_b16 v7, v9 offset:512
	;; [unrolled: 21-line block ×4, first 2 shown]
	s_cbranch_vccnz .LBB42_13
; %bb.12:
	global_load_b32 v5, v[3:4], off
	s_waitcnt vmcnt(0)
	v_ashrrev_i32_e32 v6, 31, v5
.LBB42_13:
	s_add_i32 s2, s2, s17
	s_delay_alu instid0(VALU_DEP_1) | instskip(SKIP_1) | instid1(SALU_CYCLE_1)
	v_lshlrev_b64 v[5:6], 1, v[5:6]
	s_ashr_i32 s3, s2, 31
	s_lshl_b64 s[22:23], s[2:3], 1
	s_delay_alu instid0(SALU_CYCLE_1) | instskip(SKIP_1) | instid1(VALU_DEP_1)
	s_add_u32 s3, s0, s22
	s_addc_u32 s21, s1, s23
	v_add_co_u32 v5, vcc_lo, s3, v5
	v_add_co_ci_u32_e32 v6, vcc_lo, s21, v6, vcc_lo
	v_cmp_ne_u32_e32 vcc_lo, 1, v8
	global_load_u16 v5, v[5:6], off
	s_waitcnt vmcnt(0)
	ds_store_b16 v7, v5 offset:1280
	s_cbranch_vccnz .LBB42_15
; %bb.14:
	global_load_b32 v1, v[3:4], off
	s_waitcnt vmcnt(0)
	v_ashrrev_i32_e32 v2, 31, v1
.LBB42_15:
	s_add_i32 s2, s2, s17
	s_delay_alu instid0(VALU_DEP_1) | instskip(SKIP_1) | instid1(SALU_CYCLE_1)
	v_lshlrev_b64 v[1:2], 1, v[1:2]
	s_ashr_i32 s3, s2, 31
	s_lshl_b64 s[2:3], s[2:3], 1
	s_delay_alu instid0(SALU_CYCLE_1) | instskip(SKIP_1) | instid1(VALU_DEP_1)
	s_add_u32 s0, s0, s2
	s_addc_u32 s1, s1, s3
	v_add_co_u32 v1, vcc_lo, s0, v1
	v_add_co_ci_u32_e32 v2, vcc_lo, s1, v2, vcc_lo
	global_load_u16 v1, v[1:2], off
	s_waitcnt vmcnt(0)
	ds_store_b16 v7, v1 offset:1536
.LBB42_16:
	s_or_b32 exec_lo, exec_lo, s14
	v_lshlrev_b32_e32 v0, 2, v0
	s_mov_b32 s0, exec_lo
	s_delay_alu instid0(VALU_DEP_1) | instskip(NEXT) | instid1(VALU_DEP_1)
	v_lshl_add_u32 v12, s13, 9, v0
	v_cmpx_gt_i32_e64 s16, v12
	s_cbranch_execz .LBB42_50
; %bb.17:
	s_abs_i32 s0, s18
	v_dual_mov_b32 v57, 0 :: v_dual_mov_b32 v54, 0
	v_cvt_f32_u32_e32 v0, s0
	v_dual_mov_b32 v56, 0 :: v_dual_mov_b32 v55, 0
	v_dual_mov_b32 v48, 0 :: v_dual_mov_b32 v49, 0
	s_delay_alu instid0(VALU_DEP_3)
	v_rcp_iflag_f32_e32 v0, v0
	v_dual_mov_b32 v52, 0 :: v_dual_mov_b32 v53, 0
	v_dual_mov_b32 v44, 0 :: v_dual_mov_b32 v45, 0
	;; [unrolled: 1-line block ×4, first 2 shown]
	s_waitcnt_depctr 0xfff
	v_dual_mov_b32 v47, 0 :: v_dual_mul_f32 v0, 0x4f7ffffe, v0
	v_dual_mov_b32 v46, 0 :: v_dual_mov_b32 v37, 0
	v_dual_mov_b32 v36, 0 :: v_dual_mov_b32 v43, 0
	s_delay_alu instid0(VALU_DEP_3) | instskip(SKIP_2) | instid1(VALU_DEP_3)
	v_cvt_u32_f32_e32 v0, v0
	v_dual_mov_b32 v42, 0 :: v_dual_mov_b32 v35, 0
	v_dual_mov_b32 v34, 0 :: v_dual_mov_b32 v39, 0
	v_readfirstlane_b32 s1, v0
	v_dual_mov_b32 v38, 0 :: v_dual_mov_b32 v31, 0
	v_dual_mov_b32 v30, 0 :: v_dual_mov_b32 v33, 0
	v_mov_b32_e32 v32, 0
	s_cmp_ge_i32 s15, s20
	s_mov_b32 s2, 0
	s_waitcnt lgkmcnt(0)
	s_barrier
	buffer_gl0_inv
	s_cbranch_scc1 .LBB42_22
; %bb.18:
	s_sub_i32 s3, 0, s0
	s_abs_i32 s13, s17
	s_mul_i32 s3, s3, s1
	s_ashr_i32 s14, s18, 31
	s_mul_hi_u32 s3, s1, s3
	v_ashrrev_i32_e32 v18, 2, v12
	s_add_i32 s1, s1, s3
	s_ashr_i32 s3, s17, 31
	s_mul_hi_u32 s1, s13, s1
	s_xor_b32 s3, s3, s14
	s_mul_i32 s17, s1, s0
	s_add_i32 s14, s1, 1
	s_sub_i32 s13, s13, s17
	v_ashrrev_i32_e32 v13, 31, v12
	s_sub_i32 s17, s13, s0
	s_cmp_ge_u32 s13, s0
	v_dual_mov_b32 v32, 0 :: v_dual_mov_b32 v35, 0
	s_cselect_b32 s1, s14, s1
	s_cselect_b32 s13, s17, s13
	s_add_i32 s14, s1, 1
	s_cmp_ge_u32 s13, s0
	v_dual_mov_b32 v30, 0 :: v_dual_mov_b32 v43, 0
	s_cselect_b32 s0, s14, s1
	v_dual_mov_b32 v38, 0 :: v_dual_mov_b32 v37, 0
	s_xor_b32 s0, s0, s3
	v_dual_mov_b32 v34, 0 :: v_dual_mov_b32 v47, 0
	s_sub_i32 s3, s0, s3
	s_bitcmp1_b32 s19, 0
	v_cvt_f32_u32_e32 v0, s3
	s_cselect_b32 s1, -1, 0
	s_sub_i32 s13, 0, s3
	s_xor_b32 s14, s1, -1
	v_dual_mov_b32 v42, 0 :: v_dual_mov_b32 v41, 0
	v_rcp_iflag_f32_e32 v0, v0
	v_dual_mov_b32 v36, 0 :: v_dual_mov_b32 v51, 0
	v_dual_mov_b32 v46, 0 :: v_dual_mov_b32 v45, 0
	;; [unrolled: 1-line block ×4, first 2 shown]
	s_waitcnt_depctr 0xfff
	v_dual_mov_b32 v49, 0 :: v_dual_mul_f32 v0, 0x4f7ffffe, v0
	v_dual_mov_b32 v44, 0 :: v_dual_mov_b32 v55, 0
	v_dual_mov_b32 v52, 0 :: v_dual_mov_b32 v57, 0
	s_delay_alu instid0(VALU_DEP_3) | instskip(SKIP_3) | instid1(VALU_DEP_4)
	v_cvt_u32_f32_e32 v0, v0
	v_mov_b32_e32 v48, 0
	v_mov_b32_e32 v56, 0
	v_dual_mov_b32 v54, 0 :: v_dual_mov_b32 v31, 0
	v_readfirstlane_b32 s0, v0
	v_mov_b32_e32 v39, 0
	s_delay_alu instid0(VALU_DEP_2) | instskip(NEXT) | instid1(SALU_CYCLE_1)
	s_mul_i32 s13, s13, s0
	s_mul_hi_u32 s13, s0, s13
	s_delay_alu instid0(SALU_CYCLE_1) | instskip(NEXT) | instid1(SALU_CYCLE_1)
	s_add_i32 s0, s0, s13
	s_mul_hi_u32 s0, s15, s0
	s_delay_alu instid0(SALU_CYCLE_1) | instskip(NEXT) | instid1(SALU_CYCLE_1)
	s_mul_i32 s13, s0, s3
	s_sub_i32 s1, s15, s13
	s_add_i32 s13, s0, 1
	s_sub_i32 s17, s1, s3
	s_cmp_ge_u32 s1, s3
	s_cselect_b32 s0, s13, s0
	s_cselect_b32 s1, s17, s1
	s_add_i32 s13, s0, 1
	s_cmp_ge_u32 s1, s3
	s_cselect_b32 s13, s13, s0
	s_delay_alu instid0(SALU_CYCLE_1) | instskip(NEXT) | instid1(SALU_CYCLE_1)
	s_mul_i32 s0, s13, s16
	s_ashr_i32 s1, s0, 31
	v_add_nc_u32_e32 v0, s0, v12
	s_lshr_b32 s1, s1, 30
	s_delay_alu instid0(SALU_CYCLE_1) | instskip(NEXT) | instid1(SALU_CYCLE_1)
	s_add_i32 s0, s0, s1
	s_ashr_i32 s0, s0, 2
	s_delay_alu instid0(VALU_DEP_1) | instskip(SKIP_2) | instid1(SALU_CYCLE_1)
	v_ashrrev_i32_e32 v1, 31, v0
	v_add_nc_u32_e32 v2, s0, v18
	s_lshr_b32 s0, s15, 2
	s_mul_i32 s0, s0, s16
	s_delay_alu instid0(VALU_DEP_2) | instskip(NEXT) | instid1(VALU_DEP_2)
	v_lshlrev_b64 v[0:1], 1, v[0:1]
	v_ashrrev_i32_e32 v3, 31, v2
	s_ashr_i32 s1, s0, 31
	s_delay_alu instid0(SALU_CYCLE_1) | instskip(NEXT) | instid1(VALU_DEP_1)
	s_lshl_b64 s[0:1], s[0:1], 2
	v_lshlrev_b64 v[2:3], 2, v[2:3]
	s_delay_alu instid0(VALU_DEP_3) | instskip(SKIP_2) | instid1(VALU_DEP_3)
	v_add_co_u32 v0, vcc_lo, s8, v0
	v_add_co_ci_u32_e32 v1, vcc_lo, s9, v1, vcc_lo
	s_add_u32 s0, s4, s0
	v_add_co_u32 v2, vcc_lo, s6, v2
	s_delay_alu instid0(VALU_DEP_4)
	v_add_co_ci_u32_e32 v3, vcc_lo, s7, v3, vcc_lo
	global_load_b64 v[14:15], v[0:1], off
	global_load_b32 v2, v[2:3], off
	v_lshlrev_b64 v[0:1], 2, v[12:13]
	s_addc_u32 s1, s5, s1
	v_cndmask_b32_e64 v13, 0, 1, s14
	s_ashr_i32 s17, s16, 31
	s_add_i32 s4, s3, s15
	s_delay_alu instid0(VALU_DEP_2)
	v_add_co_u32 v0, vcc_lo, s0, v0
	v_add_co_ci_u32_e32 v1, vcc_lo, s1, v1, vcc_lo
	s_lshl_b64 s[0:1], s[16:17], 2
	s_waitcnt vmcnt(1)
	v_lshrrev_b32_e32 v22, 16, v15
	v_lshrrev_b32_e32 v19, 16, v14
	s_waitcnt vmcnt(0)
	v_and_b32_e32 v20, 0xff, v2
	v_bfe_u32 v21, v2, 8, 8
	v_bfe_u32 v23, v2, 16, 8
	v_lshrrev_b32_e32 v24, 24, v2
	s_branch .LBB42_20
.LBB42_19:                              ;   in Loop: Header=BB42_20 Depth=1
	global_load_b128 v[2:5], v[0:1], off
	v_add_co_u32 v16, vcc_lo, v0, s0
	v_add_co_ci_u32_e32 v17, vcc_lo, s1, v1, vcc_lo
	v_add_nc_u32_e32 v29, v20, v13
	v_dual_mov_b32 v25, s2 :: v_dual_add_nc_u32 v28, v21, v13
	global_load_b128 v[6:9], v[16:17], off
	v_add_nc_u32_e32 v27, v23, v13
	v_add_nc_u32_e32 v26, v24, v13
	v_add_co_u32 v16, vcc_lo, v16, s0
	v_add_co_ci_u32_e32 v17, vcc_lo, s1, v17, vcc_lo
	s_add_i32 s15, s15, 32
	s_add_i32 s2, s2, 64
	s_cmp_ge_i32 s15, s20
	s_waitcnt vmcnt(1)
	v_and_b32_e32 v0, 0xff, v2
	s_delay_alu instid0(VALU_DEP_1) | instskip(NEXT) | instid1(VALU_DEP_1)
	v_sub_nc_u32_e32 v0, v0, v29
	v_cvt_f32_i32_e32 v0, v0
	s_delay_alu instid0(VALU_DEP_1) | instskip(SKIP_1) | instid1(VALU_DEP_1)
	v_cvt_f16_f32_e32 v58, v0
	v_bfe_u32 v0, v2, 8, 8
	v_sub_nc_u32_e32 v0, v0, v29
	s_delay_alu instid0(VALU_DEP_1) | instskip(NEXT) | instid1(VALU_DEP_1)
	v_cvt_f32_i32_e32 v0, v0
	v_cvt_f16_f32_e32 v59, v0
	v_bfe_u32 v0, v2, 16, 8
	s_delay_alu instid0(VALU_DEP_1) | instskip(NEXT) | instid1(VALU_DEP_1)
	v_sub_nc_u32_e32 v0, v0, v29
	v_cvt_f32_i32_e32 v0, v0
	s_delay_alu instid0(VALU_DEP_1) | instskip(SKIP_1) | instid1(VALU_DEP_1)
	v_cvt_f16_f32_e32 v60, v0
	v_lshrrev_b32_e32 v0, 24, v2
	v_sub_nc_u32_e32 v0, v0, v29
	s_delay_alu instid0(VALU_DEP_1) | instskip(NEXT) | instid1(VALU_DEP_1)
	v_cvt_f32_i32_e32 v0, v0
	v_cvt_f16_f32_e32 v61, v0
	s_waitcnt vmcnt(0)
	v_and_b32_e32 v0, 0xff, v6
	s_delay_alu instid0(VALU_DEP_1) | instskip(NEXT) | instid1(VALU_DEP_1)
	v_sub_nc_u32_e32 v0, v0, v29
	v_cvt_f32_i32_e32 v0, v0
	s_delay_alu instid0(VALU_DEP_1) | instskip(SKIP_1) | instid1(VALU_DEP_1)
	v_cvt_f16_f32_e32 v62, v0
	v_bfe_u32 v0, v6, 8, 8
	v_sub_nc_u32_e32 v0, v0, v29
	s_delay_alu instid0(VALU_DEP_1) | instskip(NEXT) | instid1(VALU_DEP_1)
	v_cvt_f32_i32_e32 v0, v0
	v_cvt_f16_f32_e32 v63, v0
	v_bfe_u32 v0, v6, 16, 8
	s_delay_alu instid0(VALU_DEP_1) | instskip(NEXT) | instid1(VALU_DEP_1)
	v_sub_nc_u32_e32 v0, v0, v29
	v_cvt_f32_i32_e32 v0, v0
	s_delay_alu instid0(VALU_DEP_1) | instskip(SKIP_1) | instid1(VALU_DEP_1)
	v_cvt_f16_f32_e32 v64, v0
	v_lshrrev_b32_e32 v0, 24, v6
	v_sub_nc_u32_e32 v0, v0, v29
	s_delay_alu instid0(VALU_DEP_1) | instskip(NEXT) | instid1(VALU_DEP_1)
	v_cvt_f32_i32_e32 v0, v0
	v_cvt_f16_f32_e32 v65, v0
	v_and_b32_e32 v0, 0xff, v3
	s_delay_alu instid0(VALU_DEP_1) | instskip(NEXT) | instid1(VALU_DEP_1)
	v_sub_nc_u32_e32 v0, v0, v28
	v_cvt_f32_i32_e32 v0, v0
	s_delay_alu instid0(VALU_DEP_1) | instskip(SKIP_1) | instid1(VALU_DEP_1)
	v_cvt_f16_f32_e32 v66, v0
	v_bfe_u32 v0, v3, 8, 8
	v_sub_nc_u32_e32 v0, v0, v28
	s_delay_alu instid0(VALU_DEP_1) | instskip(NEXT) | instid1(VALU_DEP_1)
	v_cvt_f32_i32_e32 v0, v0
	v_cvt_f16_f32_e32 v67, v0
	v_bfe_u32 v0, v3, 16, 8
	s_delay_alu instid0(VALU_DEP_1) | instskip(NEXT) | instid1(VALU_DEP_1)
	v_sub_nc_u32_e32 v0, v0, v28
	v_cvt_f32_i32_e32 v0, v0
	s_delay_alu instid0(VALU_DEP_1) | instskip(SKIP_1) | instid1(VALU_DEP_1)
	v_cvt_f16_f32_e32 v68, v0
	v_lshrrev_b32_e32 v0, 24, v3
	v_sub_nc_u32_e32 v0, v0, v28
	s_delay_alu instid0(VALU_DEP_1) | instskip(NEXT) | instid1(VALU_DEP_1)
	v_cvt_f32_i32_e32 v0, v0
	v_cvt_f16_f32_e32 v69, v0
	;; [unrolled: 22-line block ×7, first 2 shown]
	ds_load_b128 v[70:73], v25
	ds_load_b128 v[8:11], v25 offset:16
	ds_load_b128 v[4:7], v25 offset:32
	ds_load_b128 v[0:3], v25 offset:48
	ds_load_b128 v[77:80], v25 offset:512
	s_waitcnt lgkmcnt(4)
	v_fma_mix_f32 v74, v58, v70, 0 op_sel_hi:[1,1,0]
	s_delay_alu instid0(VALU_DEP_1) | instskip(NEXT) | instid1(VALU_DEP_1)
	v_fma_mix_f32 v74, v59, v70, v74 op_sel:[0,1,0] op_sel_hi:[1,1,0]
	v_fma_mix_f32 v74, v60, v71, v74 op_sel_hi:[1,1,0]
	s_delay_alu instid0(VALU_DEP_1) | instskip(NEXT) | instid1(VALU_DEP_1)
	v_fma_mix_f32 v74, v61, v71, v74 op_sel:[0,1,0] op_sel_hi:[1,1,0]
	;; [unrolled: 3-line block ×4, first 2 shown]
	v_fma_mixlo_f16 v74, v74, v14, 0 op_sel_hi:[0,1,0]
	s_delay_alu instid0(VALU_DEP_1) | instskip(SKIP_1) | instid1(VALU_DEP_1)
	v_add_f16_e32 v33, v33, v74
	v_fma_mix_f32 v74, v66, v70, 0 op_sel_hi:[1,1,0]
	v_fma_mix_f32 v74, v67, v70, v74 op_sel:[0,1,0] op_sel_hi:[1,1,0]
	s_delay_alu instid0(VALU_DEP_1) | instskip(NEXT) | instid1(VALU_DEP_1)
	v_fma_mix_f32 v74, v68, v71, v74 op_sel_hi:[1,1,0]
	v_fma_mix_f32 v74, v69, v71, v74 op_sel:[0,1,0] op_sel_hi:[1,1,0]
	s_delay_alu instid0(VALU_DEP_1) | instskip(NEXT) | instid1(VALU_DEP_1)
	;; [unrolled: 3-line block ×4, first 2 shown]
	v_fma_mixlo_f16 v74, v74, v19, 0 op_sel_hi:[0,1,0]
	v_add_f16_e32 v32, v32, v74
	v_fma_mix_f32 v74, v94, v70, 0 op_sel_hi:[1,1,0]
	s_delay_alu instid0(VALU_DEP_1) | instskip(NEXT) | instid1(VALU_DEP_1)
	v_fma_mix_f32 v74, v95, v70, v74 op_sel:[0,1,0] op_sel_hi:[1,1,0]
	v_fma_mix_f32 v74, v96, v71, v74 op_sel_hi:[1,1,0]
	s_delay_alu instid0(VALU_DEP_1) | instskip(NEXT) | instid1(VALU_DEP_1)
	v_fma_mix_f32 v74, v97, v71, v74 op_sel:[0,1,0] op_sel_hi:[1,1,0]
	;; [unrolled: 3-line block ×4, first 2 shown]
	v_fma_mixlo_f16 v74, v74, v15, 0 op_sel_hi:[0,1,0]
	s_delay_alu instid0(VALU_DEP_1) | instskip(SKIP_1) | instid1(VALU_DEP_1)
	v_add_f16_e32 v31, v31, v74
	v_fma_mix_f32 v74, v102, v70, 0 op_sel_hi:[1,1,0]
	v_fma_mix_f32 v70, v103, v70, v74 op_sel:[0,1,0] op_sel_hi:[1,1,0]
	s_delay_alu instid0(VALU_DEP_1) | instskip(NEXT) | instid1(VALU_DEP_1)
	v_fma_mix_f32 v70, v104, v71, v70 op_sel_hi:[1,1,0]
	v_fma_mix_f32 v70, v105, v71, v70 op_sel:[0,1,0] op_sel_hi:[1,1,0]
	s_delay_alu instid0(VALU_DEP_1) | instskip(NEXT) | instid1(VALU_DEP_1)
	v_fma_mix_f32 v70, v106, v72, v70 op_sel_hi:[1,1,0]
	v_fma_mix_f32 v70, v107, v72, v70 op_sel:[0,1,0] op_sel_hi:[1,1,0]
	s_delay_alu instid0(VALU_DEP_1) | instskip(NEXT) | instid1(VALU_DEP_1)
	v_fma_mix_f32 v70, v108, v73, v70 op_sel_hi:[1,1,0]
	v_fma_mix_f32 v70, v109, v73, v70 op_sel:[0,1,0] op_sel_hi:[1,1,0]
	ds_load_b128 v[73:76], v25 offset:256
	v_fma_mixlo_f16 v70, v70, v22, 0 op_sel_hi:[0,1,0]
	s_delay_alu instid0(VALU_DEP_1) | instskip(SKIP_2) | instid1(VALU_DEP_1)
	v_add_f16_e32 v30, v30, v70
	s_waitcnt lgkmcnt(0)
	v_fma_mix_f32 v70, v58, v73, 0 op_sel_hi:[1,1,0]
	v_fma_mix_f32 v70, v59, v73, v70 op_sel:[0,1,0] op_sel_hi:[1,1,0]
	s_delay_alu instid0(VALU_DEP_1) | instskip(NEXT) | instid1(VALU_DEP_1)
	v_fma_mix_f32 v70, v60, v74, v70 op_sel_hi:[1,1,0]
	v_fma_mix_f32 v70, v61, v74, v70 op_sel:[0,1,0] op_sel_hi:[1,1,0]
	s_delay_alu instid0(VALU_DEP_1) | instskip(NEXT) | instid1(VALU_DEP_1)
	v_fma_mix_f32 v70, v62, v75, v70 op_sel_hi:[1,1,0]
	v_fma_mix_f32 v70, v63, v75, v70 op_sel:[0,1,0] op_sel_hi:[1,1,0]
	s_delay_alu instid0(VALU_DEP_1) | instskip(NEXT) | instid1(VALU_DEP_1)
	v_fma_mix_f32 v70, v64, v76, v70 op_sel_hi:[1,1,0]
	v_fma_mix_f32 v70, v65, v76, v70 op_sel:[0,1,0] op_sel_hi:[1,1,0]
	s_delay_alu instid0(VALU_DEP_1) | instskip(NEXT) | instid1(VALU_DEP_1)
	v_fma_mixlo_f16 v70, v70, v14, 0 op_sel_hi:[0,1,0]
	v_add_f16_e32 v70, v39, v70
	v_fma_mix_f32 v39, v66, v73, 0 op_sel_hi:[1,1,0]
	s_delay_alu instid0(VALU_DEP_1) | instskip(NEXT) | instid1(VALU_DEP_1)
	v_fma_mix_f32 v39, v67, v73, v39 op_sel:[0,1,0] op_sel_hi:[1,1,0]
	v_fma_mix_f32 v39, v68, v74, v39 op_sel_hi:[1,1,0]
	s_delay_alu instid0(VALU_DEP_1) | instskip(NEXT) | instid1(VALU_DEP_1)
	v_fma_mix_f32 v39, v69, v74, v39 op_sel:[0,1,0] op_sel_hi:[1,1,0]
	v_fma_mix_f32 v39, v90, v75, v39 op_sel_hi:[1,1,0]
	s_delay_alu instid0(VALU_DEP_1) | instskip(NEXT) | instid1(VALU_DEP_1)
	v_fma_mix_f32 v39, v91, v75, v39 op_sel:[0,1,0] op_sel_hi:[1,1,0]
	v_fma_mix_f32 v39, v92, v76, v39 op_sel_hi:[1,1,0]
	s_delay_alu instid0(VALU_DEP_1) | instskip(NEXT) | instid1(VALU_DEP_1)
	v_fma_mix_f32 v39, v93, v76, v39 op_sel:[0,1,0] op_sel_hi:[1,1,0]
	v_fma_mixlo_f16 v39, v39, v19, 0 op_sel_hi:[0,1,0]
	s_delay_alu instid0(VALU_DEP_1) | instskip(SKIP_1) | instid1(VALU_DEP_1)
	v_add_f16_e32 v71, v38, v39
	v_fma_mix_f32 v38, v94, v73, 0 op_sel_hi:[1,1,0]
	v_fma_mix_f32 v38, v95, v73, v38 op_sel:[0,1,0] op_sel_hi:[1,1,0]
	s_delay_alu instid0(VALU_DEP_1) | instskip(NEXT) | instid1(VALU_DEP_1)
	v_fma_mix_f32 v38, v96, v74, v38 op_sel_hi:[1,1,0]
	v_fma_mix_f32 v38, v97, v74, v38 op_sel:[0,1,0] op_sel_hi:[1,1,0]
	s_delay_alu instid0(VALU_DEP_1) | instskip(NEXT) | instid1(VALU_DEP_1)
	v_fma_mix_f32 v38, v98, v75, v38 op_sel_hi:[1,1,0]
	v_fma_mix_f32 v38, v99, v75, v38 op_sel:[0,1,0] op_sel_hi:[1,1,0]
	s_delay_alu instid0(VALU_DEP_1) | instskip(NEXT) | instid1(VALU_DEP_1)
	v_fma_mix_f32 v38, v100, v76, v38 op_sel_hi:[1,1,0]
	v_fma_mix_f32 v38, v101, v76, v38 op_sel:[0,1,0] op_sel_hi:[1,1,0]
	s_delay_alu instid0(VALU_DEP_1) | instskip(NEXT) | instid1(VALU_DEP_1)
	v_fma_mixlo_f16 v38, v38, v15, 0 op_sel_hi:[0,1,0]
	v_add_f16_e32 v72, v35, v38
	v_fma_mix_f32 v35, v102, v73, 0 op_sel_hi:[1,1,0]
	s_delay_alu instid0(VALU_DEP_1) | instskip(NEXT) | instid1(VALU_DEP_1)
	v_fma_mix_f32 v35, v103, v73, v35 op_sel:[0,1,0] op_sel_hi:[1,1,0]
	v_fma_mix_f32 v35, v104, v74, v35 op_sel_hi:[1,1,0]
	s_delay_alu instid0(VALU_DEP_1) | instskip(NEXT) | instid1(VALU_DEP_1)
	v_fma_mix_f32 v35, v105, v74, v35 op_sel:[0,1,0] op_sel_hi:[1,1,0]
	v_fma_mix_f32 v35, v106, v75, v35 op_sel_hi:[1,1,0]
	s_delay_alu instid0(VALU_DEP_1) | instskip(NEXT) | instid1(VALU_DEP_1)
	v_fma_mix_f32 v35, v107, v75, v35 op_sel:[0,1,0] op_sel_hi:[1,1,0]
	v_fma_mix_f32 v35, v108, v76, v35 op_sel_hi:[1,1,0]
	s_delay_alu instid0(VALU_DEP_1) | instskip(NEXT) | instid1(VALU_DEP_1)
	v_fma_mix_f32 v35, v109, v76, v35 op_sel:[0,1,0] op_sel_hi:[1,1,0]
	v_fma_mixlo_f16 v35, v35, v22, 0 op_sel_hi:[0,1,0]
	s_delay_alu instid0(VALU_DEP_1) | instskip(SKIP_1) | instid1(VALU_DEP_1)
	v_add_f16_e32 v73, v34, v35
	;; [unrolled: 29-line block ×3, first 2 shown]
	v_fma_mix_f32 v34, v94, v77, 0 op_sel_hi:[1,1,0]
	v_fma_mix_f32 v34, v95, v77, v34 op_sel:[0,1,0] op_sel_hi:[1,1,0]
	s_delay_alu instid0(VALU_DEP_1) | instskip(NEXT) | instid1(VALU_DEP_1)
	v_fma_mix_f32 v34, v96, v78, v34 op_sel_hi:[1,1,0]
	v_fma_mix_f32 v34, v97, v78, v34 op_sel:[0,1,0] op_sel_hi:[1,1,0]
	s_delay_alu instid0(VALU_DEP_1) | instskip(NEXT) | instid1(VALU_DEP_1)
	v_fma_mix_f32 v34, v98, v79, v34 op_sel_hi:[1,1,0]
	v_fma_mix_f32 v34, v99, v79, v34 op_sel:[0,1,0] op_sel_hi:[1,1,0]
	s_delay_alu instid0(VALU_DEP_1) | instskip(NEXT) | instid1(VALU_DEP_1)
	v_fma_mix_f32 v34, v100, v80, v34 op_sel_hi:[1,1,0]
	v_fma_mix_f32 v34, v101, v80, v34 op_sel:[0,1,0] op_sel_hi:[1,1,0]
	s_delay_alu instid0(VALU_DEP_1) | instskip(NEXT) | instid1(VALU_DEP_1)
	v_fma_mixlo_f16 v34, v34, v15, 0 op_sel_hi:[0,1,0]
	v_add_f16_e32 v76, v37, v34
	v_fma_mix_f32 v34, v102, v77, 0 op_sel_hi:[1,1,0]
	s_delay_alu instid0(VALU_DEP_1) | instskip(NEXT) | instid1(VALU_DEP_1)
	v_fma_mix_f32 v34, v103, v77, v34 op_sel:[0,1,0] op_sel_hi:[1,1,0]
	v_fma_mix_f32 v34, v104, v78, v34 op_sel_hi:[1,1,0]
	s_delay_alu instid0(VALU_DEP_1) | instskip(NEXT) | instid1(VALU_DEP_1)
	v_fma_mix_f32 v34, v105, v78, v34 op_sel:[0,1,0] op_sel_hi:[1,1,0]
	v_fma_mix_f32 v34, v106, v79, v34 op_sel_hi:[1,1,0]
	s_delay_alu instid0(VALU_DEP_1) | instskip(NEXT) | instid1(VALU_DEP_1)
	v_fma_mix_f32 v34, v107, v79, v34 op_sel:[0,1,0] op_sel_hi:[1,1,0]
	v_fma_mix_f32 v34, v108, v80, v34 op_sel_hi:[1,1,0]
	s_delay_alu instid0(VALU_DEP_1) | instskip(NEXT) | instid1(VALU_DEP_1)
	v_fma_mix_f32 v34, v109, v80, v34 op_sel:[0,1,0] op_sel_hi:[1,1,0]
	v_fma_mixlo_f16 v34, v34, v22, 0 op_sel_hi:[0,1,0]
	s_delay_alu instid0(VALU_DEP_1) | instskip(SKIP_3) | instid1(VALU_DEP_1)
	v_add_f16_e32 v77, v36, v34
	ds_load_b128 v[34:37], v25 offset:768
	s_waitcnt lgkmcnt(0)
	v_fma_mix_f32 v38, v58, v34, 0 op_sel_hi:[1,1,0]
	v_fma_mix_f32 v38, v59, v34, v38 op_sel:[0,1,0] op_sel_hi:[1,1,0]
	s_delay_alu instid0(VALU_DEP_1) | instskip(NEXT) | instid1(VALU_DEP_1)
	v_fma_mix_f32 v38, v60, v35, v38 op_sel_hi:[1,1,0]
	v_fma_mix_f32 v38, v61, v35, v38 op_sel:[0,1,0] op_sel_hi:[1,1,0]
	s_delay_alu instid0(VALU_DEP_1) | instskip(NEXT) | instid1(VALU_DEP_1)
	v_fma_mix_f32 v38, v62, v36, v38 op_sel_hi:[1,1,0]
	v_fma_mix_f32 v38, v63, v36, v38 op_sel:[0,1,0] op_sel_hi:[1,1,0]
	s_delay_alu instid0(VALU_DEP_1) | instskip(NEXT) | instid1(VALU_DEP_1)
	v_fma_mix_f32 v38, v64, v37, v38 op_sel_hi:[1,1,0]
	v_fma_mix_f32 v38, v65, v37, v38 op_sel:[0,1,0] op_sel_hi:[1,1,0]
	s_delay_alu instid0(VALU_DEP_1) | instskip(NEXT) | instid1(VALU_DEP_1)
	v_fma_mixlo_f16 v38, v38, v14, 0 op_sel_hi:[0,1,0]
	v_add_f16_e32 v78, v47, v38
	v_fma_mix_f32 v38, v66, v34, 0 op_sel_hi:[1,1,0]
	s_delay_alu instid0(VALU_DEP_1) | instskip(NEXT) | instid1(VALU_DEP_1)
	v_fma_mix_f32 v38, v67, v34, v38 op_sel:[0,1,0] op_sel_hi:[1,1,0]
	v_fma_mix_f32 v38, v68, v35, v38 op_sel_hi:[1,1,0]
	s_delay_alu instid0(VALU_DEP_1) | instskip(NEXT) | instid1(VALU_DEP_1)
	v_fma_mix_f32 v38, v69, v35, v38 op_sel:[0,1,0] op_sel_hi:[1,1,0]
	v_fma_mix_f32 v38, v90, v36, v38 op_sel_hi:[1,1,0]
	s_delay_alu instid0(VALU_DEP_1) | instskip(NEXT) | instid1(VALU_DEP_1)
	v_fma_mix_f32 v38, v91, v36, v38 op_sel:[0,1,0] op_sel_hi:[1,1,0]
	v_fma_mix_f32 v38, v92, v37, v38 op_sel_hi:[1,1,0]
	s_delay_alu instid0(VALU_DEP_1) | instskip(NEXT) | instid1(VALU_DEP_1)
	v_fma_mix_f32 v38, v93, v37, v38 op_sel:[0,1,0] op_sel_hi:[1,1,0]
	v_fma_mixlo_f16 v38, v38, v19, 0 op_sel_hi:[0,1,0]
	s_delay_alu instid0(VALU_DEP_1) | instskip(SKIP_1) | instid1(VALU_DEP_1)
	v_add_f16_e32 v79, v46, v38
	v_fma_mix_f32 v38, v94, v34, 0 op_sel_hi:[1,1,0]
	v_fma_mix_f32 v38, v95, v34, v38 op_sel:[0,1,0] op_sel_hi:[1,1,0]
	s_delay_alu instid0(VALU_DEP_1) | instskip(NEXT) | instid1(VALU_DEP_1)
	v_fma_mix_f32 v38, v96, v35, v38 op_sel_hi:[1,1,0]
	v_fma_mix_f32 v38, v97, v35, v38 op_sel:[0,1,0] op_sel_hi:[1,1,0]
	s_delay_alu instid0(VALU_DEP_1) | instskip(NEXT) | instid1(VALU_DEP_1)
	v_fma_mix_f32 v38, v98, v36, v38 op_sel_hi:[1,1,0]
	v_fma_mix_f32 v38, v99, v36, v38 op_sel:[0,1,0] op_sel_hi:[1,1,0]
	s_delay_alu instid0(VALU_DEP_1) | instskip(NEXT) | instid1(VALU_DEP_1)
	v_fma_mix_f32 v38, v100, v37, v38 op_sel_hi:[1,1,0]
	v_fma_mix_f32 v38, v101, v37, v38 op_sel:[0,1,0] op_sel_hi:[1,1,0]
	s_delay_alu instid0(VALU_DEP_1) | instskip(NEXT) | instid1(VALU_DEP_1)
	v_fma_mixlo_f16 v38, v38, v15, 0 op_sel_hi:[0,1,0]
	v_add_f16_e32 v80, v41, v38
	v_fma_mix_f32 v38, v102, v34, 0 op_sel_hi:[1,1,0]
	s_delay_alu instid0(VALU_DEP_1) | instskip(NEXT) | instid1(VALU_DEP_1)
	v_fma_mix_f32 v34, v103, v34, v38 op_sel:[0,1,0] op_sel_hi:[1,1,0]
	v_fma_mix_f32 v34, v104, v35, v34 op_sel_hi:[1,1,0]
	s_delay_alu instid0(VALU_DEP_1) | instskip(NEXT) | instid1(VALU_DEP_1)
	v_fma_mix_f32 v34, v105, v35, v34 op_sel:[0,1,0] op_sel_hi:[1,1,0]
	v_fma_mix_f32 v34, v106, v36, v34 op_sel_hi:[1,1,0]
	s_delay_alu instid0(VALU_DEP_1) | instskip(NEXT) | instid1(VALU_DEP_1)
	v_fma_mix_f32 v34, v107, v36, v34 op_sel:[0,1,0] op_sel_hi:[1,1,0]
	v_fma_mix_f32 v34, v108, v37, v34 op_sel_hi:[1,1,0]
	s_delay_alu instid0(VALU_DEP_1) | instskip(NEXT) | instid1(VALU_DEP_1)
	v_fma_mix_f32 v34, v109, v37, v34 op_sel:[0,1,0] op_sel_hi:[1,1,0]
	v_fma_mixlo_f16 v34, v34, v22, 0 op_sel_hi:[0,1,0]
	s_delay_alu instid0(VALU_DEP_1) | instskip(SKIP_3) | instid1(VALU_DEP_1)
	v_add_f16_e32 v81, v40, v34
	ds_load_b128 v[34:37], v25 offset:1024
	s_waitcnt lgkmcnt(0)
	v_fma_mix_f32 v38, v58, v34, 0 op_sel_hi:[1,1,0]
	v_fma_mix_f32 v38, v59, v34, v38 op_sel:[0,1,0] op_sel_hi:[1,1,0]
	s_delay_alu instid0(VALU_DEP_1) | instskip(NEXT) | instid1(VALU_DEP_1)
	v_fma_mix_f32 v38, v60, v35, v38 op_sel_hi:[1,1,0]
	v_fma_mix_f32 v38, v61, v35, v38 op_sel:[0,1,0] op_sel_hi:[1,1,0]
	s_delay_alu instid0(VALU_DEP_1) | instskip(NEXT) | instid1(VALU_DEP_1)
	v_fma_mix_f32 v38, v62, v36, v38 op_sel_hi:[1,1,0]
	v_fma_mix_f32 v38, v63, v36, v38 op_sel:[0,1,0] op_sel_hi:[1,1,0]
	s_delay_alu instid0(VALU_DEP_1) | instskip(NEXT) | instid1(VALU_DEP_1)
	v_fma_mix_f32 v38, v64, v37, v38 op_sel_hi:[1,1,0]
	v_fma_mix_f32 v38, v65, v37, v38 op_sel:[0,1,0] op_sel_hi:[1,1,0]
	s_delay_alu instid0(VALU_DEP_1) | instskip(NEXT) | instid1(VALU_DEP_1)
	v_fma_mixlo_f16 v38, v38, v14, 0 op_sel_hi:[0,1,0]
	v_add_f16_e32 v82, v51, v38
	v_fma_mix_f32 v38, v66, v34, 0 op_sel_hi:[1,1,0]
	s_delay_alu instid0(VALU_DEP_1) | instskip(NEXT) | instid1(VALU_DEP_1)
	v_fma_mix_f32 v38, v67, v34, v38 op_sel:[0,1,0] op_sel_hi:[1,1,0]
	v_fma_mix_f32 v38, v68, v35, v38 op_sel_hi:[1,1,0]
	s_delay_alu instid0(VALU_DEP_1) | instskip(NEXT) | instid1(VALU_DEP_1)
	v_fma_mix_f32 v38, v69, v35, v38 op_sel:[0,1,0] op_sel_hi:[1,1,0]
	v_fma_mix_f32 v38, v90, v36, v38 op_sel_hi:[1,1,0]
	s_delay_alu instid0(VALU_DEP_1) | instskip(NEXT) | instid1(VALU_DEP_1)
	v_fma_mix_f32 v38, v91, v36, v38 op_sel:[0,1,0] op_sel_hi:[1,1,0]
	v_fma_mix_f32 v38, v92, v37, v38 op_sel_hi:[1,1,0]
	s_delay_alu instid0(VALU_DEP_1) | instskip(NEXT) | instid1(VALU_DEP_1)
	v_fma_mix_f32 v38, v93, v37, v38 op_sel:[0,1,0] op_sel_hi:[1,1,0]
	v_fma_mixlo_f16 v38, v38, v19, 0 op_sel_hi:[0,1,0]
	s_delay_alu instid0(VALU_DEP_1) | instskip(SKIP_1) | instid1(VALU_DEP_1)
	v_add_f16_e32 v83, v50, v38
	;; [unrolled: 60-line block ×3, first 2 shown]
	v_fma_mix_f32 v38, v94, v34, 0 op_sel_hi:[1,1,0]
	v_fma_mix_f32 v38, v95, v34, v38 op_sel:[0,1,0] op_sel_hi:[1,1,0]
	s_delay_alu instid0(VALU_DEP_1) | instskip(NEXT) | instid1(VALU_DEP_1)
	v_fma_mix_f32 v38, v96, v35, v38 op_sel_hi:[1,1,0]
	v_fma_mix_f32 v38, v97, v35, v38 op_sel:[0,1,0] op_sel_hi:[1,1,0]
	s_delay_alu instid0(VALU_DEP_1) | instskip(NEXT) | instid1(VALU_DEP_1)
	v_fma_mix_f32 v38, v98, v36, v38 op_sel_hi:[1,1,0]
	v_fma_mix_f32 v38, v99, v36, v38 op_sel:[0,1,0] op_sel_hi:[1,1,0]
	s_delay_alu instid0(VALU_DEP_1) | instskip(NEXT) | instid1(VALU_DEP_1)
	v_fma_mix_f32 v38, v100, v37, v38 op_sel_hi:[1,1,0]
	v_fma_mix_f32 v38, v101, v37, v38 op_sel:[0,1,0] op_sel_hi:[1,1,0]
	s_delay_alu instid0(VALU_DEP_1) | instskip(NEXT) | instid1(VALU_DEP_1)
	v_fma_mixlo_f16 v38, v38, v15, 0 op_sel_hi:[0,1,0]
	v_add_f16_e32 v88, v49, v38
	v_fma_mix_f32 v38, v102, v34, 0 op_sel_hi:[1,1,0]
	s_delay_alu instid0(VALU_DEP_1) | instskip(SKIP_2) | instid1(VALU_DEP_1)
	v_fma_mix_f32 v34, v103, v34, v38 op_sel:[0,1,0] op_sel_hi:[1,1,0]
	ds_load_b128 v[38:41], v25 offset:1536
	v_fma_mix_f32 v34, v104, v35, v34 op_sel_hi:[1,1,0]
	v_fma_mix_f32 v34, v105, v35, v34 op_sel:[0,1,0] op_sel_hi:[1,1,0]
	s_delay_alu instid0(VALU_DEP_1) | instskip(NEXT) | instid1(VALU_DEP_1)
	v_fma_mix_f32 v34, v106, v36, v34 op_sel_hi:[1,1,0]
	v_fma_mix_f32 v34, v107, v36, v34 op_sel:[0,1,0] op_sel_hi:[1,1,0]
	s_delay_alu instid0(VALU_DEP_1) | instskip(NEXT) | instid1(VALU_DEP_1)
	;; [unrolled: 3-line block ×3, first 2 shown]
	v_fma_mixlo_f16 v34, v34, v22, 0 op_sel_hi:[0,1,0]
	v_add_f16_e32 v89, v48, v34
	s_waitcnt lgkmcnt(0)
	v_fma_mix_f32 v34, v58, v38, 0 op_sel_hi:[1,1,0]
	s_delay_alu instid0(VALU_DEP_1) | instskip(NEXT) | instid1(VALU_DEP_1)
	v_fma_mix_f32 v34, v59, v38, v34 op_sel:[0,1,0] op_sel_hi:[1,1,0]
	v_fma_mix_f32 v34, v60, v39, v34 op_sel_hi:[1,1,0]
	s_delay_alu instid0(VALU_DEP_1) | instskip(NEXT) | instid1(VALU_DEP_1)
	v_fma_mix_f32 v34, v61, v39, v34 op_sel:[0,1,0] op_sel_hi:[1,1,0]
	v_fma_mix_f32 v34, v62, v40, v34 op_sel_hi:[1,1,0]
	s_delay_alu instid0(VALU_DEP_1) | instskip(SKIP_4) | instid1(VALU_DEP_1)
	v_fma_mix_f32 v34, v63, v40, v34 op_sel:[0,1,0] op_sel_hi:[1,1,0]
	global_load_b128 v[60:63], v[16:17], off
	v_add_co_u32 v16, vcc_lo, v16, s0
	v_add_co_ci_u32_e32 v17, vcc_lo, s1, v17, vcc_lo
	v_fma_mix_f32 v34, v64, v41, v34 op_sel_hi:[1,1,0]
	v_fma_mix_f32 v34, v65, v41, v34 op_sel:[0,1,0] op_sel_hi:[1,1,0]
	s_delay_alu instid0(VALU_DEP_1) | instskip(NEXT) | instid1(VALU_DEP_1)
	v_fma_mixlo_f16 v34, v34, v14, 0 op_sel_hi:[0,1,0]
	v_add_f16_e32 v37, v55, v34
	v_fma_mix_f32 v34, v66, v38, 0 op_sel_hi:[1,1,0]
	s_delay_alu instid0(VALU_DEP_1) | instskip(SKIP_2) | instid1(VALU_DEP_1)
	v_fma_mix_f32 v34, v67, v38, v34 op_sel:[0,1,0] op_sel_hi:[1,1,0]
	global_load_b128 v[64:67], v[16:17], off
	v_fma_mix_f32 v34, v68, v39, v34 op_sel_hi:[1,1,0]
	v_fma_mix_f32 v34, v69, v39, v34 op_sel:[0,1,0] op_sel_hi:[1,1,0]
	s_delay_alu instid0(VALU_DEP_1) | instskip(NEXT) | instid1(VALU_DEP_1)
	v_fma_mix_f32 v34, v90, v40, v34 op_sel_hi:[1,1,0]
	v_fma_mix_f32 v34, v91, v40, v34 op_sel:[0,1,0] op_sel_hi:[1,1,0]
	s_delay_alu instid0(VALU_DEP_1) | instskip(NEXT) | instid1(VALU_DEP_1)
	;; [unrolled: 3-line block ×3, first 2 shown]
	v_fma_mixlo_f16 v34, v34, v19, 0 op_sel_hi:[0,1,0]
	v_add_f16_e32 v36, v56, v34
	v_fma_mix_f32 v34, v94, v38, 0 op_sel_hi:[1,1,0]
	s_delay_alu instid0(VALU_DEP_1) | instskip(NEXT) | instid1(VALU_DEP_1)
	v_fma_mix_f32 v34, v95, v38, v34 op_sel:[0,1,0] op_sel_hi:[1,1,0]
	v_fma_mix_f32 v34, v96, v39, v34 op_sel_hi:[1,1,0]
	s_delay_alu instid0(VALU_DEP_1) | instskip(NEXT) | instid1(VALU_DEP_1)
	v_fma_mix_f32 v34, v97, v39, v34 op_sel:[0,1,0] op_sel_hi:[1,1,0]
	;; [unrolled: 3-line block ×4, first 2 shown]
	v_fma_mixlo_f16 v34, v34, v15, 0 op_sel_hi:[0,1,0]
	s_delay_alu instid0(VALU_DEP_1) | instskip(SKIP_1) | instid1(VALU_DEP_1)
	v_add_f16_e32 v35, v54, v34
	v_fma_mix_f32 v34, v102, v38, 0 op_sel_hi:[1,1,0]
	v_fma_mix_f32 v34, v103, v38, v34 op_sel:[0,1,0] op_sel_hi:[1,1,0]
	s_delay_alu instid0(VALU_DEP_1) | instskip(NEXT) | instid1(VALU_DEP_1)
	v_fma_mix_f32 v34, v104, v39, v34 op_sel_hi:[1,1,0]
	v_fma_mix_f32 v34, v105, v39, v34 op_sel:[0,1,0] op_sel_hi:[1,1,0]
	s_delay_alu instid0(VALU_DEP_1) | instskip(NEXT) | instid1(VALU_DEP_1)
	;; [unrolled: 3-line block ×4, first 2 shown]
	v_fma_mixlo_f16 v34, v34, v22, 0 op_sel_hi:[0,1,0]
	v_add_f16_e32 v34, v57, v34
	s_waitcnt vmcnt(1)
	v_and_b32_e32 v38, 0xff, v60
	v_bfe_u32 v39, v60, 8, 8
	v_bfe_u32 v40, v60, 16, 8
	v_lshrrev_b32_e32 v41, 24, v60
	v_bfe_u32 v45, v61, 8, 8
	v_sub_nc_u32_e32 v38, v38, v29
	v_sub_nc_u32_e32 v39, v39, v29
	v_sub_nc_u32_e32 v40, v40, v29
	v_sub_nc_u32_e32 v41, v41, v29
	v_sub_nc_u32_e32 v45, v45, v28
	v_cvt_f32_i32_e32 v38, v38
	v_cvt_f32_i32_e32 v39, v39
	;; [unrolled: 1-line block ×4, first 2 shown]
	v_bfe_u32 v47, v61, 16, 8
	v_cvt_f16_f32_e32 v38, v38
	v_cvt_f16_f32_e32 v39, v39
	;; [unrolled: 1-line block ×4, first 2 shown]
	v_cvt_f32_i32_e32 v45, v45
	v_fma_mix_f32 v90, v38, v8, 0 op_sel_hi:[1,1,0]
	v_sub_nc_u32_e32 v47, v47, v28
	v_lshrrev_b32_e32 v49, 24, v61
	v_bfe_u32 v53, v62, 8, 8
	v_cvt_f16_f32_e32 v45, v45
	v_fma_mix_f32 v90, v39, v8, v90 op_sel:[0,1,0] op_sel_hi:[1,1,0]
	v_cvt_f32_i32_e32 v47, v47
	s_waitcnt vmcnt(0)
	v_bfe_u32 v43, v64, 8, 8
	v_and_b32_e32 v42, 0xff, v64
	v_bfe_u32 v51, v65, 8, 8
	v_fma_mix_f32 v90, v40, v9, v90 op_sel_hi:[1,1,0]
	v_sub_nc_u32_e32 v49, v49, v28
	v_sub_nc_u32_e32 v43, v43, v29
	;; [unrolled: 1-line block ×4, first 2 shown]
	v_fma_mix_f32 v90, v41, v9, v90 op_sel:[0,1,0] op_sel_hi:[1,1,0]
	v_and_b32_e32 v50, 0xff, v65
	v_cvt_f32_i32_e32 v43, v43
	v_cvt_f32_i32_e32 v42, v42
	;; [unrolled: 1-line block ×3, first 2 shown]
	v_cvt_f16_f32_e32 v47, v47
	v_cvt_f32_i32_e32 v49, v49
	v_cvt_f16_f32_e32 v44, v43
	v_bfe_u32 v43, v64, 16, 8
	v_cvt_f16_f32_e32 v42, v42
	v_cvt_f16_f32_e32 v52, v51
	v_bfe_u32 v51, v65, 16, 8
	v_sub_nc_u32_e32 v50, v50, v28
	v_sub_nc_u32_e32 v43, v43, v29
	v_fma_mix_f32 v90, v42, v10, v90 op_sel_hi:[1,1,0]
	v_cvt_f16_f32_e32 v49, v49
	v_sub_nc_u32_e32 v51, v51, v28
	v_cvt_f32_i32_e32 v50, v50
	v_cvt_f32_i32_e32 v43, v43
	v_fma_mix_f32 v90, v44, v10, v90 op_sel:[0,1,0] op_sel_hi:[1,1,0]
	v_bfe_u32 v59, v66, 8, 8
	v_cvt_f32_i32_e32 v51, v51
	v_cvt_f16_f32_e32 v50, v50
	v_cvt_f16_f32_e32 v46, v43
	v_lshrrev_b32_e32 v43, 24, v64
	v_sub_nc_u32_e32 v59, v59, v27
	v_cvt_f16_f32_e32 v54, v51
	v_lshrrev_b32_e32 v51, 24, v65
	v_fma_mix_f32 v90, v46, v11, v90 op_sel_hi:[1,1,0]
	v_sub_nc_u32_e32 v43, v43, v29
	v_sub_nc_u32_e32 v53, v53, v27
	v_bfe_u32 v55, v62, 16, 8
	v_sub_nc_u32_e32 v51, v51, v28
	v_cvt_f32_i32_e32 v59, v59
	v_cvt_f32_i32_e32 v43, v43
	;; [unrolled: 1-line block ×3, first 2 shown]
	v_sub_nc_u32_e32 v55, v55, v27
	v_cvt_f32_i32_e32 v51, v51
	v_lshrrev_b32_e32 v57, 24, v62
	v_cvt_f16_f32_e32 v48, v43
	v_and_b32_e32 v43, 0xff, v61
	v_cvt_f16_f32_e32 v60, v59
	v_cvt_f16_f32_e32 v56, v51
	v_and_b32_e32 v51, 0xff, v62
	v_fma_mix_f32 v90, v48, v11, v90 op_sel:[0,1,0] op_sel_hi:[1,1,0]
	v_sub_nc_u32_e32 v43, v43, v28
	v_bfe_u32 v59, v66, 16, 8
	v_cvt_f16_f32_e32 v53, v53
	v_sub_nc_u32_e32 v51, v51, v27
	v_fma_mixlo_f16 v90, v90, v14, 0 op_sel_hi:[0,1,0]
	v_cvt_f32_i32_e32 v43, v43
	v_cvt_f32_i32_e32 v55, v55
	v_sub_nc_u32_e32 v57, v57, v27
	v_cvt_f32_i32_e32 v51, v51
	v_add_f16_e32 v33, v33, v90
	v_cvt_f16_f32_e32 v43, v43
	v_and_b32_e32 v58, 0xff, v66
	v_sub_nc_u32_e32 v59, v59, v27
	v_cvt_f16_f32_e32 v51, v51
	v_cvt_f16_f32_e32 v55, v55
	v_fma_mix_f32 v90, v43, v8, 0 op_sel_hi:[1,1,0]
	v_cvt_f32_i32_e32 v57, v57
	v_sub_nc_u32_e32 v58, v58, v27
	v_cvt_f32_i32_e32 v59, v59
	v_bfe_u32 v61, v63, 8, 8
	v_fma_mix_f32 v90, v45, v8, v90 op_sel:[0,1,0] op_sel_hi:[1,1,0]
	v_cvt_f16_f32_e32 v57, v57
	v_cvt_f32_i32_e32 v58, v58
	v_cvt_f16_f32_e32 v68, v59
	v_lshrrev_b32_e32 v59, 24, v66
	v_fma_mix_f32 v90, v47, v9, v90 op_sel_hi:[1,1,0]
	v_sub_nc_u32_e32 v61, v61, v26
	v_cvt_f16_f32_e32 v58, v58
	v_bfe_u32 v62, v63, 16, 8
	v_sub_nc_u32_e32 v59, v59, v27
	v_fma_mix_f32 v90, v49, v9, v90 op_sel:[0,1,0] op_sel_hi:[1,1,0]
	v_cvt_f32_i32_e32 v61, v61
	v_and_b32_e32 v64, 0xff, v67
	v_sub_nc_u32_e32 v62, v62, v26
	v_cvt_f32_i32_e32 v59, v59
	v_fma_mix_f32 v90, v50, v10, v90 op_sel_hi:[1,1,0]
	v_cvt_f16_f32_e32 v61, v61
	v_sub_nc_u32_e32 v64, v64, v26
	v_cvt_f32_i32_e32 v62, v62
	v_cvt_f16_f32_e32 v69, v59
	v_fma_mix_f32 v90, v52, v10, v90 op_sel:[0,1,0] op_sel_hi:[1,1,0]
	v_and_b32_e32 v59, 0xff, v63
	v_lshrrev_b32_e32 v63, 24, v63
	v_cvt_f16_f32_e32 v62, v62
	v_bfe_u32 v65, v67, 8, 8
	v_fma_mix_f32 v90, v54, v11, v90 op_sel_hi:[1,1,0]
	v_sub_nc_u32_e32 v59, v59, v26
	v_sub_nc_u32_e32 v63, v63, v26
	v_cvt_f32_i32_e32 v64, v64
	v_sub_nc_u32_e32 v65, v65, v26
	v_fma_mix_f32 v90, v56, v11, v90 op_sel:[0,1,0] op_sel_hi:[1,1,0]
	v_cvt_f32_i32_e32 v59, v59
	v_cvt_f32_i32_e32 v63, v63
	v_bfe_u32 v66, v67, 16, 8
	v_cvt_f16_f32_e32 v64, v64
	v_fma_mixlo_f16 v90, v90, v19, 0 op_sel_hi:[0,1,0]
	v_cvt_f16_f32_e32 v59, v59
	v_cvt_f16_f32_e32 v63, v63
	v_cvt_f32_i32_e32 v65, v65
	v_sub_nc_u32_e32 v66, v66, v26
	v_add_f16_e32 v32, v32, v90
	v_fma_mix_f32 v90, v51, v8, 0 op_sel_hi:[1,1,0]
	v_lshrrev_b32_e32 v67, 24, v67
	v_cvt_f16_f32_e32 v65, v65
	v_cvt_f32_i32_e32 v66, v66
	s_delay_alu instid0(VALU_DEP_4) | instskip(NEXT) | instid1(VALU_DEP_4)
	v_fma_mix_f32 v90, v53, v8, v90 op_sel:[0,1,0] op_sel_hi:[1,1,0]
	v_sub_nc_u32_e32 v67, v67, v26
	s_delay_alu instid0(VALU_DEP_3) | instskip(NEXT) | instid1(VALU_DEP_3)
	v_cvt_f16_f32_e32 v66, v66
	v_fma_mix_f32 v90, v55, v9, v90 op_sel_hi:[1,1,0]
	s_delay_alu instid0(VALU_DEP_3) | instskip(NEXT) | instid1(VALU_DEP_2)
	v_cvt_f32_i32_e32 v67, v67
	v_fma_mix_f32 v90, v57, v9, v90 op_sel:[0,1,0] op_sel_hi:[1,1,0]
	s_delay_alu instid0(VALU_DEP_2) | instskip(NEXT) | instid1(VALU_DEP_2)
	v_cvt_f16_f32_e32 v67, v67
	v_fma_mix_f32 v90, v58, v10, v90 op_sel_hi:[1,1,0]
	s_delay_alu instid0(VALU_DEP_1) | instskip(NEXT) | instid1(VALU_DEP_1)
	v_fma_mix_f32 v90, v60, v10, v90 op_sel:[0,1,0] op_sel_hi:[1,1,0]
	v_fma_mix_f32 v90, v68, v11, v90 op_sel_hi:[1,1,0]
	s_delay_alu instid0(VALU_DEP_1) | instskip(NEXT) | instid1(VALU_DEP_1)
	v_fma_mix_f32 v90, v69, v11, v90 op_sel:[0,1,0] op_sel_hi:[1,1,0]
	v_fma_mixlo_f16 v90, v90, v15, 0 op_sel_hi:[0,1,0]
	s_delay_alu instid0(VALU_DEP_1) | instskip(SKIP_1) | instid1(VALU_DEP_1)
	v_add_f16_e32 v31, v31, v90
	v_fma_mix_f32 v90, v59, v8, 0 op_sel_hi:[1,1,0]
	v_fma_mix_f32 v8, v61, v8, v90 op_sel:[0,1,0] op_sel_hi:[1,1,0]
	s_delay_alu instid0(VALU_DEP_1) | instskip(NEXT) | instid1(VALU_DEP_1)
	v_fma_mix_f32 v8, v62, v9, v8 op_sel_hi:[1,1,0]
	v_fma_mix_f32 v8, v63, v9, v8 op_sel:[0,1,0] op_sel_hi:[1,1,0]
	s_delay_alu instid0(VALU_DEP_1) | instskip(NEXT) | instid1(VALU_DEP_1)
	v_fma_mix_f32 v8, v64, v10, v8 op_sel_hi:[1,1,0]
	v_fma_mix_f32 v8, v65, v10, v8 op_sel:[0,1,0] op_sel_hi:[1,1,0]
	s_delay_alu instid0(VALU_DEP_1) | instskip(NEXT) | instid1(VALU_DEP_1)
	v_fma_mix_f32 v8, v66, v11, v8 op_sel_hi:[1,1,0]
	v_fma_mix_f32 v8, v67, v11, v8 op_sel:[0,1,0] op_sel_hi:[1,1,0]
	s_delay_alu instid0(VALU_DEP_1) | instskip(NEXT) | instid1(VALU_DEP_1)
	v_fma_mixlo_f16 v8, v8, v22, 0 op_sel_hi:[0,1,0]
	v_add_f16_e32 v30, v30, v8
	ds_load_b128 v[8:11], v25 offset:272
	s_waitcnt lgkmcnt(0)
	v_fma_mix_f32 v90, v38, v8, 0 op_sel_hi:[1,1,0]
	s_delay_alu instid0(VALU_DEP_1) | instskip(NEXT) | instid1(VALU_DEP_1)
	v_fma_mix_f32 v90, v39, v8, v90 op_sel:[0,1,0] op_sel_hi:[1,1,0]
	v_fma_mix_f32 v90, v40, v9, v90 op_sel_hi:[1,1,0]
	s_delay_alu instid0(VALU_DEP_1) | instskip(NEXT) | instid1(VALU_DEP_1)
	v_fma_mix_f32 v90, v41, v9, v90 op_sel:[0,1,0] op_sel_hi:[1,1,0]
	v_fma_mix_f32 v90, v42, v10, v90 op_sel_hi:[1,1,0]
	s_delay_alu instid0(VALU_DEP_1) | instskip(NEXT) | instid1(VALU_DEP_1)
	v_fma_mix_f32 v90, v44, v10, v90 op_sel:[0,1,0] op_sel_hi:[1,1,0]
	v_fma_mix_f32 v90, v46, v11, v90 op_sel_hi:[1,1,0]
	s_delay_alu instid0(VALU_DEP_1) | instskip(NEXT) | instid1(VALU_DEP_1)
	v_fma_mix_f32 v90, v48, v11, v90 op_sel:[0,1,0] op_sel_hi:[1,1,0]
	v_fma_mixlo_f16 v90, v90, v14, 0 op_sel_hi:[0,1,0]
	s_delay_alu instid0(VALU_DEP_1) | instskip(SKIP_1) | instid1(VALU_DEP_1)
	v_add_f16_e32 v70, v70, v90
	v_fma_mix_f32 v90, v43, v8, 0 op_sel_hi:[1,1,0]
	v_fma_mix_f32 v90, v45, v8, v90 op_sel:[0,1,0] op_sel_hi:[1,1,0]
	s_delay_alu instid0(VALU_DEP_1) | instskip(NEXT) | instid1(VALU_DEP_1)
	v_fma_mix_f32 v90, v47, v9, v90 op_sel_hi:[1,1,0]
	v_fma_mix_f32 v90, v49, v9, v90 op_sel:[0,1,0] op_sel_hi:[1,1,0]
	s_delay_alu instid0(VALU_DEP_1) | instskip(NEXT) | instid1(VALU_DEP_1)
	v_fma_mix_f32 v90, v50, v10, v90 op_sel_hi:[1,1,0]
	v_fma_mix_f32 v90, v52, v10, v90 op_sel:[0,1,0] op_sel_hi:[1,1,0]
	s_delay_alu instid0(VALU_DEP_1) | instskip(NEXT) | instid1(VALU_DEP_1)
	v_fma_mix_f32 v90, v54, v11, v90 op_sel_hi:[1,1,0]
	v_fma_mix_f32 v90, v56, v11, v90 op_sel:[0,1,0] op_sel_hi:[1,1,0]
	s_delay_alu instid0(VALU_DEP_1) | instskip(NEXT) | instid1(VALU_DEP_1)
	v_fma_mixlo_f16 v90, v90, v19, 0 op_sel_hi:[0,1,0]
	v_add_f16_e32 v71, v71, v90
	v_fma_mix_f32 v90, v51, v8, 0 op_sel_hi:[1,1,0]
	s_delay_alu instid0(VALU_DEP_1) | instskip(NEXT) | instid1(VALU_DEP_1)
	v_fma_mix_f32 v90, v53, v8, v90 op_sel:[0,1,0] op_sel_hi:[1,1,0]
	v_fma_mix_f32 v90, v55, v9, v90 op_sel_hi:[1,1,0]
	s_delay_alu instid0(VALU_DEP_1) | instskip(NEXT) | instid1(VALU_DEP_1)
	v_fma_mix_f32 v90, v57, v9, v90 op_sel:[0,1,0] op_sel_hi:[1,1,0]
	v_fma_mix_f32 v90, v58, v10, v90 op_sel_hi:[1,1,0]
	s_delay_alu instid0(VALU_DEP_1) | instskip(NEXT) | instid1(VALU_DEP_1)
	v_fma_mix_f32 v90, v60, v10, v90 op_sel:[0,1,0] op_sel_hi:[1,1,0]
	v_fma_mix_f32 v90, v68, v11, v90 op_sel_hi:[1,1,0]
	s_delay_alu instid0(VALU_DEP_1) | instskip(NEXT) | instid1(VALU_DEP_1)
	v_fma_mix_f32 v90, v69, v11, v90 op_sel:[0,1,0] op_sel_hi:[1,1,0]
	v_fma_mixlo_f16 v90, v90, v15, 0 op_sel_hi:[0,1,0]
	s_delay_alu instid0(VALU_DEP_1) | instskip(SKIP_1) | instid1(VALU_DEP_1)
	v_add_f16_e32 v72, v72, v90
	v_fma_mix_f32 v90, v59, v8, 0 op_sel_hi:[1,1,0]
	v_fma_mix_f32 v8, v61, v8, v90 op_sel:[0,1,0] op_sel_hi:[1,1,0]
	s_delay_alu instid0(VALU_DEP_1) | instskip(NEXT) | instid1(VALU_DEP_1)
	v_fma_mix_f32 v8, v62, v9, v8 op_sel_hi:[1,1,0]
	v_fma_mix_f32 v8, v63, v9, v8 op_sel:[0,1,0] op_sel_hi:[1,1,0]
	s_delay_alu instid0(VALU_DEP_1) | instskip(NEXT) | instid1(VALU_DEP_1)
	v_fma_mix_f32 v8, v64, v10, v8 op_sel_hi:[1,1,0]
	v_fma_mix_f32 v8, v65, v10, v8 op_sel:[0,1,0] op_sel_hi:[1,1,0]
	s_delay_alu instid0(VALU_DEP_1) | instskip(NEXT) | instid1(VALU_DEP_1)
	v_fma_mix_f32 v8, v66, v11, v8 op_sel_hi:[1,1,0]
	v_fma_mix_f32 v8, v67, v11, v8 op_sel:[0,1,0] op_sel_hi:[1,1,0]
	s_delay_alu instid0(VALU_DEP_1) | instskip(NEXT) | instid1(VALU_DEP_1)
	v_fma_mixlo_f16 v8, v8, v22, 0 op_sel_hi:[0,1,0]
	v_add_f16_e32 v73, v73, v8
	ds_load_b128 v[8:11], v25 offset:528
	s_waitcnt lgkmcnt(0)
	v_fma_mix_f32 v90, v38, v8, 0 op_sel_hi:[1,1,0]
	s_delay_alu instid0(VALU_DEP_1) | instskip(NEXT) | instid1(VALU_DEP_1)
	v_fma_mix_f32 v90, v39, v8, v90 op_sel:[0,1,0] op_sel_hi:[1,1,0]
	v_fma_mix_f32 v90, v40, v9, v90 op_sel_hi:[1,1,0]
	s_delay_alu instid0(VALU_DEP_1) | instskip(NEXT) | instid1(VALU_DEP_1)
	v_fma_mix_f32 v90, v41, v9, v90 op_sel:[0,1,0] op_sel_hi:[1,1,0]
	v_fma_mix_f32 v90, v42, v10, v90 op_sel_hi:[1,1,0]
	s_delay_alu instid0(VALU_DEP_1) | instskip(NEXT) | instid1(VALU_DEP_1)
	v_fma_mix_f32 v90, v44, v10, v90 op_sel:[0,1,0] op_sel_hi:[1,1,0]
	v_fma_mix_f32 v90, v46, v11, v90 op_sel_hi:[1,1,0]
	s_delay_alu instid0(VALU_DEP_1) | instskip(NEXT) | instid1(VALU_DEP_1)
	v_fma_mix_f32 v90, v48, v11, v90 op_sel:[0,1,0] op_sel_hi:[1,1,0]
	v_fma_mixlo_f16 v90, v90, v14, 0 op_sel_hi:[0,1,0]
	s_delay_alu instid0(VALU_DEP_1) | instskip(SKIP_1) | instid1(VALU_DEP_1)
	v_add_f16_e32 v74, v74, v90
	v_fma_mix_f32 v90, v43, v8, 0 op_sel_hi:[1,1,0]
	v_fma_mix_f32 v90, v45, v8, v90 op_sel:[0,1,0] op_sel_hi:[1,1,0]
	s_delay_alu instid0(VALU_DEP_1) | instskip(NEXT) | instid1(VALU_DEP_1)
	v_fma_mix_f32 v90, v47, v9, v90 op_sel_hi:[1,1,0]
	v_fma_mix_f32 v90, v49, v9, v90 op_sel:[0,1,0] op_sel_hi:[1,1,0]
	s_delay_alu instid0(VALU_DEP_1) | instskip(NEXT) | instid1(VALU_DEP_1)
	v_fma_mix_f32 v90, v50, v10, v90 op_sel_hi:[1,1,0]
	v_fma_mix_f32 v90, v52, v10, v90 op_sel:[0,1,0] op_sel_hi:[1,1,0]
	s_delay_alu instid0(VALU_DEP_1) | instskip(NEXT) | instid1(VALU_DEP_1)
	v_fma_mix_f32 v90, v54, v11, v90 op_sel_hi:[1,1,0]
	v_fma_mix_f32 v90, v56, v11, v90 op_sel:[0,1,0] op_sel_hi:[1,1,0]
	s_delay_alu instid0(VALU_DEP_1) | instskip(NEXT) | instid1(VALU_DEP_1)
	v_fma_mixlo_f16 v90, v90, v19, 0 op_sel_hi:[0,1,0]
	v_add_f16_e32 v75, v75, v90
	v_fma_mix_f32 v90, v51, v8, 0 op_sel_hi:[1,1,0]
	s_delay_alu instid0(VALU_DEP_1) | instskip(NEXT) | instid1(VALU_DEP_1)
	v_fma_mix_f32 v90, v53, v8, v90 op_sel:[0,1,0] op_sel_hi:[1,1,0]
	v_fma_mix_f32 v90, v55, v9, v90 op_sel_hi:[1,1,0]
	s_delay_alu instid0(VALU_DEP_1) | instskip(NEXT) | instid1(VALU_DEP_1)
	v_fma_mix_f32 v90, v57, v9, v90 op_sel:[0,1,0] op_sel_hi:[1,1,0]
	;; [unrolled: 60-line block ×6, first 2 shown]
	v_fma_mix_f32 v36, v58, v10, v36 op_sel_hi:[1,1,0]
	s_delay_alu instid0(VALU_DEP_1) | instskip(NEXT) | instid1(VALU_DEP_1)
	v_fma_mix_f32 v36, v60, v10, v36 op_sel:[0,1,0] op_sel_hi:[1,1,0]
	v_fma_mix_f32 v36, v68, v11, v36 op_sel_hi:[1,1,0]
	s_delay_alu instid0(VALU_DEP_1) | instskip(NEXT) | instid1(VALU_DEP_1)
	v_fma_mix_f32 v36, v69, v11, v36 op_sel:[0,1,0] op_sel_hi:[1,1,0]
	v_fma_mixlo_f16 v36, v36, v15, 0 op_sel_hi:[0,1,0]
	s_delay_alu instid0(VALU_DEP_1) | instskip(SKIP_1) | instid1(VALU_DEP_1)
	v_add_f16_e32 v54, v35, v36
	v_fma_mix_f32 v35, v59, v8, 0 op_sel_hi:[1,1,0]
	v_fma_mix_f32 v8, v61, v8, v35 op_sel:[0,1,0] op_sel_hi:[1,1,0]
	s_delay_alu instid0(VALU_DEP_1) | instskip(NEXT) | instid1(VALU_DEP_1)
	v_fma_mix_f32 v8, v62, v9, v8 op_sel_hi:[1,1,0]
	v_fma_mix_f32 v8, v63, v9, v8 op_sel:[0,1,0] op_sel_hi:[1,1,0]
	s_delay_alu instid0(VALU_DEP_1) | instskip(NEXT) | instid1(VALU_DEP_1)
	;; [unrolled: 3-line block ×4, first 2 shown]
	v_fma_mixlo_f16 v8, v8, v22, 0 op_sel_hi:[0,1,0]
	v_add_f16_e32 v55, v34, v8
	v_add_co_u32 v8, vcc_lo, v16, s0
	v_add_co_ci_u32_e32 v9, vcc_lo, s1, v17, vcc_lo
	global_load_b128 v[34:37], v[8:9], off
	v_add_co_u32 v8, vcc_lo, v8, s0
	v_add_co_ci_u32_e32 v9, vcc_lo, s1, v9, vcc_lo
	global_load_b128 v[40:43], v[8:9], off
	s_waitcnt vmcnt(1)
	v_and_b32_e32 v10, 0xff, v34
	v_bfe_u32 v11, v34, 8, 8
	v_bfe_u32 v16, v34, 16, 8
	v_lshrrev_b32_e32 v17, 24, v34
	s_delay_alu instid0(VALU_DEP_4) | instskip(NEXT) | instid1(VALU_DEP_4)
	v_sub_nc_u32_e32 v10, v10, v29
	v_sub_nc_u32_e32 v11, v11, v29
	s_delay_alu instid0(VALU_DEP_4)
	v_sub_nc_u32_e32 v16, v16, v29
	s_waitcnt vmcnt(0)
	v_and_b32_e32 v34, 0xff, v40
	v_sub_nc_u32_e32 v17, v17, v29
	v_cvt_f32_i32_e32 v10, v10
	v_cvt_f32_i32_e32 v11, v11
	;; [unrolled: 1-line block ×3, first 2 shown]
	v_sub_nc_u32_e32 v34, v34, v29
	v_cvt_f32_i32_e32 v17, v17
	v_cvt_f16_f32_e32 v10, v10
	v_cvt_f16_f32_e32 v11, v11
	;; [unrolled: 1-line block ×3, first 2 shown]
	v_cvt_f32_i32_e32 v34, v34
	v_cvt_f16_f32_e32 v17, v17
	s_delay_alu instid0(VALU_DEP_2) | instskip(SKIP_1) | instid1(VALU_DEP_1)
	v_cvt_f16_f32_e32 v56, v34
	v_bfe_u32 v34, v40, 8, 8
	v_sub_nc_u32_e32 v34, v34, v29
	s_delay_alu instid0(VALU_DEP_1) | instskip(NEXT) | instid1(VALU_DEP_1)
	v_cvt_f32_i32_e32 v34, v34
	v_cvt_f16_f32_e32 v57, v34
	v_bfe_u32 v34, v40, 16, 8
	s_delay_alu instid0(VALU_DEP_1) | instskip(NEXT) | instid1(VALU_DEP_1)
	v_sub_nc_u32_e32 v34, v34, v29
	v_cvt_f32_i32_e32 v34, v34
	s_delay_alu instid0(VALU_DEP_1) | instskip(SKIP_1) | instid1(VALU_DEP_1)
	v_cvt_f16_f32_e32 v58, v34
	v_lshrrev_b32_e32 v34, 24, v40
	v_sub_nc_u32_e32 v34, v34, v29
	s_delay_alu instid0(VALU_DEP_1) | instskip(NEXT) | instid1(VALU_DEP_1)
	v_cvt_f32_i32_e32 v34, v34
	v_cvt_f16_f32_e32 v59, v34
	v_and_b32_e32 v34, 0xff, v35
	s_delay_alu instid0(VALU_DEP_1) | instskip(NEXT) | instid1(VALU_DEP_1)
	v_sub_nc_u32_e32 v34, v34, v28
	v_cvt_f32_i32_e32 v34, v34
	s_delay_alu instid0(VALU_DEP_1) | instskip(SKIP_1) | instid1(VALU_DEP_1)
	v_cvt_f16_f32_e32 v60, v34
	v_bfe_u32 v34, v35, 8, 8
	v_sub_nc_u32_e32 v34, v34, v28
	s_delay_alu instid0(VALU_DEP_1) | instskip(NEXT) | instid1(VALU_DEP_1)
	v_cvt_f32_i32_e32 v34, v34
	v_cvt_f16_f32_e32 v61, v34
	v_bfe_u32 v34, v35, 16, 8
	s_delay_alu instid0(VALU_DEP_1) | instskip(NEXT) | instid1(VALU_DEP_1)
	v_sub_nc_u32_e32 v34, v34, v28
	v_cvt_f32_i32_e32 v34, v34
	s_delay_alu instid0(VALU_DEP_1) | instskip(SKIP_1) | instid1(VALU_DEP_1)
	v_cvt_f16_f32_e32 v62, v34
	v_lshrrev_b32_e32 v34, 24, v35
	v_sub_nc_u32_e32 v34, v34, v28
	s_delay_alu instid0(VALU_DEP_1) | instskip(NEXT) | instid1(VALU_DEP_1)
	v_cvt_f32_i32_e32 v34, v34
	v_cvt_f16_f32_e32 v63, v34
	v_and_b32_e32 v34, 0xff, v41
	s_delay_alu instid0(VALU_DEP_1) | instskip(NEXT) | instid1(VALU_DEP_1)
	v_sub_nc_u32_e32 v34, v34, v28
	v_cvt_f32_i32_e32 v34, v34
	s_delay_alu instid0(VALU_DEP_1) | instskip(SKIP_1) | instid1(VALU_DEP_1)
	;; [unrolled: 22-line block ×6, first 2 shown]
	v_cvt_f16_f32_e32 v100, v34
	v_bfe_u32 v34, v43, 8, 8
	v_sub_nc_u32_e32 v34, v34, v26
	s_delay_alu instid0(VALU_DEP_1) | instskip(NEXT) | instid1(VALU_DEP_1)
	v_cvt_f32_i32_e32 v34, v34
	v_cvt_f16_f32_e32 v101, v34
	v_bfe_u32 v34, v43, 16, 8
	s_delay_alu instid0(VALU_DEP_1) | instskip(NEXT) | instid1(VALU_DEP_1)
	v_sub_nc_u32_e32 v34, v34, v26
	v_cvt_f32_i32_e32 v34, v34
	s_delay_alu instid0(VALU_DEP_1) | instskip(SKIP_1) | instid1(VALU_DEP_1)
	v_cvt_f16_f32_e32 v102, v34
	v_lshrrev_b32_e32 v34, 24, v43
	v_sub_nc_u32_e32 v34, v34, v26
	s_delay_alu instid0(VALU_DEP_1) | instskip(NEXT) | instid1(VALU_DEP_1)
	v_cvt_f32_i32_e32 v34, v34
	v_cvt_f16_f32_e32 v103, v34
	v_fma_mix_f32 v34, v10, v4, 0 op_sel_hi:[1,1,0]
	s_delay_alu instid0(VALU_DEP_1) | instskip(NEXT) | instid1(VALU_DEP_1)
	v_fma_mix_f32 v34, v11, v4, v34 op_sel:[0,1,0] op_sel_hi:[1,1,0]
	v_fma_mix_f32 v34, v16, v5, v34 op_sel_hi:[1,1,0]
	s_delay_alu instid0(VALU_DEP_1) | instskip(NEXT) | instid1(VALU_DEP_1)
	v_fma_mix_f32 v34, v17, v5, v34 op_sel:[0,1,0] op_sel_hi:[1,1,0]
	;; [unrolled: 3-line block ×4, first 2 shown]
	v_fma_mixlo_f16 v34, v34, v14, 0 op_sel_hi:[0,1,0]
	s_delay_alu instid0(VALU_DEP_1) | instskip(SKIP_1) | instid1(VALU_DEP_1)
	v_add_f16_e32 v33, v33, v34
	v_fma_mix_f32 v34, v60, v4, 0 op_sel_hi:[1,1,0]
	v_fma_mix_f32 v34, v61, v4, v34 op_sel:[0,1,0] op_sel_hi:[1,1,0]
	s_delay_alu instid0(VALU_DEP_1) | instskip(NEXT) | instid1(VALU_DEP_1)
	v_fma_mix_f32 v34, v62, v5, v34 op_sel_hi:[1,1,0]
	v_fma_mix_f32 v34, v63, v5, v34 op_sel:[0,1,0] op_sel_hi:[1,1,0]
	s_delay_alu instid0(VALU_DEP_1) | instskip(NEXT) | instid1(VALU_DEP_1)
	;; [unrolled: 3-line block ×4, first 2 shown]
	v_fma_mixlo_f16 v34, v34, v19, 0 op_sel_hi:[0,1,0]
	v_add_f16_e32 v32, v32, v34
	v_fma_mix_f32 v34, v68, v4, 0 op_sel_hi:[1,1,0]
	s_delay_alu instid0(VALU_DEP_1) | instskip(NEXT) | instid1(VALU_DEP_1)
	v_fma_mix_f32 v34, v69, v4, v34 op_sel:[0,1,0] op_sel_hi:[1,1,0]
	v_fma_mix_f32 v34, v90, v5, v34 op_sel_hi:[1,1,0]
	s_delay_alu instid0(VALU_DEP_1) | instskip(NEXT) | instid1(VALU_DEP_1)
	v_fma_mix_f32 v34, v91, v5, v34 op_sel:[0,1,0] op_sel_hi:[1,1,0]
	;; [unrolled: 3-line block ×4, first 2 shown]
	v_fma_mixlo_f16 v34, v34, v15, 0 op_sel_hi:[0,1,0]
	s_delay_alu instid0(VALU_DEP_1) | instskip(SKIP_1) | instid1(VALU_DEP_1)
	v_add_f16_e32 v31, v31, v34
	v_fma_mix_f32 v34, v96, v4, 0 op_sel_hi:[1,1,0]
	v_fma_mix_f32 v4, v97, v4, v34 op_sel:[0,1,0] op_sel_hi:[1,1,0]
	s_delay_alu instid0(VALU_DEP_1) | instskip(NEXT) | instid1(VALU_DEP_1)
	v_fma_mix_f32 v4, v98, v5, v4 op_sel_hi:[1,1,0]
	v_fma_mix_f32 v4, v99, v5, v4 op_sel:[0,1,0] op_sel_hi:[1,1,0]
	s_delay_alu instid0(VALU_DEP_1) | instskip(NEXT) | instid1(VALU_DEP_1)
	;; [unrolled: 3-line block ×4, first 2 shown]
	v_fma_mixlo_f16 v4, v4, v22, 0 op_sel_hi:[0,1,0]
	v_add_f16_e32 v30, v30, v4
	ds_load_b128 v[4:7], v25 offset:288
	s_waitcnt lgkmcnt(0)
	v_fma_mix_f32 v36, v68, v4, 0 op_sel_hi:[1,1,0]
	v_fma_mix_f32 v34, v10, v4, 0 op_sel_hi:[1,1,0]
	;; [unrolled: 1-line block ×3, first 2 shown]
	s_delay_alu instid0(VALU_DEP_3) | instskip(NEXT) | instid1(VALU_DEP_3)
	v_fma_mix_f32 v36, v69, v4, v36 op_sel:[0,1,0] op_sel_hi:[1,1,0]
	v_fma_mix_f32 v34, v11, v4, v34 op_sel:[0,1,0] op_sel_hi:[1,1,0]
	s_delay_alu instid0(VALU_DEP_3) | instskip(NEXT) | instid1(VALU_DEP_3)
	v_fma_mix_f32 v35, v61, v4, v35 op_sel:[0,1,0] op_sel_hi:[1,1,0]
	v_fma_mix_f32 v36, v90, v5, v36 op_sel_hi:[1,1,0]
	s_delay_alu instid0(VALU_DEP_3) | instskip(NEXT) | instid1(VALU_DEP_3)
	v_fma_mix_f32 v34, v16, v5, v34 op_sel_hi:[1,1,0]
	v_fma_mix_f32 v35, v62, v5, v35 op_sel_hi:[1,1,0]
	s_delay_alu instid0(VALU_DEP_3) | instskip(NEXT) | instid1(VALU_DEP_3)
	v_fma_mix_f32 v36, v91, v5, v36 op_sel:[0,1,0] op_sel_hi:[1,1,0]
	v_fma_mix_f32 v34, v17, v5, v34 op_sel:[0,1,0] op_sel_hi:[1,1,0]
	s_delay_alu instid0(VALU_DEP_3) | instskip(NEXT) | instid1(VALU_DEP_3)
	v_fma_mix_f32 v35, v63, v5, v35 op_sel:[0,1,0] op_sel_hi:[1,1,0]
	v_fma_mix_f32 v36, v92, v6, v36 op_sel_hi:[1,1,0]
	s_delay_alu instid0(VALU_DEP_3) | instskip(NEXT) | instid1(VALU_DEP_3)
	v_fma_mix_f32 v34, v56, v6, v34 op_sel_hi:[1,1,0]
	v_fma_mix_f32 v35, v64, v6, v35 op_sel_hi:[1,1,0]
	;; [unrolled: 9-line block ×3, first 2 shown]
	s_delay_alu instid0(VALU_DEP_3) | instskip(NEXT) | instid1(VALU_DEP_3)
	v_fma_mix_f32 v36, v95, v7, v36 op_sel:[0,1,0] op_sel_hi:[1,1,0]
	v_fma_mix_f32 v34, v59, v7, v34 op_sel:[0,1,0] op_sel_hi:[1,1,0]
	s_delay_alu instid0(VALU_DEP_3) | instskip(NEXT) | instid1(VALU_DEP_3)
	v_fma_mix_f32 v35, v67, v7, v35 op_sel:[0,1,0] op_sel_hi:[1,1,0]
	v_fma_mixlo_f16 v36, v36, v15, 0 op_sel_hi:[0,1,0]
	s_delay_alu instid0(VALU_DEP_3) | instskip(NEXT) | instid1(VALU_DEP_3)
	v_fma_mixlo_f16 v34, v34, v14, 0 op_sel_hi:[0,1,0]
	v_fma_mixlo_f16 v35, v35, v19, 0 op_sel_hi:[0,1,0]
	s_delay_alu instid0(VALU_DEP_3) | instskip(SKIP_1) | instid1(VALU_DEP_4)
	v_add_f16_e32 v42, v72, v36
	v_fma_mix_f32 v36, v96, v4, 0 op_sel_hi:[1,1,0]
	v_add_f16_e32 v34, v70, v34
	s_delay_alu instid0(VALU_DEP_4) | instskip(NEXT) | instid1(VALU_DEP_3)
	v_add_f16_e32 v35, v71, v35
	v_fma_mix_f32 v4, v97, v4, v36 op_sel:[0,1,0] op_sel_hi:[1,1,0]
	s_delay_alu instid0(VALU_DEP_1) | instskip(NEXT) | instid1(VALU_DEP_1)
	v_fma_mix_f32 v4, v98, v5, v4 op_sel_hi:[1,1,0]
	v_fma_mix_f32 v4, v99, v5, v4 op_sel:[0,1,0] op_sel_hi:[1,1,0]
	s_delay_alu instid0(VALU_DEP_1) | instskip(NEXT) | instid1(VALU_DEP_1)
	v_fma_mix_f32 v4, v100, v6, v4 op_sel_hi:[1,1,0]
	;; [unrolled: 3-line block ×3, first 2 shown]
	v_fma_mix_f32 v4, v103, v7, v4 op_sel:[0,1,0] op_sel_hi:[1,1,0]
	s_delay_alu instid0(VALU_DEP_1) | instskip(NEXT) | instid1(VALU_DEP_1)
	v_fma_mixlo_f16 v4, v4, v22, 0 op_sel_hi:[0,1,0]
	v_add_f16_e32 v43, v73, v4
	ds_load_b128 v[4:7], v25 offset:544
	s_waitcnt lgkmcnt(0)
	v_fma_mix_f32 v40, v68, v4, 0 op_sel_hi:[1,1,0]
	v_fma_mix_f32 v36, v10, v4, 0 op_sel_hi:[1,1,0]
	;; [unrolled: 1-line block ×3, first 2 shown]
	s_delay_alu instid0(VALU_DEP_3) | instskip(NEXT) | instid1(VALU_DEP_3)
	v_fma_mix_f32 v40, v69, v4, v40 op_sel:[0,1,0] op_sel_hi:[1,1,0]
	v_fma_mix_f32 v36, v11, v4, v36 op_sel:[0,1,0] op_sel_hi:[1,1,0]
	s_delay_alu instid0(VALU_DEP_3) | instskip(NEXT) | instid1(VALU_DEP_3)
	v_fma_mix_f32 v37, v61, v4, v37 op_sel:[0,1,0] op_sel_hi:[1,1,0]
	v_fma_mix_f32 v40, v90, v5, v40 op_sel_hi:[1,1,0]
	s_delay_alu instid0(VALU_DEP_3) | instskip(NEXT) | instid1(VALU_DEP_3)
	v_fma_mix_f32 v36, v16, v5, v36 op_sel_hi:[1,1,0]
	v_fma_mix_f32 v37, v62, v5, v37 op_sel_hi:[1,1,0]
	s_delay_alu instid0(VALU_DEP_3) | instskip(NEXT) | instid1(VALU_DEP_3)
	v_fma_mix_f32 v40, v91, v5, v40 op_sel:[0,1,0] op_sel_hi:[1,1,0]
	v_fma_mix_f32 v36, v17, v5, v36 op_sel:[0,1,0] op_sel_hi:[1,1,0]
	s_delay_alu instid0(VALU_DEP_3) | instskip(NEXT) | instid1(VALU_DEP_3)
	v_fma_mix_f32 v37, v63, v5, v37 op_sel:[0,1,0] op_sel_hi:[1,1,0]
	v_fma_mix_f32 v40, v92, v6, v40 op_sel_hi:[1,1,0]
	s_delay_alu instid0(VALU_DEP_3) | instskip(NEXT) | instid1(VALU_DEP_3)
	v_fma_mix_f32 v36, v56, v6, v36 op_sel_hi:[1,1,0]
	v_fma_mix_f32 v37, v64, v6, v37 op_sel_hi:[1,1,0]
	;; [unrolled: 9-line block ×3, first 2 shown]
	s_delay_alu instid0(VALU_DEP_3) | instskip(NEXT) | instid1(VALU_DEP_3)
	v_fma_mix_f32 v40, v95, v7, v40 op_sel:[0,1,0] op_sel_hi:[1,1,0]
	v_fma_mix_f32 v36, v59, v7, v36 op_sel:[0,1,0] op_sel_hi:[1,1,0]
	s_delay_alu instid0(VALU_DEP_3) | instskip(NEXT) | instid1(VALU_DEP_3)
	v_fma_mix_f32 v37, v67, v7, v37 op_sel:[0,1,0] op_sel_hi:[1,1,0]
	v_fma_mixlo_f16 v40, v40, v15, 0 op_sel_hi:[0,1,0]
	s_delay_alu instid0(VALU_DEP_3) | instskip(NEXT) | instid1(VALU_DEP_3)
	v_fma_mixlo_f16 v36, v36, v14, 0 op_sel_hi:[0,1,0]
	v_fma_mixlo_f16 v37, v37, v19, 0 op_sel_hi:[0,1,0]
	s_delay_alu instid0(VALU_DEP_3) | instskip(SKIP_1) | instid1(VALU_DEP_3)
	v_add_f16_e32 v46, v76, v40
	v_fma_mix_f32 v40, v96, v4, 0 op_sel_hi:[1,1,0]
	v_add_f16_e32 v37, v75, v37
	v_add_f16_e32 v36, v74, v36
	s_delay_alu instid0(VALU_DEP_3) | instskip(NEXT) | instid1(VALU_DEP_1)
	v_fma_mix_f32 v4, v97, v4, v40 op_sel:[0,1,0] op_sel_hi:[1,1,0]
	v_fma_mix_f32 v4, v98, v5, v4 op_sel_hi:[1,1,0]
	s_delay_alu instid0(VALU_DEP_1) | instskip(NEXT) | instid1(VALU_DEP_1)
	v_fma_mix_f32 v4, v99, v5, v4 op_sel:[0,1,0] op_sel_hi:[1,1,0]
	v_fma_mix_f32 v4, v100, v6, v4 op_sel_hi:[1,1,0]
	s_delay_alu instid0(VALU_DEP_1) | instskip(NEXT) | instid1(VALU_DEP_1)
	;; [unrolled: 3-line block ×3, first 2 shown]
	v_fma_mix_f32 v4, v103, v7, v4 op_sel:[0,1,0] op_sel_hi:[1,1,0]
	v_fma_mixlo_f16 v4, v4, v22, 0 op_sel_hi:[0,1,0]
	s_delay_alu instid0(VALU_DEP_1)
	v_add_f16_e32 v47, v77, v4
	ds_load_b128 v[4:7], v25 offset:800
	s_waitcnt lgkmcnt(0)
	v_fma_mix_f32 v44, v68, v4, 0 op_sel_hi:[1,1,0]
	v_fma_mix_f32 v40, v10, v4, 0 op_sel_hi:[1,1,0]
	;; [unrolled: 1-line block ×3, first 2 shown]
	s_delay_alu instid0(VALU_DEP_3) | instskip(NEXT) | instid1(VALU_DEP_3)
	v_fma_mix_f32 v44, v69, v4, v44 op_sel:[0,1,0] op_sel_hi:[1,1,0]
	v_fma_mix_f32 v40, v11, v4, v40 op_sel:[0,1,0] op_sel_hi:[1,1,0]
	s_delay_alu instid0(VALU_DEP_3) | instskip(NEXT) | instid1(VALU_DEP_3)
	v_fma_mix_f32 v41, v61, v4, v41 op_sel:[0,1,0] op_sel_hi:[1,1,0]
	v_fma_mix_f32 v44, v90, v5, v44 op_sel_hi:[1,1,0]
	s_delay_alu instid0(VALU_DEP_3) | instskip(NEXT) | instid1(VALU_DEP_3)
	v_fma_mix_f32 v40, v16, v5, v40 op_sel_hi:[1,1,0]
	v_fma_mix_f32 v41, v62, v5, v41 op_sel_hi:[1,1,0]
	s_delay_alu instid0(VALU_DEP_3) | instskip(NEXT) | instid1(VALU_DEP_3)
	v_fma_mix_f32 v44, v91, v5, v44 op_sel:[0,1,0] op_sel_hi:[1,1,0]
	v_fma_mix_f32 v40, v17, v5, v40 op_sel:[0,1,0] op_sel_hi:[1,1,0]
	s_delay_alu instid0(VALU_DEP_3) | instskip(NEXT) | instid1(VALU_DEP_3)
	v_fma_mix_f32 v41, v63, v5, v41 op_sel:[0,1,0] op_sel_hi:[1,1,0]
	v_fma_mix_f32 v44, v92, v6, v44 op_sel_hi:[1,1,0]
	s_delay_alu instid0(VALU_DEP_3) | instskip(NEXT) | instid1(VALU_DEP_3)
	v_fma_mix_f32 v40, v56, v6, v40 op_sel_hi:[1,1,0]
	v_fma_mix_f32 v41, v64, v6, v41 op_sel_hi:[1,1,0]
	;; [unrolled: 9-line block ×3, first 2 shown]
	s_delay_alu instid0(VALU_DEP_3) | instskip(NEXT) | instid1(VALU_DEP_3)
	v_fma_mix_f32 v44, v95, v7, v44 op_sel:[0,1,0] op_sel_hi:[1,1,0]
	v_fma_mix_f32 v40, v59, v7, v40 op_sel:[0,1,0] op_sel_hi:[1,1,0]
	s_delay_alu instid0(VALU_DEP_3) | instskip(NEXT) | instid1(VALU_DEP_3)
	v_fma_mix_f32 v41, v67, v7, v41 op_sel:[0,1,0] op_sel_hi:[1,1,0]
	v_fma_mixlo_f16 v44, v44, v15, 0 op_sel_hi:[0,1,0]
	s_delay_alu instid0(VALU_DEP_3) | instskip(NEXT) | instid1(VALU_DEP_3)
	v_fma_mixlo_f16 v40, v40, v14, 0 op_sel_hi:[0,1,0]
	v_fma_mixlo_f16 v41, v41, v19, 0 op_sel_hi:[0,1,0]
	s_delay_alu instid0(VALU_DEP_3) | instskip(SKIP_1) | instid1(VALU_DEP_4)
	v_add_f16_e32 v50, v80, v44
	v_fma_mix_f32 v44, v96, v4, 0 op_sel_hi:[1,1,0]
	v_add_f16_e32 v40, v78, v40
	s_delay_alu instid0(VALU_DEP_4) | instskip(NEXT) | instid1(VALU_DEP_3)
	v_add_f16_e32 v41, v79, v41
	v_fma_mix_f32 v4, v97, v4, v44 op_sel:[0,1,0] op_sel_hi:[1,1,0]
	s_delay_alu instid0(VALU_DEP_1) | instskip(NEXT) | instid1(VALU_DEP_1)
	v_fma_mix_f32 v4, v98, v5, v4 op_sel_hi:[1,1,0]
	v_fma_mix_f32 v4, v99, v5, v4 op_sel:[0,1,0] op_sel_hi:[1,1,0]
	s_delay_alu instid0(VALU_DEP_1) | instskip(NEXT) | instid1(VALU_DEP_1)
	v_fma_mix_f32 v4, v100, v6, v4 op_sel_hi:[1,1,0]
	;; [unrolled: 3-line block ×3, first 2 shown]
	v_fma_mix_f32 v4, v103, v7, v4 op_sel:[0,1,0] op_sel_hi:[1,1,0]
	s_delay_alu instid0(VALU_DEP_1) | instskip(NEXT) | instid1(VALU_DEP_1)
	v_fma_mixlo_f16 v4, v4, v22, 0 op_sel_hi:[0,1,0]
	v_add_f16_e32 v51, v81, v4
	ds_load_b128 v[4:7], v25 offset:1056
	s_waitcnt lgkmcnt(0)
	v_fma_mix_f32 v48, v68, v4, 0 op_sel_hi:[1,1,0]
	v_fma_mix_f32 v44, v10, v4, 0 op_sel_hi:[1,1,0]
	;; [unrolled: 1-line block ×3, first 2 shown]
	s_delay_alu instid0(VALU_DEP_3) | instskip(NEXT) | instid1(VALU_DEP_3)
	v_fma_mix_f32 v48, v69, v4, v48 op_sel:[0,1,0] op_sel_hi:[1,1,0]
	v_fma_mix_f32 v44, v11, v4, v44 op_sel:[0,1,0] op_sel_hi:[1,1,0]
	s_delay_alu instid0(VALU_DEP_3) | instskip(NEXT) | instid1(VALU_DEP_3)
	v_fma_mix_f32 v45, v61, v4, v45 op_sel:[0,1,0] op_sel_hi:[1,1,0]
	v_fma_mix_f32 v48, v90, v5, v48 op_sel_hi:[1,1,0]
	s_delay_alu instid0(VALU_DEP_3) | instskip(NEXT) | instid1(VALU_DEP_3)
	v_fma_mix_f32 v44, v16, v5, v44 op_sel_hi:[1,1,0]
	v_fma_mix_f32 v45, v62, v5, v45 op_sel_hi:[1,1,0]
	s_delay_alu instid0(VALU_DEP_3) | instskip(NEXT) | instid1(VALU_DEP_3)
	v_fma_mix_f32 v48, v91, v5, v48 op_sel:[0,1,0] op_sel_hi:[1,1,0]
	v_fma_mix_f32 v44, v17, v5, v44 op_sel:[0,1,0] op_sel_hi:[1,1,0]
	s_delay_alu instid0(VALU_DEP_3) | instskip(NEXT) | instid1(VALU_DEP_3)
	v_fma_mix_f32 v45, v63, v5, v45 op_sel:[0,1,0] op_sel_hi:[1,1,0]
	v_fma_mix_f32 v48, v92, v6, v48 op_sel_hi:[1,1,0]
	s_delay_alu instid0(VALU_DEP_3) | instskip(NEXT) | instid1(VALU_DEP_3)
	v_fma_mix_f32 v44, v56, v6, v44 op_sel_hi:[1,1,0]
	v_fma_mix_f32 v45, v64, v6, v45 op_sel_hi:[1,1,0]
	;; [unrolled: 9-line block ×3, first 2 shown]
	s_delay_alu instid0(VALU_DEP_3) | instskip(NEXT) | instid1(VALU_DEP_3)
	v_fma_mix_f32 v48, v95, v7, v48 op_sel:[0,1,0] op_sel_hi:[1,1,0]
	v_fma_mix_f32 v44, v59, v7, v44 op_sel:[0,1,0] op_sel_hi:[1,1,0]
	s_delay_alu instid0(VALU_DEP_3) | instskip(NEXT) | instid1(VALU_DEP_3)
	v_fma_mix_f32 v45, v67, v7, v45 op_sel:[0,1,0] op_sel_hi:[1,1,0]
	v_fma_mixlo_f16 v48, v48, v15, 0 op_sel_hi:[0,1,0]
	s_delay_alu instid0(VALU_DEP_3) | instskip(NEXT) | instid1(VALU_DEP_3)
	v_fma_mixlo_f16 v44, v44, v14, 0 op_sel_hi:[0,1,0]
	v_fma_mixlo_f16 v45, v45, v19, 0 op_sel_hi:[0,1,0]
	s_delay_alu instid0(VALU_DEP_3) | instskip(SKIP_1) | instid1(VALU_DEP_4)
	v_add_f16_e32 v52, v84, v48
	v_fma_mix_f32 v48, v96, v4, 0 op_sel_hi:[1,1,0]
	v_add_f16_e32 v44, v82, v44
	s_delay_alu instid0(VALU_DEP_4) | instskip(NEXT) | instid1(VALU_DEP_3)
	v_add_f16_e32 v45, v83, v45
	v_fma_mix_f32 v4, v97, v4, v48 op_sel:[0,1,0] op_sel_hi:[1,1,0]
	s_delay_alu instid0(VALU_DEP_1) | instskip(NEXT) | instid1(VALU_DEP_1)
	v_fma_mix_f32 v4, v98, v5, v4 op_sel_hi:[1,1,0]
	v_fma_mix_f32 v4, v99, v5, v4 op_sel:[0,1,0] op_sel_hi:[1,1,0]
	s_delay_alu instid0(VALU_DEP_1) | instskip(NEXT) | instid1(VALU_DEP_1)
	v_fma_mix_f32 v4, v100, v6, v4 op_sel_hi:[1,1,0]
	;; [unrolled: 3-line block ×3, first 2 shown]
	v_fma_mix_f32 v4, v103, v7, v4 op_sel:[0,1,0] op_sel_hi:[1,1,0]
	s_delay_alu instid0(VALU_DEP_1) | instskip(NEXT) | instid1(VALU_DEP_1)
	v_fma_mixlo_f16 v4, v4, v22, 0 op_sel_hi:[0,1,0]
	v_add_f16_e32 v53, v85, v4
	ds_load_b128 v[4:7], v25 offset:1312
	s_waitcnt lgkmcnt(0)
	v_fma_mix_f32 v70, v68, v4, 0 op_sel_hi:[1,1,0]
	v_fma_mix_f32 v48, v10, v4, 0 op_sel_hi:[1,1,0]
	;; [unrolled: 1-line block ×3, first 2 shown]
	s_delay_alu instid0(VALU_DEP_3) | instskip(NEXT) | instid1(VALU_DEP_3)
	v_fma_mix_f32 v70, v69, v4, v70 op_sel:[0,1,0] op_sel_hi:[1,1,0]
	v_fma_mix_f32 v48, v11, v4, v48 op_sel:[0,1,0] op_sel_hi:[1,1,0]
	s_delay_alu instid0(VALU_DEP_3) | instskip(NEXT) | instid1(VALU_DEP_3)
	v_fma_mix_f32 v49, v61, v4, v49 op_sel:[0,1,0] op_sel_hi:[1,1,0]
	v_fma_mix_f32 v70, v90, v5, v70 op_sel_hi:[1,1,0]
	s_delay_alu instid0(VALU_DEP_3) | instskip(NEXT) | instid1(VALU_DEP_3)
	v_fma_mix_f32 v48, v16, v5, v48 op_sel_hi:[1,1,0]
	v_fma_mix_f32 v49, v62, v5, v49 op_sel_hi:[1,1,0]
	s_delay_alu instid0(VALU_DEP_3) | instskip(NEXT) | instid1(VALU_DEP_3)
	v_fma_mix_f32 v70, v91, v5, v70 op_sel:[0,1,0] op_sel_hi:[1,1,0]
	v_fma_mix_f32 v48, v17, v5, v48 op_sel:[0,1,0] op_sel_hi:[1,1,0]
	s_delay_alu instid0(VALU_DEP_3) | instskip(NEXT) | instid1(VALU_DEP_3)
	v_fma_mix_f32 v49, v63, v5, v49 op_sel:[0,1,0] op_sel_hi:[1,1,0]
	v_fma_mix_f32 v70, v92, v6, v70 op_sel_hi:[1,1,0]
	s_delay_alu instid0(VALU_DEP_3) | instskip(NEXT) | instid1(VALU_DEP_3)
	v_fma_mix_f32 v48, v56, v6, v48 op_sel_hi:[1,1,0]
	v_fma_mix_f32 v49, v64, v6, v49 op_sel_hi:[1,1,0]
	;; [unrolled: 9-line block ×3, first 2 shown]
	s_delay_alu instid0(VALU_DEP_3) | instskip(NEXT) | instid1(VALU_DEP_3)
	v_fma_mix_f32 v70, v95, v7, v70 op_sel:[0,1,0] op_sel_hi:[1,1,0]
	v_fma_mix_f32 v48, v59, v7, v48 op_sel:[0,1,0] op_sel_hi:[1,1,0]
	s_delay_alu instid0(VALU_DEP_3) | instskip(NEXT) | instid1(VALU_DEP_3)
	v_fma_mix_f32 v49, v67, v7, v49 op_sel:[0,1,0] op_sel_hi:[1,1,0]
	v_fma_mixlo_f16 v70, v70, v15, 0 op_sel_hi:[0,1,0]
	s_delay_alu instid0(VALU_DEP_3) | instskip(NEXT) | instid1(VALU_DEP_3)
	v_fma_mixlo_f16 v48, v48, v14, 0 op_sel_hi:[0,1,0]
	v_fma_mixlo_f16 v49, v49, v19, 0 op_sel_hi:[0,1,0]
	s_delay_alu instid0(VALU_DEP_3) | instskip(SKIP_1) | instid1(VALU_DEP_4)
	v_add_f16_e32 v78, v88, v70
	v_fma_mix_f32 v70, v96, v4, 0 op_sel_hi:[1,1,0]
	v_add_f16_e32 v48, v86, v48
	s_delay_alu instid0(VALU_DEP_4) | instskip(NEXT) | instid1(VALU_DEP_3)
	v_add_f16_e32 v49, v87, v49
	v_fma_mix_f32 v4, v97, v4, v70 op_sel:[0,1,0] op_sel_hi:[1,1,0]
	ds_load_b128 v[70:73], v25 offset:1568
	v_fma_mix_f32 v4, v98, v5, v4 op_sel_hi:[1,1,0]
	s_delay_alu instid0(VALU_DEP_1) | instskip(NEXT) | instid1(VALU_DEP_1)
	v_fma_mix_f32 v4, v99, v5, v4 op_sel:[0,1,0] op_sel_hi:[1,1,0]
	v_fma_mix_f32 v4, v100, v6, v4 op_sel_hi:[1,1,0]
	s_delay_alu instid0(VALU_DEP_1) | instskip(NEXT) | instid1(VALU_DEP_1)
	v_fma_mix_f32 v4, v101, v6, v4 op_sel:[0,1,0] op_sel_hi:[1,1,0]
	;; [unrolled: 3-line block ×3, first 2 shown]
	v_fma_mixlo_f16 v4, v4, v22, 0 op_sel_hi:[0,1,0]
	s_delay_alu instid0(VALU_DEP_1) | instskip(SKIP_2) | instid1(VALU_DEP_1)
	v_add_f16_e32 v79, v89, v4
	s_waitcnt lgkmcnt(0)
	v_fma_mix_f32 v4, v10, v70, 0 op_sel_hi:[1,1,0]
	v_fma_mix_f32 v4, v11, v70, v4 op_sel:[0,1,0] op_sel_hi:[1,1,0]
	s_delay_alu instid0(VALU_DEP_1) | instskip(NEXT) | instid1(VALU_DEP_1)
	v_fma_mix_f32 v4, v16, v71, v4 op_sel_hi:[1,1,0]
	v_fma_mix_f32 v4, v17, v71, v4 op_sel:[0,1,0] op_sel_hi:[1,1,0]
	s_delay_alu instid0(VALU_DEP_1) | instskip(NEXT) | instid1(VALU_DEP_1)
	;; [unrolled: 3-line block ×4, first 2 shown]
	v_fma_mixlo_f16 v4, v4, v14, 0 op_sel_hi:[0,1,0]
	v_add_f16_e32 v11, v38, v4
	v_fma_mix_f32 v4, v60, v70, 0 op_sel_hi:[1,1,0]
	s_delay_alu instid0(VALU_DEP_1) | instskip(NEXT) | instid1(VALU_DEP_1)
	v_fma_mix_f32 v4, v61, v70, v4 op_sel:[0,1,0] op_sel_hi:[1,1,0]
	v_fma_mix_f32 v4, v62, v71, v4 op_sel_hi:[1,1,0]
	s_delay_alu instid0(VALU_DEP_1) | instskip(NEXT) | instid1(VALU_DEP_1)
	v_fma_mix_f32 v4, v63, v71, v4 op_sel:[0,1,0] op_sel_hi:[1,1,0]
	;; [unrolled: 3-line block ×4, first 2 shown]
	v_fma_mixlo_f16 v4, v4, v19, 0 op_sel_hi:[0,1,0]
	s_delay_alu instid0(VALU_DEP_1) | instskip(SKIP_1) | instid1(VALU_DEP_1)
	v_add_f16_e32 v10, v39, v4
	v_fma_mix_f32 v4, v68, v70, 0 op_sel_hi:[1,1,0]
	v_fma_mix_f32 v4, v69, v70, v4 op_sel:[0,1,0] op_sel_hi:[1,1,0]
	s_delay_alu instid0(VALU_DEP_1) | instskip(NEXT) | instid1(VALU_DEP_1)
	v_fma_mix_f32 v4, v90, v71, v4 op_sel_hi:[1,1,0]
	v_fma_mix_f32 v4, v91, v71, v4 op_sel:[0,1,0] op_sel_hi:[1,1,0]
	s_delay_alu instid0(VALU_DEP_1) | instskip(NEXT) | instid1(VALU_DEP_1)
	v_fma_mix_f32 v4, v92, v72, v4 op_sel_hi:[1,1,0]
	v_fma_mix_f32 v4, v93, v72, v4 op_sel:[0,1,0] op_sel_hi:[1,1,0]
	s_delay_alu instid0(VALU_DEP_1) | instskip(NEXT) | instid1(VALU_DEP_1)
	v_fma_mix_f32 v4, v94, v73, v4 op_sel_hi:[1,1,0]
	v_fma_mix_f32 v4, v95, v73, v4 op_sel:[0,1,0] op_sel_hi:[1,1,0]
	s_delay_alu instid0(VALU_DEP_1) | instskip(NEXT) | instid1(VALU_DEP_1)
	v_fma_mixlo_f16 v4, v4, v15, 0 op_sel_hi:[0,1,0]
	v_add_f16_e32 v7, v54, v4
	v_fma_mix_f32 v4, v96, v70, 0 op_sel_hi:[1,1,0]
	s_delay_alu instid0(VALU_DEP_1) | instskip(NEXT) | instid1(VALU_DEP_1)
	v_fma_mix_f32 v4, v97, v70, v4 op_sel:[0,1,0] op_sel_hi:[1,1,0]
	v_fma_mix_f32 v4, v98, v71, v4 op_sel_hi:[1,1,0]
	s_delay_alu instid0(VALU_DEP_1) | instskip(NEXT) | instid1(VALU_DEP_1)
	v_fma_mix_f32 v4, v99, v71, v4 op_sel:[0,1,0] op_sel_hi:[1,1,0]
	;; [unrolled: 3-line block ×4, first 2 shown]
	v_fma_mixlo_f16 v4, v4, v22, 0 op_sel_hi:[0,1,0]
	s_delay_alu instid0(VALU_DEP_1)
	v_add_f16_e32 v6, v55, v4
	v_add_co_u32 v4, vcc_lo, v8, s0
	v_add_co_ci_u32_e32 v5, vcc_lo, s1, v9, vcc_lo
	global_load_b128 v[66:69], v[4:5], off
	v_add_co_u32 v4, vcc_lo, v4, s0
	v_add_co_ci_u32_e32 v5, vcc_lo, s1, v5, vcc_lo
	global_load_b128 v[80:83], v[4:5], off
	s_waitcnt vmcnt(1)
	v_and_b32_e32 v8, 0xff, v66
	v_bfe_u32 v9, v66, 8, 8
	v_bfe_u32 v16, v66, 16, 8
	v_lshrrev_b32_e32 v17, 24, v66
	s_delay_alu instid0(VALU_DEP_4) | instskip(NEXT) | instid1(VALU_DEP_4)
	v_sub_nc_u32_e32 v8, v8, v29
	v_sub_nc_u32_e32 v9, v9, v29
	s_delay_alu instid0(VALU_DEP_4)
	v_sub_nc_u32_e32 v16, v16, v29
	s_waitcnt vmcnt(0)
	v_and_b32_e32 v38, 0xff, v80
	v_sub_nc_u32_e32 v17, v17, v29
	v_cvt_f32_i32_e32 v8, v8
	v_cvt_f32_i32_e32 v9, v9
	;; [unrolled: 1-line block ×3, first 2 shown]
	v_sub_nc_u32_e32 v38, v38, v29
	v_cvt_f32_i32_e32 v17, v17
	v_cvt_f16_f32_e32 v8, v8
	v_cvt_f16_f32_e32 v9, v9
	;; [unrolled: 1-line block ×3, first 2 shown]
	v_cvt_f32_i32_e32 v38, v38
	v_cvt_f16_f32_e32 v17, v17
	s_delay_alu instid0(VALU_DEP_2) | instskip(SKIP_1) | instid1(VALU_DEP_1)
	v_cvt_f16_f32_e32 v54, v38
	v_bfe_u32 v38, v80, 8, 8
	v_sub_nc_u32_e32 v38, v38, v29
	s_delay_alu instid0(VALU_DEP_1) | instskip(NEXT) | instid1(VALU_DEP_1)
	v_cvt_f32_i32_e32 v38, v38
	v_cvt_f16_f32_e32 v55, v38
	v_bfe_u32 v38, v80, 16, 8
	s_delay_alu instid0(VALU_DEP_1) | instskip(NEXT) | instid1(VALU_DEP_1)
	v_sub_nc_u32_e32 v38, v38, v29
	v_cvt_f32_i32_e32 v38, v38
	s_delay_alu instid0(VALU_DEP_1) | instskip(SKIP_1) | instid1(VALU_DEP_1)
	v_cvt_f16_f32_e32 v57, v38
	v_lshrrev_b32_e32 v38, 24, v80
	v_sub_nc_u32_e32 v29, v38, v29
	v_bfe_u32 v38, v67, 8, 8
	s_delay_alu instid0(VALU_DEP_2) | instskip(NEXT) | instid1(VALU_DEP_2)
	v_cvt_f32_i32_e32 v29, v29
	v_sub_nc_u32_e32 v38, v38, v28
	s_delay_alu instid0(VALU_DEP_2) | instskip(NEXT) | instid1(VALU_DEP_2)
	v_cvt_f16_f32_e32 v59, v29
	v_cvt_f32_i32_e32 v38, v38
	v_and_b32_e32 v29, 0xff, v67
	s_delay_alu instid0(VALU_DEP_2) | instskip(SKIP_1) | instid1(VALU_DEP_3)
	v_cvt_f16_f32_e32 v56, v38
	v_bfe_u32 v38, v67, 16, 8
	v_sub_nc_u32_e32 v29, v29, v28
	s_delay_alu instid0(VALU_DEP_2) | instskip(NEXT) | instid1(VALU_DEP_2)
	v_sub_nc_u32_e32 v38, v38, v28
	v_cvt_f32_i32_e32 v29, v29
	s_delay_alu instid0(VALU_DEP_2) | instskip(NEXT) | instid1(VALU_DEP_2)
	v_cvt_f32_i32_e32 v38, v38
	v_cvt_f16_f32_e32 v29, v29
	s_delay_alu instid0(VALU_DEP_2) | instskip(SKIP_1) | instid1(VALU_DEP_1)
	v_cvt_f16_f32_e32 v58, v38
	v_lshrrev_b32_e32 v38, 24, v67
	v_sub_nc_u32_e32 v38, v38, v28
	s_delay_alu instid0(VALU_DEP_1) | instskip(NEXT) | instid1(VALU_DEP_1)
	v_cvt_f32_i32_e32 v38, v38
	v_cvt_f16_f32_e32 v60, v38
	v_and_b32_e32 v38, 0xff, v81
	s_delay_alu instid0(VALU_DEP_1) | instskip(NEXT) | instid1(VALU_DEP_1)
	v_sub_nc_u32_e32 v38, v38, v28
	v_cvt_f32_i32_e32 v38, v38
	s_delay_alu instid0(VALU_DEP_1) | instskip(SKIP_1) | instid1(VALU_DEP_1)
	v_cvt_f16_f32_e32 v61, v38
	v_bfe_u32 v38, v81, 8, 8
	v_sub_nc_u32_e32 v38, v38, v28
	s_delay_alu instid0(VALU_DEP_1) | instskip(NEXT) | instid1(VALU_DEP_1)
	v_cvt_f32_i32_e32 v38, v38
	v_cvt_f16_f32_e32 v62, v38
	v_bfe_u32 v38, v81, 16, 8
	s_delay_alu instid0(VALU_DEP_1) | instskip(NEXT) | instid1(VALU_DEP_1)
	v_sub_nc_u32_e32 v38, v38, v28
	v_cvt_f32_i32_e32 v38, v38
	s_delay_alu instid0(VALU_DEP_1) | instskip(SKIP_1) | instid1(VALU_DEP_1)
	v_cvt_f16_f32_e32 v64, v38
	v_lshrrev_b32_e32 v38, 24, v81
	v_sub_nc_u32_e32 v28, v38, v28
	v_bfe_u32 v38, v68, 8, 8
	s_delay_alu instid0(VALU_DEP_2) | instskip(NEXT) | instid1(VALU_DEP_2)
	v_cvt_f32_i32_e32 v28, v28
	v_sub_nc_u32_e32 v38, v38, v27
	s_delay_alu instid0(VALU_DEP_2) | instskip(NEXT) | instid1(VALU_DEP_2)
	v_cvt_f16_f32_e32 v66, v28
	v_cvt_f32_i32_e32 v38, v38
	v_and_b32_e32 v28, 0xff, v68
	s_delay_alu instid0(VALU_DEP_2) | instskip(SKIP_1) | instid1(VALU_DEP_3)
	v_cvt_f16_f32_e32 v63, v38
	v_bfe_u32 v38, v68, 16, 8
	v_sub_nc_u32_e32 v28, v28, v27
	s_delay_alu instid0(VALU_DEP_2) | instskip(NEXT) | instid1(VALU_DEP_2)
	v_sub_nc_u32_e32 v38, v38, v27
	v_cvt_f32_i32_e32 v28, v28
	s_delay_alu instid0(VALU_DEP_2) | instskip(NEXT) | instid1(VALU_DEP_2)
	v_cvt_f32_i32_e32 v38, v38
	v_cvt_f16_f32_e32 v28, v28
	s_delay_alu instid0(VALU_DEP_2) | instskip(SKIP_1) | instid1(VALU_DEP_1)
	v_cvt_f16_f32_e32 v65, v38
	v_lshrrev_b32_e32 v38, 24, v68
	v_sub_nc_u32_e32 v38, v38, v27
	s_delay_alu instid0(VALU_DEP_1) | instskip(NEXT) | instid1(VALU_DEP_1)
	v_cvt_f32_i32_e32 v38, v38
	v_cvt_f16_f32_e32 v68, v38
	v_and_b32_e32 v38, 0xff, v82
	s_delay_alu instid0(VALU_DEP_1) | instskip(NEXT) | instid1(VALU_DEP_1)
	v_sub_nc_u32_e32 v38, v38, v27
	v_cvt_f32_i32_e32 v38, v38
	s_delay_alu instid0(VALU_DEP_1) | instskip(SKIP_1) | instid1(VALU_DEP_1)
	v_cvt_f16_f32_e32 v72, v38
	v_bfe_u32 v38, v82, 8, 8
	v_sub_nc_u32_e32 v38, v38, v27
	s_delay_alu instid0(VALU_DEP_1) | instskip(NEXT) | instid1(VALU_DEP_1)
	v_cvt_f32_i32_e32 v38, v38
	v_cvt_f16_f32_e32 v75, v38
	v_bfe_u32 v38, v82, 16, 8
	s_delay_alu instid0(VALU_DEP_1) | instskip(NEXT) | instid1(VALU_DEP_1)
	v_sub_nc_u32_e32 v38, v38, v27
	v_cvt_f32_i32_e32 v38, v38
	s_delay_alu instid0(VALU_DEP_1) | instskip(SKIP_1) | instid1(VALU_DEP_1)
	v_cvt_f16_f32_e32 v76, v38
	v_lshrrev_b32_e32 v38, 24, v82
	v_sub_nc_u32_e32 v27, v38, v27
	v_lshrrev_b32_e32 v38, 24, v83
	s_delay_alu instid0(VALU_DEP_2) | instskip(NEXT) | instid1(VALU_DEP_1)
	v_cvt_f32_i32_e32 v27, v27
	v_cvt_f16_f32_e32 v77, v27
	v_and_b32_e32 v27, 0xff, v69
	s_delay_alu instid0(VALU_DEP_1) | instskip(NEXT) | instid1(VALU_DEP_1)
	v_sub_nc_u32_e32 v27, v27, v26
	v_cvt_f32_i32_e32 v27, v27
	s_delay_alu instid0(VALU_DEP_1) | instskip(SKIP_1) | instid1(VALU_DEP_1)
	v_cvt_f16_f32_e32 v74, v27
	v_bfe_u32 v27, v69, 8, 8
	v_sub_nc_u32_e32 v27, v27, v26
	s_delay_alu instid0(VALU_DEP_1) | instskip(NEXT) | instid1(VALU_DEP_1)
	v_cvt_f32_i32_e32 v27, v27
	v_cvt_f16_f32_e32 v73, v27
	v_bfe_u32 v27, v69, 16, 8
	s_delay_alu instid0(VALU_DEP_1) | instskip(NEXT) | instid1(VALU_DEP_1)
	v_sub_nc_u32_e32 v27, v27, v26
	v_cvt_f32_i32_e32 v27, v27
	s_delay_alu instid0(VALU_DEP_1) | instskip(SKIP_1) | instid1(VALU_DEP_1)
	v_cvt_f16_f32_e32 v71, v27
	v_lshrrev_b32_e32 v27, 24, v69
	v_sub_nc_u32_e32 v27, v27, v26
	s_delay_alu instid0(VALU_DEP_1) | instskip(NEXT) | instid1(VALU_DEP_1)
	v_cvt_f32_i32_e32 v27, v27
	v_cvt_f16_f32_e32 v70, v27
	v_and_b32_e32 v27, 0xff, v83
	s_delay_alu instid0(VALU_DEP_1) | instskip(NEXT) | instid1(VALU_DEP_1)
	v_sub_nc_u32_e32 v27, v27, v26
	v_cvt_f32_i32_e32 v27, v27
	s_delay_alu instid0(VALU_DEP_1) | instskip(SKIP_1) | instid1(VALU_DEP_1)
	v_cvt_f16_f32_e32 v69, v27
	v_bfe_u32 v27, v83, 8, 8
	v_sub_nc_u32_e32 v27, v27, v26
	s_delay_alu instid0(VALU_DEP_1) | instskip(NEXT) | instid1(VALU_DEP_1)
	v_cvt_f32_i32_e32 v27, v27
	v_cvt_f16_f32_e32 v67, v27
	v_bfe_u32 v27, v83, 16, 8
	s_delay_alu instid0(VALU_DEP_1) | instskip(SKIP_2) | instid1(VALU_DEP_3)
	v_sub_nc_u32_e32 v27, v27, v26
	v_sub_nc_u32_e32 v26, v38, v26
	v_fma_mix_f32 v38, v8, v0, 0 op_sel_hi:[1,1,0]
	v_cvt_f32_i32_e32 v27, v27
	s_delay_alu instid0(VALU_DEP_3) | instskip(NEXT) | instid1(VALU_DEP_3)
	v_cvt_f32_i32_e32 v26, v26
	v_fma_mix_f32 v38, v9, v0, v38 op_sel:[0,1,0] op_sel_hi:[1,1,0]
	s_delay_alu instid0(VALU_DEP_3) | instskip(NEXT) | instid1(VALU_DEP_3)
	v_cvt_f16_f32_e32 v27, v27
	v_cvt_f16_f32_e32 v26, v26
	s_delay_alu instid0(VALU_DEP_3) | instskip(NEXT) | instid1(VALU_DEP_1)
	v_fma_mix_f32 v38, v16, v1, v38 op_sel_hi:[1,1,0]
	v_fma_mix_f32 v38, v17, v1, v38 op_sel:[0,1,0] op_sel_hi:[1,1,0]
	s_delay_alu instid0(VALU_DEP_1) | instskip(NEXT) | instid1(VALU_DEP_1)
	v_fma_mix_f32 v38, v54, v2, v38 op_sel_hi:[1,1,0]
	v_fma_mix_f32 v38, v55, v2, v38 op_sel:[0,1,0] op_sel_hi:[1,1,0]
	s_delay_alu instid0(VALU_DEP_1) | instskip(NEXT) | instid1(VALU_DEP_1)
	v_fma_mix_f32 v38, v57, v3, v38 op_sel_hi:[1,1,0]
	v_fma_mix_f32 v38, v59, v3, v38 op_sel:[0,1,0] op_sel_hi:[1,1,0]
	s_delay_alu instid0(VALU_DEP_1) | instskip(NEXT) | instid1(VALU_DEP_1)
	v_fma_mixlo_f16 v38, v38, v14, 0 op_sel_hi:[0,1,0]
	v_add_f16_e32 v33, v33, v38
	v_fma_mix_f32 v38, v29, v0, 0 op_sel_hi:[1,1,0]
	s_delay_alu instid0(VALU_DEP_1) | instskip(NEXT) | instid1(VALU_DEP_1)
	v_fma_mix_f32 v38, v56, v0, v38 op_sel:[0,1,0] op_sel_hi:[1,1,0]
	v_fma_mix_f32 v38, v58, v1, v38 op_sel_hi:[1,1,0]
	s_delay_alu instid0(VALU_DEP_1) | instskip(NEXT) | instid1(VALU_DEP_1)
	v_fma_mix_f32 v38, v60, v1, v38 op_sel:[0,1,0] op_sel_hi:[1,1,0]
	v_fma_mix_f32 v38, v61, v2, v38 op_sel_hi:[1,1,0]
	s_delay_alu instid0(VALU_DEP_1) | instskip(NEXT) | instid1(VALU_DEP_1)
	v_fma_mix_f32 v38, v62, v2, v38 op_sel:[0,1,0] op_sel_hi:[1,1,0]
	v_fma_mix_f32 v38, v64, v3, v38 op_sel_hi:[1,1,0]
	s_delay_alu instid0(VALU_DEP_1) | instskip(NEXT) | instid1(VALU_DEP_1)
	v_fma_mix_f32 v38, v66, v3, v38 op_sel:[0,1,0] op_sel_hi:[1,1,0]
	v_fma_mixlo_f16 v38, v38, v19, 0 op_sel_hi:[0,1,0]
	s_delay_alu instid0(VALU_DEP_1) | instskip(SKIP_1) | instid1(VALU_DEP_1)
	v_add_f16_e32 v32, v32, v38
	v_fma_mix_f32 v38, v28, v0, 0 op_sel_hi:[1,1,0]
	v_fma_mix_f32 v38, v63, v0, v38 op_sel:[0,1,0] op_sel_hi:[1,1,0]
	s_delay_alu instid0(VALU_DEP_1) | instskip(NEXT) | instid1(VALU_DEP_1)
	v_fma_mix_f32 v38, v65, v1, v38 op_sel_hi:[1,1,0]
	v_fma_mix_f32 v38, v68, v1, v38 op_sel:[0,1,0] op_sel_hi:[1,1,0]
	s_delay_alu instid0(VALU_DEP_1) | instskip(NEXT) | instid1(VALU_DEP_1)
	v_fma_mix_f32 v38, v72, v2, v38 op_sel_hi:[1,1,0]
	v_fma_mix_f32 v38, v75, v2, v38 op_sel:[0,1,0] op_sel_hi:[1,1,0]
	s_delay_alu instid0(VALU_DEP_1) | instskip(NEXT) | instid1(VALU_DEP_1)
	v_fma_mix_f32 v38, v76, v3, v38 op_sel_hi:[1,1,0]
	v_fma_mix_f32 v38, v77, v3, v38 op_sel:[0,1,0] op_sel_hi:[1,1,0]
	s_delay_alu instid0(VALU_DEP_1) | instskip(NEXT) | instid1(VALU_DEP_1)
	v_fma_mixlo_f16 v38, v38, v15, 0 op_sel_hi:[0,1,0]
	v_add_f16_e32 v31, v31, v38
	v_fma_mix_f32 v38, v74, v0, 0 op_sel_hi:[1,1,0]
	s_delay_alu instid0(VALU_DEP_1) | instskip(NEXT) | instid1(VALU_DEP_1)
	v_fma_mix_f32 v0, v73, v0, v38 op_sel:[0,1,0] op_sel_hi:[1,1,0]
	v_fma_mix_f32 v0, v71, v1, v0 op_sel_hi:[1,1,0]
	s_delay_alu instid0(VALU_DEP_1) | instskip(NEXT) | instid1(VALU_DEP_1)
	v_fma_mix_f32 v0, v70, v1, v0 op_sel:[0,1,0] op_sel_hi:[1,1,0]
	v_fma_mix_f32 v0, v69, v2, v0 op_sel_hi:[1,1,0]
	s_delay_alu instid0(VALU_DEP_1) | instskip(NEXT) | instid1(VALU_DEP_1)
	v_fma_mix_f32 v0, v67, v2, v0 op_sel:[0,1,0] op_sel_hi:[1,1,0]
	v_fma_mix_f32 v0, v27, v3, v0 op_sel_hi:[1,1,0]
	s_delay_alu instid0(VALU_DEP_1) | instskip(NEXT) | instid1(VALU_DEP_1)
	v_fma_mix_f32 v0, v26, v3, v0 op_sel:[0,1,0] op_sel_hi:[1,1,0]
	v_fma_mixlo_f16 v0, v0, v22, 0 op_sel_hi:[0,1,0]
	s_delay_alu instid0(VALU_DEP_1) | instskip(SKIP_3) | instid1(VALU_DEP_1)
	v_add_f16_e32 v30, v30, v0
	ds_load_b128 v[0:3], v25 offset:304
	s_waitcnt lgkmcnt(0)
	v_fma_mix_f32 v38, v8, v0, 0 op_sel_hi:[1,1,0]
	v_fma_mix_f32 v38, v9, v0, v38 op_sel:[0,1,0] op_sel_hi:[1,1,0]
	s_delay_alu instid0(VALU_DEP_1) | instskip(NEXT) | instid1(VALU_DEP_1)
	v_fma_mix_f32 v38, v16, v1, v38 op_sel_hi:[1,1,0]
	v_fma_mix_f32 v38, v17, v1, v38 op_sel:[0,1,0] op_sel_hi:[1,1,0]
	s_delay_alu instid0(VALU_DEP_1) | instskip(NEXT) | instid1(VALU_DEP_1)
	v_fma_mix_f32 v38, v54, v2, v38 op_sel_hi:[1,1,0]
	v_fma_mix_f32 v38, v55, v2, v38 op_sel:[0,1,0] op_sel_hi:[1,1,0]
	s_delay_alu instid0(VALU_DEP_1) | instskip(NEXT) | instid1(VALU_DEP_1)
	v_fma_mix_f32 v38, v57, v3, v38 op_sel_hi:[1,1,0]
	v_fma_mix_f32 v38, v59, v3, v38 op_sel:[0,1,0] op_sel_hi:[1,1,0]
	s_delay_alu instid0(VALU_DEP_1) | instskip(NEXT) | instid1(VALU_DEP_1)
	v_fma_mixlo_f16 v38, v38, v14, 0 op_sel_hi:[0,1,0]
	v_add_f16_e32 v39, v34, v38
	v_fma_mix_f32 v34, v29, v0, 0 op_sel_hi:[1,1,0]
	s_delay_alu instid0(VALU_DEP_1) | instskip(NEXT) | instid1(VALU_DEP_1)
	v_fma_mix_f32 v34, v56, v0, v34 op_sel:[0,1,0] op_sel_hi:[1,1,0]
	v_fma_mix_f32 v34, v58, v1, v34 op_sel_hi:[1,1,0]
	s_delay_alu instid0(VALU_DEP_1) | instskip(NEXT) | instid1(VALU_DEP_1)
	v_fma_mix_f32 v34, v60, v1, v34 op_sel:[0,1,0] op_sel_hi:[1,1,0]
	v_fma_mix_f32 v34, v61, v2, v34 op_sel_hi:[1,1,0]
	s_delay_alu instid0(VALU_DEP_1) | instskip(NEXT) | instid1(VALU_DEP_1)
	v_fma_mix_f32 v34, v62, v2, v34 op_sel:[0,1,0] op_sel_hi:[1,1,0]
	v_fma_mix_f32 v34, v64, v3, v34 op_sel_hi:[1,1,0]
	s_delay_alu instid0(VALU_DEP_1) | instskip(NEXT) | instid1(VALU_DEP_1)
	v_fma_mix_f32 v34, v66, v3, v34 op_sel:[0,1,0] op_sel_hi:[1,1,0]
	v_fma_mixlo_f16 v34, v34, v19, 0 op_sel_hi:[0,1,0]
	s_delay_alu instid0(VALU_DEP_1) | instskip(SKIP_1) | instid1(VALU_DEP_1)
	v_add_f16_e32 v38, v35, v34
	v_fma_mix_f32 v34, v28, v0, 0 op_sel_hi:[1,1,0]
	v_fma_mix_f32 v34, v63, v0, v34 op_sel:[0,1,0] op_sel_hi:[1,1,0]
	s_delay_alu instid0(VALU_DEP_1) | instskip(NEXT) | instid1(VALU_DEP_1)
	v_fma_mix_f32 v34, v65, v1, v34 op_sel_hi:[1,1,0]
	v_fma_mix_f32 v34, v68, v1, v34 op_sel:[0,1,0] op_sel_hi:[1,1,0]
	s_delay_alu instid0(VALU_DEP_1) | instskip(NEXT) | instid1(VALU_DEP_1)
	v_fma_mix_f32 v34, v72, v2, v34 op_sel_hi:[1,1,0]
	v_fma_mix_f32 v34, v75, v2, v34 op_sel:[0,1,0] op_sel_hi:[1,1,0]
	s_delay_alu instid0(VALU_DEP_1) | instskip(NEXT) | instid1(VALU_DEP_1)
	v_fma_mix_f32 v34, v76, v3, v34 op_sel_hi:[1,1,0]
	v_fma_mix_f32 v34, v77, v3, v34 op_sel:[0,1,0] op_sel_hi:[1,1,0]
	s_delay_alu instid0(VALU_DEP_1) | instskip(NEXT) | instid1(VALU_DEP_1)
	v_fma_mixlo_f16 v34, v34, v15, 0 op_sel_hi:[0,1,0]
	v_add_f16_e32 v35, v42, v34
	v_fma_mix_f32 v34, v74, v0, 0 op_sel_hi:[1,1,0]
	s_delay_alu instid0(VALU_DEP_1) | instskip(NEXT) | instid1(VALU_DEP_1)
	v_fma_mix_f32 v0, v73, v0, v34 op_sel:[0,1,0] op_sel_hi:[1,1,0]
	v_fma_mix_f32 v0, v71, v1, v0 op_sel_hi:[1,1,0]
	s_delay_alu instid0(VALU_DEP_1) | instskip(NEXT) | instid1(VALU_DEP_1)
	v_fma_mix_f32 v0, v70, v1, v0 op_sel:[0,1,0] op_sel_hi:[1,1,0]
	v_fma_mix_f32 v0, v69, v2, v0 op_sel_hi:[1,1,0]
	s_delay_alu instid0(VALU_DEP_1) | instskip(NEXT) | instid1(VALU_DEP_1)
	v_fma_mix_f32 v0, v67, v2, v0 op_sel:[0,1,0] op_sel_hi:[1,1,0]
	v_fma_mix_f32 v0, v27, v3, v0 op_sel_hi:[1,1,0]
	s_delay_alu instid0(VALU_DEP_1) | instskip(NEXT) | instid1(VALU_DEP_1)
	v_fma_mix_f32 v0, v26, v3, v0 op_sel:[0,1,0] op_sel_hi:[1,1,0]
	v_fma_mixlo_f16 v0, v0, v22, 0 op_sel_hi:[0,1,0]
	s_delay_alu instid0(VALU_DEP_1) | instskip(SKIP_3) | instid1(VALU_DEP_1)
	v_add_f16_e32 v34, v43, v0
	ds_load_b128 v[0:3], v25 offset:560
	s_waitcnt lgkmcnt(0)
	v_fma_mix_f32 v42, v8, v0, 0 op_sel_hi:[1,1,0]
	v_fma_mix_f32 v42, v9, v0, v42 op_sel:[0,1,0] op_sel_hi:[1,1,0]
	s_delay_alu instid0(VALU_DEP_1) | instskip(NEXT) | instid1(VALU_DEP_1)
	;; [unrolled: 60-line block ×6, first 2 shown]
	v_fma_mix_f32 v8, v16, v1, v8 op_sel_hi:[1,1,0]
	v_fma_mix_f32 v8, v17, v1, v8 op_sel:[0,1,0] op_sel_hi:[1,1,0]
	s_delay_alu instid0(VALU_DEP_1) | instskip(NEXT) | instid1(VALU_DEP_1)
	v_fma_mix_f32 v8, v54, v2, v8 op_sel_hi:[1,1,0]
	v_fma_mix_f32 v8, v55, v2, v8 op_sel:[0,1,0] op_sel_hi:[1,1,0]
	s_delay_alu instid0(VALU_DEP_1) | instskip(NEXT) | instid1(VALU_DEP_1)
	;; [unrolled: 3-line block ×3, first 2 shown]
	v_fma_mixlo_f16 v8, v8, v14, 0 op_sel_hi:[0,1,0]
	v_add_f16_e32 v55, v11, v8
	v_fma_mix_f32 v8, v29, v0, 0 op_sel_hi:[1,1,0]
	s_delay_alu instid0(VALU_DEP_1) | instskip(NEXT) | instid1(VALU_DEP_1)
	v_fma_mix_f32 v8, v56, v0, v8 op_sel:[0,1,0] op_sel_hi:[1,1,0]
	v_fma_mix_f32 v8, v58, v1, v8 op_sel_hi:[1,1,0]
	s_delay_alu instid0(VALU_DEP_1) | instskip(NEXT) | instid1(VALU_DEP_1)
	v_fma_mix_f32 v8, v60, v1, v8 op_sel:[0,1,0] op_sel_hi:[1,1,0]
	;; [unrolled: 3-line block ×4, first 2 shown]
	v_fma_mixlo_f16 v8, v8, v19, 0 op_sel_hi:[0,1,0]
	s_delay_alu instid0(VALU_DEP_1) | instskip(SKIP_1) | instid1(VALU_DEP_1)
	v_add_f16_e32 v56, v10, v8
	v_fma_mix_f32 v8, v28, v0, 0 op_sel_hi:[1,1,0]
	v_fma_mix_f32 v8, v63, v0, v8 op_sel:[0,1,0] op_sel_hi:[1,1,0]
	s_delay_alu instid0(VALU_DEP_1) | instskip(NEXT) | instid1(VALU_DEP_1)
	v_fma_mix_f32 v8, v65, v1, v8 op_sel_hi:[1,1,0]
	v_fma_mix_f32 v8, v68, v1, v8 op_sel:[0,1,0] op_sel_hi:[1,1,0]
	s_delay_alu instid0(VALU_DEP_1) | instskip(NEXT) | instid1(VALU_DEP_1)
	v_fma_mix_f32 v8, v72, v2, v8 op_sel_hi:[1,1,0]
	v_fma_mix_f32 v8, v75, v2, v8 op_sel:[0,1,0] op_sel_hi:[1,1,0]
	s_delay_alu instid0(VALU_DEP_1) | instskip(NEXT) | instid1(VALU_DEP_1)
	v_fma_mix_f32 v8, v76, v3, v8 op_sel_hi:[1,1,0]
	v_fma_mix_f32 v8, v77, v3, v8 op_sel:[0,1,0] op_sel_hi:[1,1,0]
	s_delay_alu instid0(VALU_DEP_1) | instskip(NEXT) | instid1(VALU_DEP_1)
	v_fma_mixlo_f16 v8, v8, v15, 0 op_sel_hi:[0,1,0]
	v_add_f16_e32 v54, v7, v8
	v_fma_mix_f32 v7, v74, v0, 0 op_sel_hi:[1,1,0]
	s_delay_alu instid0(VALU_DEP_1) | instskip(NEXT) | instid1(VALU_DEP_1)
	v_fma_mix_f32 v0, v73, v0, v7 op_sel:[0,1,0] op_sel_hi:[1,1,0]
	v_fma_mix_f32 v0, v71, v1, v0 op_sel_hi:[1,1,0]
	s_delay_alu instid0(VALU_DEP_1) | instskip(NEXT) | instid1(VALU_DEP_1)
	v_fma_mix_f32 v0, v70, v1, v0 op_sel:[0,1,0] op_sel_hi:[1,1,0]
	v_fma_mix_f32 v0, v69, v2, v0 op_sel_hi:[1,1,0]
	s_delay_alu instid0(VALU_DEP_1) | instskip(NEXT) | instid1(VALU_DEP_1)
	v_fma_mix_f32 v0, v67, v2, v0 op_sel:[0,1,0] op_sel_hi:[1,1,0]
	v_fma_mix_f32 v0, v27, v3, v0 op_sel_hi:[1,1,0]
	s_delay_alu instid0(VALU_DEP_1) | instskip(NEXT) | instid1(VALU_DEP_1)
	v_fma_mix_f32 v0, v26, v3, v0 op_sel:[0,1,0] op_sel_hi:[1,1,0]
	v_fma_mixlo_f16 v0, v0, v22, 0 op_sel_hi:[0,1,0]
	s_delay_alu instid0(VALU_DEP_1)
	v_add_f16_e32 v57, v6, v0
	v_add_co_u32 v0, vcc_lo, v4, s0
	v_add_co_ci_u32_e32 v1, vcc_lo, s1, v5, vcc_lo
	s_cbranch_scc1 .LBB42_22
.LBB42_20:                              ; =>This Inner Loop Header: Depth=1
	s_cmp_lg_u32 s15, s4
	s_cbranch_scc1 .LBB42_19
; %bb.21:                               ;   in Loop: Header=BB42_20 Depth=1
	s_add_i32 s13, s13, 1
	s_add_i32 s4, s4, s3
	s_mul_i32 s5, s13, s16
	s_delay_alu instid0(SALU_CYCLE_1) | instskip(SKIP_2) | instid1(SALU_CYCLE_1)
	s_ashr_i32 s14, s5, 31
	v_add_nc_u32_e32 v2, s5, v12
	s_lshr_b32 s14, s14, 30
	s_add_i32 s5, s5, s14
	s_delay_alu instid0(VALU_DEP_1) | instskip(SKIP_1) | instid1(SALU_CYCLE_1)
	v_ashrrev_i32_e32 v3, 31, v2
	s_ashr_i32 s5, s5, 2
	v_add_nc_u32_e32 v4, s5, v18
	s_delay_alu instid0(VALU_DEP_2) | instskip(NEXT) | instid1(VALU_DEP_2)
	v_lshlrev_b64 v[2:3], 1, v[2:3]
	v_ashrrev_i32_e32 v5, 31, v4
	s_delay_alu instid0(VALU_DEP_2) | instskip(NEXT) | instid1(VALU_DEP_2)
	v_add_co_u32 v2, vcc_lo, s8, v2
	v_lshlrev_b64 v[4:5], 2, v[4:5]
	s_delay_alu instid0(VALU_DEP_4) | instskip(NEXT) | instid1(VALU_DEP_2)
	v_add_co_ci_u32_e32 v3, vcc_lo, s9, v3, vcc_lo
	v_add_co_u32 v4, vcc_lo, s6, v4
	s_delay_alu instid0(VALU_DEP_3)
	v_add_co_ci_u32_e32 v5, vcc_lo, s7, v5, vcc_lo
	global_load_b64 v[14:15], v[2:3], off
	global_load_b32 v2, v[4:5], off
	s_waitcnt vmcnt(1)
	v_lshrrev_b32_e32 v19, 16, v14
	s_waitcnt vmcnt(0)
	v_and_b32_e32 v20, 0xff, v2
	v_bfe_u32 v21, v2, 8, 8
	v_bfe_u32 v23, v2, 16, 8
	v_lshrrev_b32_e32 v24, 24, v2
	v_lshrrev_b32_e32 v22, 16, v15
	s_branch .LBB42_19
.LBB42_22:
	v_mad_u64_u32 v[0:1], null, s12, s16, v[12:13]
	v_perm_b32 v5, v32, v33, 0x5040100
	s_mov_b32 s0, 0
	s_delay_alu instid0(VALU_DEP_2) | instskip(NEXT) | instid1(VALU_DEP_1)
	v_ashrrev_i32_e32 v1, 31, v0
	v_lshlrev_b64 v[1:2], 1, v[0:1]
	s_delay_alu instid0(VALU_DEP_1) | instskip(NEXT) | instid1(VALU_DEP_2)
	v_add_co_u32 v1, vcc_lo, s10, v1
	v_add_co_ci_u32_e32 v2, vcc_lo, s11, v2, vcc_lo
	global_load_b32 v4, v[1:2], off
.LBB42_23:                              ; =>This Inner Loop Header: Depth=1
	s_waitcnt vmcnt(0)
	v_pk_add_f16 v3, v5, v4
	global_atomic_cmpswap_b32 v3, v[1:2], v[3:4], off glc
	s_waitcnt vmcnt(0)
	v_cmp_eq_u32_e32 vcc_lo, v4, v3
	v_mov_b32_e32 v4, v3
	s_or_b32 s0, vcc_lo, s0
	s_delay_alu instid0(SALU_CYCLE_1)
	s_and_not1_b32 exec_lo, exec_lo, s0
	s_cbranch_execnz .LBB42_23
; %bb.24:
	s_or_b32 exec_lo, exec_lo, s0
	global_load_b32 v4, v[1:2], off offset:4
	v_perm_b32 v5, v30, v31, 0x5040100
	s_mov_b32 s0, 0
.LBB42_25:                              ; =>This Inner Loop Header: Depth=1
	s_waitcnt vmcnt(0)
	s_delay_alu instid0(VALU_DEP_1)
	v_pk_add_f16 v3, v5, v4
	global_atomic_cmpswap_b32 v3, v[1:2], v[3:4], off offset:4 glc
	s_waitcnt vmcnt(0)
	v_cmp_eq_u32_e32 vcc_lo, v4, v3
	v_mov_b32_e32 v4, v3
	s_or_b32 s0, vcc_lo, s0
	s_delay_alu instid0(SALU_CYCLE_1)
	s_and_not1_b32 exec_lo, exec_lo, s0
	s_cbranch_execnz .LBB42_25
; %bb.26:
	s_or_b32 exec_lo, exec_lo, s0
	v_add_nc_u32_e32 v0, s16, v0
	v_perm_b32 v5, v38, v39, 0x5040100
	s_mov_b32 s0, 0
	s_delay_alu instid0(VALU_DEP_2) | instskip(NEXT) | instid1(VALU_DEP_1)
	v_ashrrev_i32_e32 v1, 31, v0
	v_lshlrev_b64 v[1:2], 1, v[0:1]
	s_delay_alu instid0(VALU_DEP_1) | instskip(NEXT) | instid1(VALU_DEP_2)
	v_add_co_u32 v1, vcc_lo, s10, v1
	v_add_co_ci_u32_e32 v2, vcc_lo, s11, v2, vcc_lo
	global_load_b32 v4, v[1:2], off
.LBB42_27:                              ; =>This Inner Loop Header: Depth=1
	s_waitcnt vmcnt(0)
	v_pk_add_f16 v3, v5, v4
	global_atomic_cmpswap_b32 v3, v[1:2], v[3:4], off glc
	s_waitcnt vmcnt(0)
	v_cmp_eq_u32_e32 vcc_lo, v4, v3
	v_mov_b32_e32 v4, v3
	s_or_b32 s0, vcc_lo, s0
	s_delay_alu instid0(SALU_CYCLE_1)
	s_and_not1_b32 exec_lo, exec_lo, s0
	s_cbranch_execnz .LBB42_27
; %bb.28:
	s_or_b32 exec_lo, exec_lo, s0
	global_load_b32 v4, v[1:2], off offset:4
	v_perm_b32 v5, v34, v35, 0x5040100
	s_mov_b32 s0, 0
.LBB42_29:                              ; =>This Inner Loop Header: Depth=1
	s_waitcnt vmcnt(0)
	s_delay_alu instid0(VALU_DEP_1)
	v_pk_add_f16 v3, v5, v4
	global_atomic_cmpswap_b32 v3, v[1:2], v[3:4], off offset:4 glc
	s_waitcnt vmcnt(0)
	v_cmp_eq_u32_e32 vcc_lo, v4, v3
	v_mov_b32_e32 v4, v3
	s_or_b32 s0, vcc_lo, s0
	s_delay_alu instid0(SALU_CYCLE_1)
	s_and_not1_b32 exec_lo, exec_lo, s0
	s_cbranch_execnz .LBB42_29
; %bb.30:
	s_or_b32 exec_lo, exec_lo, s0
	v_add_nc_u32_e32 v0, s16, v0
	;; [unrolled: 40-line block ×6, first 2 shown]
	v_perm_b32 v4, v56, v55, 0x5040100
	s_mov_b32 s0, 0
	s_delay_alu instid0(VALU_DEP_2) | instskip(NEXT) | instid1(VALU_DEP_1)
	v_ashrrev_i32_e32 v1, 31, v0
	v_lshlrev_b64 v[0:1], 1, v[0:1]
	s_delay_alu instid0(VALU_DEP_1) | instskip(NEXT) | instid1(VALU_DEP_2)
	v_add_co_u32 v0, vcc_lo, s10, v0
	v_add_co_ci_u32_e32 v1, vcc_lo, s11, v1, vcc_lo
	global_load_b32 v3, v[0:1], off
.LBB42_47:                              ; =>This Inner Loop Header: Depth=1
	s_waitcnt vmcnt(0)
	v_pk_add_f16 v2, v4, v3
	global_atomic_cmpswap_b32 v2, v[0:1], v[2:3], off glc
	s_waitcnt vmcnt(0)
	v_cmp_eq_u32_e32 vcc_lo, v3, v2
	v_mov_b32_e32 v3, v2
	s_or_b32 s0, vcc_lo, s0
	s_delay_alu instid0(SALU_CYCLE_1)
	s_and_not1_b32 exec_lo, exec_lo, s0
	s_cbranch_execnz .LBB42_47
; %bb.48:
	s_or_b32 exec_lo, exec_lo, s0
	global_load_b32 v3, v[0:1], off offset:4
	v_perm_b32 v4, v57, v54, 0x5040100
	s_mov_b32 s0, 0
.LBB42_49:                              ; =>This Inner Loop Header: Depth=1
	s_waitcnt vmcnt(0)
	s_delay_alu instid0(VALU_DEP_1)
	v_pk_add_f16 v2, v4, v3
	global_atomic_cmpswap_b32 v2, v[0:1], v[2:3], off offset:4 glc
	s_waitcnt vmcnt(0)
	v_cmp_eq_u32_e32 vcc_lo, v3, v2
	v_mov_b32_e32 v3, v2
	s_or_b32 s0, vcc_lo, s0
	s_delay_alu instid0(SALU_CYCLE_1)
	s_and_not1_b32 exec_lo, exec_lo, s0
	s_cbranch_execnz .LBB42_49
.LBB42_50:
	s_endpgm
	.section	.rodata,"a",@progbits
	.p2align	6, 0x0
	.amdhsa_kernel _ZN4vllm4gptq33gemm_half_q_half_gptq_8bit_kernelILb1ELi7EEEvPK6__halfPKjS6_S4_PS2_iiiibPKi
		.amdhsa_group_segment_fixed_size 1792
		.amdhsa_private_segment_fixed_size 0
		.amdhsa_kernarg_size 72
		.amdhsa_user_sgpr_count 13
		.amdhsa_user_sgpr_dispatch_ptr 0
		.amdhsa_user_sgpr_queue_ptr 0
		.amdhsa_user_sgpr_kernarg_segment_ptr 1
		.amdhsa_user_sgpr_dispatch_id 0
		.amdhsa_user_sgpr_private_segment_size 0
		.amdhsa_wavefront_size32 1
		.amdhsa_uses_dynamic_stack 0
		.amdhsa_enable_private_segment 0
		.amdhsa_system_sgpr_workgroup_id_x 1
		.amdhsa_system_sgpr_workgroup_id_y 1
		.amdhsa_system_sgpr_workgroup_id_z 1
		.amdhsa_system_sgpr_workgroup_info 0
		.amdhsa_system_vgpr_workitem_id 0
		.amdhsa_next_free_vgpr 110
		.amdhsa_next_free_sgpr 24
		.amdhsa_reserve_vcc 1
		.amdhsa_float_round_mode_32 0
		.amdhsa_float_round_mode_16_64 0
		.amdhsa_float_denorm_mode_32 3
		.amdhsa_float_denorm_mode_16_64 3
		.amdhsa_dx10_clamp 1
		.amdhsa_ieee_mode 1
		.amdhsa_fp16_overflow 0
		.amdhsa_workgroup_processor_mode 1
		.amdhsa_memory_ordered 1
		.amdhsa_forward_progress 0
		.amdhsa_shared_vgpr_count 0
		.amdhsa_exception_fp_ieee_invalid_op 0
		.amdhsa_exception_fp_denorm_src 0
		.amdhsa_exception_fp_ieee_div_zero 0
		.amdhsa_exception_fp_ieee_overflow 0
		.amdhsa_exception_fp_ieee_underflow 0
		.amdhsa_exception_fp_ieee_inexact 0
		.amdhsa_exception_int_div_zero 0
	.end_amdhsa_kernel
	.section	.text._ZN4vllm4gptq33gemm_half_q_half_gptq_8bit_kernelILb1ELi7EEEvPK6__halfPKjS6_S4_PS2_iiiibPKi,"axG",@progbits,_ZN4vllm4gptq33gemm_half_q_half_gptq_8bit_kernelILb1ELi7EEEvPK6__halfPKjS6_S4_PS2_iiiibPKi,comdat
.Lfunc_end42:
	.size	_ZN4vllm4gptq33gemm_half_q_half_gptq_8bit_kernelILb1ELi7EEEvPK6__halfPKjS6_S4_PS2_iiiibPKi, .Lfunc_end42-_ZN4vllm4gptq33gemm_half_q_half_gptq_8bit_kernelILb1ELi7EEEvPK6__halfPKjS6_S4_PS2_iiiibPKi
                                        ; -- End function
	.section	.AMDGPU.csdata,"",@progbits
; Kernel info:
; codeLenInByte = 17160
; NumSgprs: 26
; NumVgprs: 110
; ScratchSize: 0
; MemoryBound: 0
; FloatMode: 240
; IeeeMode: 1
; LDSByteSize: 1792 bytes/workgroup (compile time only)
; SGPRBlocks: 3
; VGPRBlocks: 13
; NumSGPRsForWavesPerEU: 26
; NumVGPRsForWavesPerEU: 110
; Occupancy: 12
; WaveLimiterHint : 0
; COMPUTE_PGM_RSRC2:SCRATCH_EN: 0
; COMPUTE_PGM_RSRC2:USER_SGPR: 13
; COMPUTE_PGM_RSRC2:TRAP_HANDLER: 0
; COMPUTE_PGM_RSRC2:TGID_X_EN: 1
; COMPUTE_PGM_RSRC2:TGID_Y_EN: 1
; COMPUTE_PGM_RSRC2:TGID_Z_EN: 1
; COMPUTE_PGM_RSRC2:TIDIG_COMP_CNT: 0
	.section	.text._ZN4vllm4gptq33gemm_half_q_half_gptq_2bit_kernelILb1ELi8EEEvPK6__halfPKjS6_S4_PS2_iiiibPKi,"axG",@progbits,_ZN4vllm4gptq33gemm_half_q_half_gptq_2bit_kernelILb1ELi8EEEvPK6__halfPKjS6_S4_PS2_iiiibPKi,comdat
	.protected	_ZN4vllm4gptq33gemm_half_q_half_gptq_2bit_kernelILb1ELi8EEEvPK6__halfPKjS6_S4_PS2_iiiibPKi ; -- Begin function _ZN4vllm4gptq33gemm_half_q_half_gptq_2bit_kernelILb1ELi8EEEvPK6__halfPKjS6_S4_PS2_iiiibPKi
	.globl	_ZN4vllm4gptq33gemm_half_q_half_gptq_2bit_kernelILb1ELi8EEEvPK6__halfPKjS6_S4_PS2_iiiibPKi
	.p2align	8
	.type	_ZN4vllm4gptq33gemm_half_q_half_gptq_2bit_kernelILb1ELi8EEEvPK6__halfPKjS6_S4_PS2_iiiibPKi,@function
_ZN4vllm4gptq33gemm_half_q_half_gptq_2bit_kernelILb1ELi8EEEvPK6__halfPKjS6_S4_PS2_iiiibPKi: ; @_ZN4vllm4gptq33gemm_half_q_half_gptq_2bit_kernelILb1ELi8EEEvPK6__halfPKjS6_S4_PS2_iiiibPKi
; %bb.0:
	s_load_b128 s[16:19], s[0:1], 0x2c
	s_lshl_b32 s15, s15, 7
	s_load_b256 s[4:11], s[0:1], 0x8
	s_add_i32 s2, s15, 0x80
	s_lshl_b32 s12, s14, 3
	v_cvt_f64_u32_e32 v[1:2], s2
	s_mov_b32 s14, exec_lo
	s_waitcnt lgkmcnt(0)
	v_cvt_f64_i32_e32 v[3:4], s17
	s_delay_alu instid0(VALU_DEP_1) | instskip(NEXT) | instid1(VALU_DEP_1)
	v_min_f64 v[1:2], v[1:2], v[3:4]
	v_cvt_i32_f64_e32 v2, v[1:2]
	v_add_nc_u32_e32 v1, s15, v0
	s_delay_alu instid0(VALU_DEP_2) | instskip(NEXT) | instid1(VALU_DEP_2)
	v_readfirstlane_b32 s20, v2
	v_cmpx_lt_u32_e64 v1, v2
	s_cbranch_execz .LBB43_18
; %bb.1:
	s_clause 0x1
	s_load_b64 s[2:3], s[0:1], 0x40
	s_load_b64 s[0:1], s[0:1], 0x0
	v_mov_b32_e32 v2, 0
	s_delay_alu instid0(VALU_DEP_1) | instskip(SKIP_2) | instid1(VALU_DEP_2)
	v_lshlrev_b64 v[3:4], 2, v[1:2]
	v_dual_mov_b32 v6, v2 :: v_dual_mov_b32 v5, v1
	s_waitcnt lgkmcnt(0)
	v_add_co_u32 v3, vcc_lo, s2, v3
	s_delay_alu instid0(VALU_DEP_3)
	v_add_co_ci_u32_e32 v4, vcc_lo, s3, v4, vcc_lo
	s_cmp_lg_u64 s[2:3], 0
	s_cselect_b32 s21, -1, 0
	s_cmp_eq_u64 s[2:3], 0
	s_cbranch_scc1 .LBB43_3
; %bb.2:
	global_load_b32 v5, v[3:4], off
	s_waitcnt vmcnt(0)
	v_ashrrev_i32_e32 v6, 31, v5
.LBB43_3:
	s_mul_i32 s2, s12, s17
	s_delay_alu instid0(VALU_DEP_1)
	v_lshlrev_b64 v[5:6], 1, v[5:6]
	s_ashr_i32 s3, s2, 31
	v_lshlrev_b32_e32 v7, 1, v0
	s_lshl_b64 s[22:23], s[2:3], 1
	v_cndmask_b32_e64 v8, 0, 1, s21
	s_add_u32 s3, s0, s22
	s_addc_u32 s22, s1, s23
	v_add_co_u32 v5, vcc_lo, s3, v5
	v_add_co_ci_u32_e32 v6, vcc_lo, s22, v6, vcc_lo
	s_and_not1_b32 vcc_lo, exec_lo, s21
	global_load_u16 v9, v[5:6], off
	v_dual_mov_b32 v6, v2 :: v_dual_mov_b32 v5, v1
	s_waitcnt vmcnt(0)
	ds_store_b16 v7, v9
	s_cbranch_vccnz .LBB43_5
; %bb.4:
	global_load_b32 v5, v[3:4], off
	s_waitcnt vmcnt(0)
	v_ashrrev_i32_e32 v6, 31, v5
.LBB43_5:
	s_add_i32 s2, s2, s17
	s_delay_alu instid0(VALU_DEP_1) | instskip(SKIP_1) | instid1(SALU_CYCLE_1)
	v_lshlrev_b64 v[5:6], 1, v[5:6]
	s_ashr_i32 s3, s2, 31
	s_lshl_b64 s[22:23], s[2:3], 1
	s_delay_alu instid0(SALU_CYCLE_1) | instskip(SKIP_1) | instid1(VALU_DEP_1)
	s_add_u32 s3, s0, s22
	s_addc_u32 s21, s1, s23
	v_add_co_u32 v5, vcc_lo, s3, v5
	v_add_co_ci_u32_e32 v6, vcc_lo, s21, v6, vcc_lo
	v_cmp_ne_u32_e32 vcc_lo, 1, v8
	global_load_u16 v9, v[5:6], off
	v_dual_mov_b32 v6, v2 :: v_dual_mov_b32 v5, v1
	s_waitcnt vmcnt(0)
	ds_store_b16 v7, v9 offset:256
	s_cbranch_vccnz .LBB43_7
; %bb.6:
	global_load_b32 v5, v[3:4], off
	s_waitcnt vmcnt(0)
	v_ashrrev_i32_e32 v6, 31, v5
.LBB43_7:
	s_add_i32 s2, s2, s17
	s_delay_alu instid0(VALU_DEP_1) | instskip(SKIP_1) | instid1(SALU_CYCLE_1)
	v_lshlrev_b64 v[5:6], 1, v[5:6]
	s_ashr_i32 s3, s2, 31
	s_lshl_b64 s[22:23], s[2:3], 1
	s_delay_alu instid0(SALU_CYCLE_1) | instskip(SKIP_1) | instid1(VALU_DEP_1)
	s_add_u32 s3, s0, s22
	s_addc_u32 s21, s1, s23
	v_add_co_u32 v5, vcc_lo, s3, v5
	v_add_co_ci_u32_e32 v6, vcc_lo, s21, v6, vcc_lo
	v_cmp_ne_u32_e32 vcc_lo, 1, v8
	global_load_u16 v9, v[5:6], off
	v_dual_mov_b32 v6, v2 :: v_dual_mov_b32 v5, v1
	s_waitcnt vmcnt(0)
	ds_store_b16 v7, v9 offset:512
	s_cbranch_vccnz .LBB43_9
; %bb.8:
	global_load_b32 v5, v[3:4], off
	s_waitcnt vmcnt(0)
	v_ashrrev_i32_e32 v6, 31, v5
.LBB43_9:
	s_add_i32 s2, s2, s17
	s_delay_alu instid0(VALU_DEP_1) | instskip(SKIP_1) | instid1(SALU_CYCLE_1)
	v_lshlrev_b64 v[5:6], 1, v[5:6]
	s_ashr_i32 s3, s2, 31
	s_lshl_b64 s[22:23], s[2:3], 1
	s_delay_alu instid0(SALU_CYCLE_1) | instskip(SKIP_1) | instid1(VALU_DEP_1)
	s_add_u32 s3, s0, s22
	s_addc_u32 s21, s1, s23
	v_add_co_u32 v5, vcc_lo, s3, v5
	v_add_co_ci_u32_e32 v6, vcc_lo, s21, v6, vcc_lo
	v_cmp_ne_u32_e32 vcc_lo, 1, v8
	global_load_u16 v9, v[5:6], off
	v_dual_mov_b32 v6, v2 :: v_dual_mov_b32 v5, v1
	s_waitcnt vmcnt(0)
	ds_store_b16 v7, v9 offset:768
	s_cbranch_vccnz .LBB43_11
; %bb.10:
	global_load_b32 v5, v[3:4], off
	s_waitcnt vmcnt(0)
	v_ashrrev_i32_e32 v6, 31, v5
.LBB43_11:
	s_add_i32 s2, s2, s17
	s_delay_alu instid0(VALU_DEP_1) | instskip(SKIP_1) | instid1(SALU_CYCLE_1)
	v_lshlrev_b64 v[5:6], 1, v[5:6]
	s_ashr_i32 s3, s2, 31
	s_lshl_b64 s[22:23], s[2:3], 1
	s_delay_alu instid0(SALU_CYCLE_1) | instskip(SKIP_1) | instid1(VALU_DEP_1)
	s_add_u32 s3, s0, s22
	s_addc_u32 s21, s1, s23
	v_add_co_u32 v5, vcc_lo, s3, v5
	v_add_co_ci_u32_e32 v6, vcc_lo, s21, v6, vcc_lo
	v_cmp_ne_u32_e32 vcc_lo, 1, v8
	global_load_u16 v9, v[5:6], off
	v_dual_mov_b32 v6, v2 :: v_dual_mov_b32 v5, v1
	s_waitcnt vmcnt(0)
	ds_store_b16 v7, v9 offset:1024
	s_cbranch_vccnz .LBB43_13
; %bb.12:
	global_load_b32 v5, v[3:4], off
	s_waitcnt vmcnt(0)
	v_ashrrev_i32_e32 v6, 31, v5
.LBB43_13:
	s_add_i32 s2, s2, s17
	s_delay_alu instid0(VALU_DEP_1) | instskip(SKIP_1) | instid1(SALU_CYCLE_1)
	v_lshlrev_b64 v[5:6], 1, v[5:6]
	s_ashr_i32 s3, s2, 31
	s_lshl_b64 s[22:23], s[2:3], 1
	s_delay_alu instid0(SALU_CYCLE_1) | instskip(SKIP_1) | instid1(VALU_DEP_1)
	s_add_u32 s3, s0, s22
	s_addc_u32 s21, s1, s23
	v_add_co_u32 v5, vcc_lo, s3, v5
	v_add_co_ci_u32_e32 v6, vcc_lo, s21, v6, vcc_lo
	v_cmp_ne_u32_e32 vcc_lo, 1, v8
	global_load_u16 v9, v[5:6], off
	v_dual_mov_b32 v6, v2 :: v_dual_mov_b32 v5, v1
	s_waitcnt vmcnt(0)
	ds_store_b16 v7, v9 offset:1280
	s_cbranch_vccnz .LBB43_15
; %bb.14:
	global_load_b32 v5, v[3:4], off
	s_waitcnt vmcnt(0)
	v_ashrrev_i32_e32 v6, 31, v5
.LBB43_15:
	s_add_i32 s2, s2, s17
	s_delay_alu instid0(VALU_DEP_1) | instskip(SKIP_1) | instid1(SALU_CYCLE_1)
	v_lshlrev_b64 v[5:6], 1, v[5:6]
	s_ashr_i32 s3, s2, 31
	s_lshl_b64 s[22:23], s[2:3], 1
	s_delay_alu instid0(SALU_CYCLE_1) | instskip(SKIP_1) | instid1(VALU_DEP_1)
	s_add_u32 s3, s0, s22
	s_addc_u32 s21, s1, s23
	v_add_co_u32 v5, vcc_lo, s3, v5
	v_add_co_ci_u32_e32 v6, vcc_lo, s21, v6, vcc_lo
	v_cmp_ne_u32_e32 vcc_lo, 1, v8
	global_load_u16 v5, v[5:6], off
	s_waitcnt vmcnt(0)
	ds_store_b16 v7, v5 offset:1536
	s_cbranch_vccnz .LBB43_17
; %bb.16:
	global_load_b32 v1, v[3:4], off
	s_waitcnt vmcnt(0)
	v_ashrrev_i32_e32 v2, 31, v1
.LBB43_17:
	s_add_i32 s2, s2, s17
	s_delay_alu instid0(VALU_DEP_1) | instskip(SKIP_1) | instid1(SALU_CYCLE_1)
	v_lshlrev_b64 v[1:2], 1, v[1:2]
	s_ashr_i32 s3, s2, 31
	s_lshl_b64 s[2:3], s[2:3], 1
	s_delay_alu instid0(SALU_CYCLE_1) | instskip(SKIP_1) | instid1(VALU_DEP_1)
	s_add_u32 s0, s0, s2
	s_addc_u32 s1, s1, s3
	v_add_co_u32 v1, vcc_lo, s0, v1
	v_add_co_ci_u32_e32 v2, vcc_lo, s1, v2, vcc_lo
	global_load_u16 v1, v[1:2], off
	s_waitcnt vmcnt(0)
	ds_store_b16 v7, v1 offset:1792
.LBB43_18:
	s_or_b32 exec_lo, exec_lo, s14
	v_lshlrev_b32_e32 v1, 2, v0
	s_mov_b32 s0, exec_lo
	s_delay_alu instid0(VALU_DEP_1) | instskip(NEXT) | instid1(VALU_DEP_1)
	v_lshl_add_u32 v1, s13, 9, v1
	v_cmpx_gt_i32_e64 s16, v1
	s_cbranch_execz .LBB43_56
; %bb.19:
	s_abs_i32 s0, s18
	v_dual_mov_b32 v23, 0 :: v_dual_mov_b32 v20, 0
	v_cvt_f32_u32_e32 v2, s0
	v_dual_mov_b32 v21, 0 :: v_dual_mov_b32 v18, 0
	v_dual_mov_b32 v19, 0 :: v_dual_mov_b32 v16, 0
	s_delay_alu instid0(VALU_DEP_3)
	v_rcp_iflag_f32_e32 v2, v2
	v_mov_b32_e32 v17, 0
	v_dual_mov_b32 v15, 0 :: v_dual_mov_b32 v14, 0
	v_dual_mov_b32 v13, 0 :: v_dual_mov_b32 v12, 0
	;; [unrolled: 1-line block ×4, first 2 shown]
	s_waitcnt_depctr 0xfff
	v_dual_mul_f32 v2, 0x4f7ffffe, v2 :: v_dual_mov_b32 v7, 0
	s_cmp_ge_i32 s15, s20
	s_mov_b32 s2, 0
	s_waitcnt lgkmcnt(0)
	s_delay_alu instid0(VALU_DEP_1)
	v_cvt_u32_f32_e32 v2, v2
	s_barrier
	buffer_gl0_inv
	v_readfirstlane_b32 s1, v2
	s_cbranch_scc1 .LBB43_24
; %bb.20:
	s_sub_i32 s3, 0, s0
	s_abs_i32 s13, s17
	s_delay_alu instid0(VALU_DEP_1)
	s_mul_i32 s3, s3, s1
	s_ashr_i32 s14, s18, 31
	s_mul_hi_u32 s3, s1, s3
	v_dual_mov_b32 v7, 0 :: v_dual_lshlrev_b32 v24, 3, v0
	s_add_i32 s1, s1, s3
	s_ashr_i32 s3, s17, 31
	s_mul_hi_u32 s1, s13, s1
	s_xor_b32 s3, s3, s14
	s_mul_i32 s17, s1, s0
	s_add_i32 s14, s1, 1
	s_sub_i32 s13, s13, s17
	v_dual_mov_b32 v19, 0 :: v_dual_and_b32 v0, 24, v24
	s_sub_i32 s17, s13, s0
	s_cmp_ge_u32 s13, s0
	v_dual_mov_b32 v9, 0 :: v_dual_mov_b32 v12, 0
	s_cselect_b32 s1, s14, s1
	s_cselect_b32 s13, s17, s13
	s_add_i32 s14, s1, 1
	s_cmp_ge_u32 s13, s0
	v_dual_mov_b32 v11, 0 :: v_dual_mov_b32 v14, 0
	s_cselect_b32 s0, s14, s1
	v_dual_mov_b32 v13, 0 :: v_dual_mov_b32 v16, 0
	s_xor_b32 s0, s0, s3
	v_dual_mov_b32 v15, 0 :: v_dual_mov_b32 v18, 0
	s_sub_i32 s3, s0, s3
	s_bitcmp1_b32 s19, 0
	v_cvt_f32_u32_e32 v2, s3
	s_cselect_b32 s1, -1, 0
	s_sub_i32 s13, 0, s3
	s_xor_b32 s1, s1, -1
	v_dual_mov_b32 v17, 0 :: v_dual_mov_b32 v20, 0
	v_rcp_iflag_f32_e32 v2, v2
	v_dual_mov_b32 v21, 0 :: v_dual_mov_b32 v10, 0
	v_mov_b32_e32 v8, 0
	s_waitcnt_depctr 0xfff
	v_mul_f32_e32 v2, 0x4f7ffffe, v2
	s_delay_alu instid0(VALU_DEP_1) | instskip(NEXT) | instid1(VALU_DEP_1)
	v_cvt_u32_f32_e32 v2, v2
	v_readfirstlane_b32 s0, v2
	v_ashrrev_i32_e32 v2, 31, v1
	s_delay_alu instid0(VALU_DEP_2) | instskip(NEXT) | instid1(VALU_DEP_1)
	s_mul_i32 s13, s13, s0
	v_lshrrev_b32_e32 v3, 28, v2
	s_mul_hi_u32 s13, s0, s13
	s_delay_alu instid0(SALU_CYCLE_1) | instskip(NEXT) | instid1(VALU_DEP_1)
	s_add_i32 s0, s0, s13
	v_add_nc_u32_e32 v3, v1, v3
	s_mul_hi_u32 s0, s15, s0
	s_delay_alu instid0(SALU_CYCLE_1)
	s_mul_i32 s13, s0, s3
	s_add_i32 s14, s0, 1
	s_sub_i32 s13, s15, s13
	v_ashrrev_i32_e32 v22, 4, v3
	s_sub_i32 s17, s13, s3
	s_cmp_ge_u32 s13, s3
	s_cselect_b32 s0, s14, s0
	s_cselect_b32 s13, s17, s13
	s_add_i32 s14, s0, 1
	s_cmp_ge_u32 s13, s3
	s_cselect_b32 s13, s14, s0
	s_add_i32 s18, s3, s15
	s_mul_i32 s0, s13, s16
	s_ashr_i32 s17, s16, 31
	s_ashr_i32 s14, s0, 31
	v_add_nc_u32_e32 v5, s0, v1
	s_lshr_b32 s14, s14, 28
	s_delay_alu instid0(SALU_CYCLE_1)
	s_add_i32 s14, s0, s14
	s_lshr_b32 s0, s15, 4
	s_ashr_i32 s14, s14, 4
	v_ashrrev_i32_e32 v6, 31, v5
	v_add_nc_u32_e32 v3, s14, v22
	s_mul_i32 s0, s0, s16
	s_mov_b32 s14, 0x30003
	s_delay_alu instid0(VALU_DEP_1) | instskip(NEXT) | instid1(VALU_DEP_1)
	v_ashrrev_i32_e32 v4, 31, v3
	v_lshlrev_b64 v[3:4], 2, v[3:4]
	s_delay_alu instid0(VALU_DEP_1) | instskip(NEXT) | instid1(VALU_DEP_2)
	v_add_co_u32 v3, vcc_lo, s6, v3
	v_add_co_ci_u32_e32 v4, vcc_lo, s7, v4, vcc_lo
	global_load_b32 v23, v[3:4], off
	v_lshlrev_b64 v[3:4], 1, v[5:6]
	v_lshlrev_b64 v[5:6], 2, v[1:2]
	v_cndmask_b32_e64 v2, 0, 1, s1
	s_ashr_i32 s1, s0, 31
	s_delay_alu instid0(SALU_CYCLE_1) | instskip(NEXT) | instid1(VALU_DEP_3)
	s_lshl_b64 s[0:1], s[0:1], 2
	v_add_co_u32 v3, vcc_lo, s8, v3
	v_add_co_ci_u32_e32 v4, vcc_lo, s9, v4, vcc_lo
	s_add_u32 s4, s4, s0
	s_addc_u32 s5, s5, s1
	v_add_co_u32 v5, vcc_lo, s4, v5
	global_load_b64 v[3:4], v[3:4], off
	v_add_co_ci_u32_e32 v6, vcc_lo, s5, v6, vcc_lo
	v_add_co_u32 v5, vcc_lo, v5, 8
	s_lshl_b64 s[0:1], s[16:17], 2
	s_delay_alu instid0(VALU_DEP_2)
	v_add_co_ci_u32_e32 v6, vcc_lo, 0, v6, vcc_lo
	s_mov_b32 s4, 0xc000c
	s_mov_b32 s5, 0x300030
	;; [unrolled: 1-line block ×3, first 2 shown]
	s_waitcnt vmcnt(1)
	v_lshrrev_b32_e32 v27, v24, v23
	v_bfe_u32 v24, v23, v0, 2
	v_mov_b32_e32 v23, 0
	s_delay_alu instid0(VALU_DEP_3)
	v_bfe_u32 v25, v27, 2, 2
	v_bfe_u32 v26, v27, 4, 2
	;; [unrolled: 1-line block ×3, first 2 shown]
	s_branch .LBB43_22
.LBB43_21:                              ;   in Loop: Header=BB43_22 Depth=1
	v_add_nc_u32_e32 v28, v24, v2
	v_mov_b32_e32 v68, s2
	s_add_i32 s19, s2, 0x400
	s_add_i32 s15, s15, 16
	s_delay_alu instid0(VALU_DEP_2) | instskip(SKIP_1) | instid1(VALU_DEP_1)
	v_or_b32_e32 v32, 0xffffe400, v28
	v_cvt_f32_i32_e32 v28, v28
	v_cvt_f16_f32_e32 v28, v28
	s_delay_alu instid0(VALU_DEP_1) | instskip(SKIP_3) | instid1(VALU_DEP_1)
	v_sub_f16_e32 v33, 0xdc00, v28
	v_sub_f16_e32 v34, 0xd400, v28
	;; [unrolled: 1-line block ×3, first 2 shown]
	v_add_nc_u32_e32 v28, v25, v2
	v_or_b32_e32 v37, 0xffffe400, v28
	v_cvt_f32_i32_e32 v28, v28
	s_delay_alu instid0(VALU_DEP_1) | instskip(NEXT) | instid1(VALU_DEP_1)
	v_cvt_f16_f32_e32 v28, v28
	v_sub_f16_e32 v38, 0xdc00, v28
	v_sub_f16_e32 v39, 0xd400, v28
	;; [unrolled: 1-line block ×3, first 2 shown]
	v_add_nc_u32_e32 v28, v26, v2
	s_delay_alu instid0(VALU_DEP_1) | instskip(SKIP_1) | instid1(VALU_DEP_1)
	v_or_b32_e32 v41, 0xffffe400, v28
	v_cvt_f32_i32_e32 v28, v28
	v_cvt_f16_f32_e32 v28, v28
	s_delay_alu instid0(VALU_DEP_1) | instskip(SKIP_3) | instid1(VALU_DEP_1)
	v_sub_f16_e32 v42, 0xdc00, v28
	v_sub_f16_e32 v43, 0xd400, v28
	;; [unrolled: 1-line block ×3, first 2 shown]
	v_add_nc_u32_e32 v28, v27, v2
	v_or_b32_e32 v60, 0xffffe400, v28
	v_cvt_f32_i32_e32 v28, v28
	s_delay_alu instid0(VALU_DEP_1) | instskip(NEXT) | instid1(VALU_DEP_1)
	v_cvt_f16_f32_e32 v28, v28
	v_sub_f16_e32 v61, 0xdc00, v28
	v_sub_f16_e32 v62, 0xd400, v28
	;; [unrolled: 1-line block ×3, first 2 shown]
	global_load_b128 v[28:31], v[5:6], off offset:-8
	v_add_co_u32 v5, vcc_lo, v5, s0
	v_add_co_ci_u32_e32 v6, vcc_lo, s1, v6, vcc_lo
	s_waitcnt vmcnt(0)
	v_and_or_b32 v35, v28, s14, 0x64006400
	v_and_or_b32 v45, v28, s4, 0x64006400
	;; [unrolled: 1-line block ×4, first 2 shown]
	v_lshrrev_b32_e32 v28, 8, v28
	v_pk_add_f16 v59, v32, v35 op_sel_hi:[0,1]
	v_pk_fma_f16 v58, 0x3400, v45, v33 op_sel_hi:[0,1,0]
	v_pk_fma_f16 v57, 0x2c00, v46, v34 op_sel_hi:[0,1,0]
	;; [unrolled: 1-line block ×3, first 2 shown]
	v_and_or_b32 v48, v28, s14, 0x64006400
	v_and_or_b32 v49, v28, s4, 0x64006400
	;; [unrolled: 1-line block ×4, first 2 shown]
	s_delay_alu instid0(VALU_DEP_4) | instskip(NEXT) | instid1(VALU_DEP_4)
	v_pk_add_f16 v55, v32, v48 op_sel_hi:[0,1]
	v_pk_fma_f16 v54, 0x3400, v49, v33 op_sel_hi:[0,1,0]
	s_delay_alu instid0(VALU_DEP_4) | instskip(NEXT) | instid1(VALU_DEP_4)
	v_pk_fma_f16 v35, 0x2c00, v50, v34 op_sel_hi:[0,1,0]
	v_pk_fma_f16 v36, 0x2400, v28, v36 op_sel_hi:[0,1,0]
	v_and_or_b32 v28, v29, s14, 0x64006400
	v_and_or_b32 v32, v29, s4, 0x64006400
	v_and_or_b32 v33, v29, s5, 0x64006400
	v_and_or_b32 v34, v29, s17, 0x64006400
	v_lshrrev_b32_e32 v29, 8, v29
	v_pk_add_f16 v46, v37, v28 op_sel_hi:[0,1]
	v_pk_fma_f16 v47, 0x3400, v32, v38 op_sel_hi:[0,1,0]
	v_pk_fma_f16 v48, 0x2c00, v33, v39 op_sel_hi:[0,1,0]
	v_and_or_b32 v28, v30, s14, 0x64006400
	v_and_or_b32 v45, v29, s14, 0x64006400
	;; [unrolled: 1-line block ×7, first 2 shown]
	v_pk_fma_f16 v49, 0x2400, v34, v40 op_sel_hi:[0,1,0]
	v_pk_add_f16 v50, v37, v45 op_sel_hi:[0,1]
	v_pk_fma_f16 v53, 0x2400, v29, v40 op_sel_hi:[0,1,0]
	v_and_or_b32 v29, v30, s4, 0x64006400
	v_lshrrev_b32_e32 v30, 8, v30
	v_pk_fma_f16 v51, 0x3400, v51, v38 op_sel_hi:[0,1,0]
	v_pk_fma_f16 v52, 0x2c00, v52, v39 op_sel_hi:[0,1,0]
	v_pk_add_f16 v37, v41, v28 op_sel_hi:[0,1]
	v_pk_fma_f16 v38, 0x3400, v29, v42 op_sel_hi:[0,1,0]
	v_and_or_b32 v34, v30, s14, 0x64006400
	v_and_or_b32 v45, v30, s4, 0x64006400
	;; [unrolled: 1-line block ×4, first 2 shown]
	v_pk_fma_f16 v39, 0x2c00, v32, v43 op_sel_hi:[0,1,0]
	v_pk_fma_f16 v40, 0x2400, v33, v44 op_sel_hi:[0,1,0]
	v_and_or_b32 v28, v31, s14, 0x64006400
	v_and_or_b32 v29, v31, s4, 0x64006400
	v_pk_fma_f16 v44, 0x2400, v30, v44 op_sel_hi:[0,1,0]
	v_and_or_b32 v30, v31, s5, 0x64006400
	v_and_or_b32 v32, v31, s17, 0x64006400
	v_lshrrev_b32_e32 v31, 8, v31
	v_pk_fma_f16 v43, 0x2c00, v64, v43 op_sel_hi:[0,1,0]
	v_pk_add_f16 v41, v41, v34 op_sel_hi:[0,1]
	v_pk_fma_f16 v42, 0x3400, v45, v42 op_sel_hi:[0,1,0]
	v_pk_add_f16 v45, v60, v28 op_sel_hi:[0,1]
	v_and_or_b32 v64, v31, s14, 0x64006400
	v_and_or_b32 v65, v31, s4, 0x64006400
	;; [unrolled: 1-line block ×4, first 2 shown]
	v_pk_fma_f16 v34, 0x3400, v29, v61 op_sel_hi:[0,1,0]
	v_pk_fma_f16 v33, 0x2c00, v30, v62 op_sel_hi:[0,1,0]
	v_pk_add_f16 v31, v60, v64 op_sel_hi:[0,1]
	v_pk_fma_f16 v30, 0x3400, v65, v61 op_sel_hi:[0,1,0]
	ds_load_2addr_b32 v[60:61], v68 offset1:1
	v_pk_fma_f16 v29, 0x2c00, v66, v62 op_sel_hi:[0,1,0]
	v_pk_fma_f16 v32, 0x2400, v32, v63 op_sel_hi:[0,1,0]
	;; [unrolled: 1-line block ×3, first 2 shown]
	s_waitcnt lgkmcnt(0)
	v_pk_fma_f16 v62, v59, v60, 0
	v_pk_fma_f16 v70, v46, v60, 0
	s_delay_alu instid0(VALU_DEP_2) | instskip(SKIP_4) | instid1(VALU_DEP_2)
	v_pk_fma_f16 v64, v58, v61, v62
	ds_load_2addr_b32 v[62:63], v68 offset0:2 offset1:3
	v_pk_fma_f16 v70, v47, v61, v70
	s_waitcnt lgkmcnt(0)
	v_pk_fma_f16 v64, v57, v62, v64
	v_pk_fma_f16 v70, v48, v62, v70
	s_delay_alu instid0(VALU_DEP_2) | instskip(SKIP_4) | instid1(VALU_DEP_2)
	v_pk_fma_f16 v66, v56, v63, v64
	ds_load_2addr_b32 v[64:65], v68 offset0:4 offset1:5
	v_pk_fma_f16 v70, v49, v63, v70
	s_waitcnt lgkmcnt(0)
	v_pk_fma_f16 v66, v55, v64, v66
	v_pk_fma_f16 v70, v50, v64, v70
	s_delay_alu instid0(VALU_DEP_2) | instskip(SKIP_4) | instid1(VALU_DEP_2)
	v_pk_fma_f16 v69, v54, v65, v66
	ds_load_2addr_b32 v[66:67], v68 offset0:6 offset1:7
	v_pk_fma_f16 v70, v51, v65, v70
	s_waitcnt lgkmcnt(0)
	v_pk_fma_f16 v69, v35, v66, v69
	v_pk_fma_f16 v70, v52, v66, v70
	s_delay_alu instid0(VALU_DEP_2) | instskip(NEXT) | instid1(VALU_DEP_2)
	v_pk_fma_f16 v69, v36, v67, v69
	v_pk_fma_f16 v70, v53, v67, v70
	s_delay_alu instid0(VALU_DEP_1) | instskip(SKIP_1) | instid1(VALU_DEP_1)
	v_pack_b32_f16 v71, v69, v70
	v_perm_b32 v69, v70, v69, 0x7060302
	v_pk_add_f16 v69, v71, v69
	s_delay_alu instid0(VALU_DEP_1) | instskip(SKIP_2) | instid1(VALU_DEP_2)
	v_pk_fma_f16 v23, v69, v3, v23
	v_pk_fma_f16 v69, v37, v60, 0
	v_pk_fma_f16 v60, v45, v60, 0
	v_pk_fma_f16 v69, v38, v61, v69
	s_delay_alu instid0(VALU_DEP_2) | instskip(NEXT) | instid1(VALU_DEP_2)
	v_pk_fma_f16 v60, v34, v61, v60
	v_pk_fma_f16 v69, v39, v62, v69
	s_delay_alu instid0(VALU_DEP_2) | instskip(NEXT) | instid1(VALU_DEP_2)
	v_pk_fma_f16 v60, v33, v62, v60
	v_pk_fma_f16 v69, v40, v63, v69
	s_delay_alu instid0(VALU_DEP_2) | instskip(NEXT) | instid1(VALU_DEP_2)
	v_pk_fma_f16 v60, v32, v63, v60
	v_pk_fma_f16 v69, v41, v64, v69
	s_delay_alu instid0(VALU_DEP_2) | instskip(NEXT) | instid1(VALU_DEP_2)
	v_pk_fma_f16 v60, v31, v64, v60
	v_pk_fma_f16 v69, v42, v65, v69
	s_delay_alu instid0(VALU_DEP_2) | instskip(NEXT) | instid1(VALU_DEP_2)
	v_pk_fma_f16 v60, v30, v65, v60
	v_pk_fma_f16 v69, v43, v66, v69
	s_delay_alu instid0(VALU_DEP_2) | instskip(NEXT) | instid1(VALU_DEP_2)
	v_pk_fma_f16 v60, v29, v66, v60
	v_pk_fma_f16 v69, v44, v67, v69
	s_delay_alu instid0(VALU_DEP_2) | instskip(NEXT) | instid1(VALU_DEP_1)
	v_pk_fma_f16 v60, v28, v67, v60
	v_pack_b32_f16 v61, v69, v60
	v_perm_b32 v60, v60, v69, 0x7060302
	s_delay_alu instid0(VALU_DEP_1) | instskip(NEXT) | instid1(VALU_DEP_1)
	v_pk_add_f16 v60, v61, v60
	v_pk_fma_f16 v21, v60, v4, v21
	ds_load_2addr_b32 v[60:61], v68 offset0:64 offset1:65
	s_waitcnt lgkmcnt(0)
	v_pk_fma_f16 v62, v59, v60, 0
	v_pk_fma_f16 v70, v46, v60, 0
	s_delay_alu instid0(VALU_DEP_2) | instskip(SKIP_4) | instid1(VALU_DEP_2)
	v_pk_fma_f16 v64, v58, v61, v62
	ds_load_2addr_b32 v[62:63], v68 offset0:66 offset1:67
	v_pk_fma_f16 v70, v47, v61, v70
	s_waitcnt lgkmcnt(0)
	v_pk_fma_f16 v64, v57, v62, v64
	v_pk_fma_f16 v70, v48, v62, v70
	s_delay_alu instid0(VALU_DEP_2) | instskip(SKIP_4) | instid1(VALU_DEP_2)
	v_pk_fma_f16 v66, v56, v63, v64
	ds_load_2addr_b32 v[64:65], v68 offset0:68 offset1:69
	v_pk_fma_f16 v70, v49, v63, v70
	s_waitcnt lgkmcnt(0)
	v_pk_fma_f16 v66, v55, v64, v66
	v_pk_fma_f16 v70, v50, v64, v70
	s_delay_alu instid0(VALU_DEP_2) | instskip(SKIP_4) | instid1(VALU_DEP_2)
	v_pk_fma_f16 v69, v54, v65, v66
	ds_load_2addr_b32 v[66:67], v68 offset0:70 offset1:71
	v_pk_fma_f16 v70, v51, v65, v70
	s_waitcnt lgkmcnt(0)
	v_pk_fma_f16 v69, v35, v66, v69
	v_pk_fma_f16 v70, v52, v66, v70
	s_delay_alu instid0(VALU_DEP_2) | instskip(NEXT) | instid1(VALU_DEP_2)
	v_pk_fma_f16 v69, v36, v67, v69
	v_pk_fma_f16 v70, v53, v67, v70
	s_delay_alu instid0(VALU_DEP_1) | instskip(SKIP_1) | instid1(VALU_DEP_1)
	v_pack_b32_f16 v71, v69, v70
	v_perm_b32 v69, v70, v69, 0x7060302
	v_pk_add_f16 v69, v71, v69
	s_delay_alu instid0(VALU_DEP_1) | instskip(SKIP_2) | instid1(VALU_DEP_2)
	v_pk_fma_f16 v20, v69, v3, v20
	v_pk_fma_f16 v69, v37, v60, 0
	v_pk_fma_f16 v60, v45, v60, 0
	v_pk_fma_f16 v69, v38, v61, v69
	s_delay_alu instid0(VALU_DEP_2) | instskip(NEXT) | instid1(VALU_DEP_2)
	v_pk_fma_f16 v60, v34, v61, v60
	v_pk_fma_f16 v69, v39, v62, v69
	s_delay_alu instid0(VALU_DEP_2) | instskip(NEXT) | instid1(VALU_DEP_2)
	v_pk_fma_f16 v60, v33, v62, v60
	v_pk_fma_f16 v69, v40, v63, v69
	s_delay_alu instid0(VALU_DEP_2) | instskip(NEXT) | instid1(VALU_DEP_2)
	v_pk_fma_f16 v60, v32, v63, v60
	v_pk_fma_f16 v69, v41, v64, v69
	s_delay_alu instid0(VALU_DEP_2) | instskip(NEXT) | instid1(VALU_DEP_2)
	v_pk_fma_f16 v60, v31, v64, v60
	v_pk_fma_f16 v69, v42, v65, v69
	s_delay_alu instid0(VALU_DEP_2) | instskip(NEXT) | instid1(VALU_DEP_2)
	v_pk_fma_f16 v60, v30, v65, v60
	v_pk_fma_f16 v69, v43, v66, v69
	s_delay_alu instid0(VALU_DEP_2) | instskip(NEXT) | instid1(VALU_DEP_2)
	v_pk_fma_f16 v60, v29, v66, v60
	v_pk_fma_f16 v69, v44, v67, v69
	s_delay_alu instid0(VALU_DEP_2) | instskip(NEXT) | instid1(VALU_DEP_1)
	v_pk_fma_f16 v60, v28, v67, v60
	v_pack_b32_f16 v61, v69, v60
	v_perm_b32 v60, v60, v69, 0x7060302
	s_delay_alu instid0(VALU_DEP_1) | instskip(NEXT) | instid1(VALU_DEP_1)
	v_pk_add_f16 v60, v61, v60
	v_pk_fma_f16 v19, v60, v4, v19
	ds_load_2addr_b32 v[60:61], v68 offset0:128 offset1:129
	;; [unrolled: 62-line block ×3, first 2 shown]
	s_waitcnt lgkmcnt(0)
	v_pk_fma_f16 v62, v59, v60, 0
	s_delay_alu instid0(VALU_DEP_1) | instskip(SKIP_3) | instid1(VALU_DEP_1)
	v_pk_fma_f16 v64, v58, v61, v62
	ds_load_2addr_b32 v[62:63], v68 offset0:194 offset1:195
	s_waitcnt lgkmcnt(0)
	v_pk_fma_f16 v64, v57, v62, v64
	v_pk_fma_f16 v66, v56, v63, v64
	ds_load_2addr_b32 v[64:65], v68 offset0:196 offset1:197
	s_waitcnt lgkmcnt(0)
	v_pk_fma_f16 v66, v55, v64, v66
	s_delay_alu instid0(VALU_DEP_1) | instskip(SKIP_4) | instid1(VALU_DEP_2)
	v_pk_fma_f16 v69, v54, v65, v66
	ds_load_2addr_b32 v[66:67], v68 offset0:198 offset1:199
	s_waitcnt lgkmcnt(0)
	v_pk_fma_f16 v68, v35, v66, v69
	v_pk_fma_f16 v69, v46, v60, 0
	;; [unrolled: 1-line block ×3, first 2 shown]
	s_delay_alu instid0(VALU_DEP_2) | instskip(NEXT) | instid1(VALU_DEP_1)
	v_pk_fma_f16 v69, v47, v61, v69
	v_pk_fma_f16 v69, v48, v62, v69
	s_delay_alu instid0(VALU_DEP_1) | instskip(NEXT) | instid1(VALU_DEP_1)
	v_pk_fma_f16 v69, v49, v63, v69
	v_pk_fma_f16 v69, v50, v64, v69
	s_delay_alu instid0(VALU_DEP_1) | instskip(NEXT) | instid1(VALU_DEP_1)
	;; [unrolled: 3-line block ×3, first 2 shown]
	v_pk_fma_f16 v69, v53, v67, v69
	v_pack_b32_f16 v70, v68, v69
	v_perm_b32 v68, v69, v68, 0x7060302
	s_delay_alu instid0(VALU_DEP_1) | instskip(NEXT) | instid1(VALU_DEP_1)
	v_pk_add_f16 v68, v70, v68
	v_pk_fma_f16 v16, v68, v3, v16
	v_pk_fma_f16 v68, v37, v60, 0
	;; [unrolled: 1-line block ×3, first 2 shown]
	s_delay_alu instid0(VALU_DEP_2) | instskip(NEXT) | instid1(VALU_DEP_2)
	v_pk_fma_f16 v68, v38, v61, v68
	v_pk_fma_f16 v60, v34, v61, v60
	s_delay_alu instid0(VALU_DEP_2) | instskip(NEXT) | instid1(VALU_DEP_2)
	v_pk_fma_f16 v68, v39, v62, v68
	v_pk_fma_f16 v60, v33, v62, v60
	;; [unrolled: 3-line block ×7, first 2 shown]
	s_delay_alu instid0(VALU_DEP_1) | instskip(SKIP_1) | instid1(VALU_DEP_1)
	v_pack_b32_f16 v61, v68, v60
	v_perm_b32 v60, v60, v68, 0x7060302
	v_pk_add_f16 v60, v61, v60
	s_delay_alu instid0(VALU_DEP_1)
	v_pk_fma_f16 v15, v60, v4, v15
	v_mov_b32_e32 v60, s19
	s_add_i32 s19, s2, 0x408
	ds_load_2addr_b32 v[60:61], v60 offset1:1
	s_waitcnt lgkmcnt(0)
	v_pk_fma_f16 v62, v59, v60, 0
	v_pk_fma_f16 v69, v46, v60, 0
	s_delay_alu instid0(VALU_DEP_2) | instskip(SKIP_2) | instid1(VALU_DEP_3)
	v_pk_fma_f16 v64, v58, v61, v62
	v_mov_b32_e32 v62, s19
	s_add_i32 s19, s2, 0x410
	v_pk_fma_f16 v69, v47, v61, v69
	ds_load_2addr_b32 v[62:63], v62 offset1:1
	s_waitcnt lgkmcnt(0)
	v_pk_fma_f16 v64, v57, v62, v64
	v_pk_fma_f16 v69, v48, v62, v69
	s_delay_alu instid0(VALU_DEP_2) | instskip(SKIP_2) | instid1(VALU_DEP_3)
	v_pk_fma_f16 v66, v56, v63, v64
	v_mov_b32_e32 v64, s19
	s_add_i32 s19, s2, 0x418
	v_pk_fma_f16 v69, v49, v63, v69
	ds_load_2addr_b32 v[64:65], v64 offset1:1
	s_waitcnt lgkmcnt(0)
	v_pk_fma_f16 v66, v55, v64, v66
	v_pk_fma_f16 v69, v50, v64, v69
	s_delay_alu instid0(VALU_DEP_2) | instskip(SKIP_1) | instid1(VALU_DEP_3)
	v_pk_fma_f16 v68, v54, v65, v66
	v_mov_b32_e32 v66, s19
	v_pk_fma_f16 v69, v51, v65, v69
	s_add_i32 s19, s2, 0x500
	ds_load_2addr_b32 v[66:67], v66 offset1:1
	s_waitcnt lgkmcnt(0)
	v_pk_fma_f16 v68, v35, v66, v68
	v_pk_fma_f16 v69, v52, v66, v69
	s_delay_alu instid0(VALU_DEP_2) | instskip(NEXT) | instid1(VALU_DEP_2)
	v_pk_fma_f16 v68, v36, v67, v68
	v_pk_fma_f16 v69, v53, v67, v69
	s_delay_alu instid0(VALU_DEP_1) | instskip(SKIP_1) | instid1(VALU_DEP_1)
	v_pack_b32_f16 v70, v68, v69
	v_perm_b32 v68, v69, v68, 0x7060302
	v_pk_add_f16 v68, v70, v68
	s_delay_alu instid0(VALU_DEP_1) | instskip(SKIP_2) | instid1(VALU_DEP_2)
	v_pk_fma_f16 v14, v68, v3, v14
	v_pk_fma_f16 v68, v37, v60, 0
	;; [unrolled: 1-line block ×4, first 2 shown]
	s_delay_alu instid0(VALU_DEP_2) | instskip(NEXT) | instid1(VALU_DEP_2)
	v_pk_fma_f16 v60, v34, v61, v60
	v_pk_fma_f16 v68, v39, v62, v68
	s_delay_alu instid0(VALU_DEP_2) | instskip(NEXT) | instid1(VALU_DEP_2)
	v_pk_fma_f16 v60, v33, v62, v60
	v_pk_fma_f16 v68, v40, v63, v68
	;; [unrolled: 3-line block ×6, first 2 shown]
	s_delay_alu instid0(VALU_DEP_2) | instskip(NEXT) | instid1(VALU_DEP_1)
	v_pk_fma_f16 v60, v28, v67, v60
	v_pack_b32_f16 v61, v68, v60
	v_perm_b32 v60, v60, v68, 0x7060302
	s_delay_alu instid0(VALU_DEP_1) | instskip(NEXT) | instid1(VALU_DEP_1)
	v_pk_add_f16 v60, v61, v60
	v_pk_fma_f16 v13, v60, v4, v13
	v_mov_b32_e32 v60, s19
	s_add_i32 s19, s2, 0x508
	ds_load_2addr_b32 v[60:61], v60 offset1:1
	s_waitcnt lgkmcnt(0)
	v_pk_fma_f16 v62, v59, v60, 0
	v_pk_fma_f16 v69, v46, v60, 0
	s_delay_alu instid0(VALU_DEP_2) | instskip(SKIP_2) | instid1(VALU_DEP_3)
	v_pk_fma_f16 v64, v58, v61, v62
	v_mov_b32_e32 v62, s19
	s_add_i32 s19, s2, 0x510
	v_pk_fma_f16 v69, v47, v61, v69
	ds_load_2addr_b32 v[62:63], v62 offset1:1
	s_waitcnt lgkmcnt(0)
	v_pk_fma_f16 v64, v57, v62, v64
	v_pk_fma_f16 v69, v48, v62, v69
	s_delay_alu instid0(VALU_DEP_2) | instskip(SKIP_2) | instid1(VALU_DEP_3)
	v_pk_fma_f16 v66, v56, v63, v64
	v_mov_b32_e32 v64, s19
	s_add_i32 s19, s2, 0x518
	v_pk_fma_f16 v69, v49, v63, v69
	ds_load_2addr_b32 v[64:65], v64 offset1:1
	s_waitcnt lgkmcnt(0)
	v_pk_fma_f16 v66, v55, v64, v66
	v_pk_fma_f16 v69, v50, v64, v69
	s_delay_alu instid0(VALU_DEP_2) | instskip(SKIP_1) | instid1(VALU_DEP_3)
	v_pk_fma_f16 v68, v54, v65, v66
	v_mov_b32_e32 v66, s19
	v_pk_fma_f16 v69, v51, v65, v69
	s_add_i32 s19, s2, 0x600
	ds_load_2addr_b32 v[66:67], v66 offset1:1
	s_waitcnt lgkmcnt(0)
	v_pk_fma_f16 v68, v35, v66, v68
	v_pk_fma_f16 v69, v52, v66, v69
	s_delay_alu instid0(VALU_DEP_2) | instskip(NEXT) | instid1(VALU_DEP_2)
	v_pk_fma_f16 v68, v36, v67, v68
	v_pk_fma_f16 v69, v53, v67, v69
	s_delay_alu instid0(VALU_DEP_1) | instskip(SKIP_1) | instid1(VALU_DEP_1)
	v_pack_b32_f16 v70, v68, v69
	v_perm_b32 v68, v69, v68, 0x7060302
	v_pk_add_f16 v68, v70, v68
	s_delay_alu instid0(VALU_DEP_1) | instskip(SKIP_2) | instid1(VALU_DEP_2)
	v_pk_fma_f16 v12, v68, v3, v12
	v_pk_fma_f16 v68, v37, v60, 0
	;; [unrolled: 1-line block ×4, first 2 shown]
	s_delay_alu instid0(VALU_DEP_2) | instskip(NEXT) | instid1(VALU_DEP_2)
	v_pk_fma_f16 v60, v34, v61, v60
	v_pk_fma_f16 v68, v39, v62, v68
	s_delay_alu instid0(VALU_DEP_2) | instskip(NEXT) | instid1(VALU_DEP_2)
	v_pk_fma_f16 v60, v33, v62, v60
	v_pk_fma_f16 v68, v40, v63, v68
	s_delay_alu instid0(VALU_DEP_2) | instskip(NEXT) | instid1(VALU_DEP_2)
	v_pk_fma_f16 v60, v32, v63, v60
	v_pk_fma_f16 v68, v41, v64, v68
	s_delay_alu instid0(VALU_DEP_2) | instskip(NEXT) | instid1(VALU_DEP_2)
	v_pk_fma_f16 v60, v31, v64, v60
	v_pk_fma_f16 v68, v42, v65, v68
	s_delay_alu instid0(VALU_DEP_2) | instskip(NEXT) | instid1(VALU_DEP_2)
	v_pk_fma_f16 v60, v30, v65, v60
	v_pk_fma_f16 v68, v43, v66, v68
	s_delay_alu instid0(VALU_DEP_2) | instskip(NEXT) | instid1(VALU_DEP_2)
	v_pk_fma_f16 v60, v29, v66, v60
	v_pk_fma_f16 v68, v44, v67, v68
	s_delay_alu instid0(VALU_DEP_2) | instskip(NEXT) | instid1(VALU_DEP_1)
	v_pk_fma_f16 v60, v28, v67, v60
	v_pack_b32_f16 v61, v68, v60
	v_perm_b32 v60, v60, v68, 0x7060302
	s_delay_alu instid0(VALU_DEP_1) | instskip(NEXT) | instid1(VALU_DEP_1)
	v_pk_add_f16 v60, v61, v60
	v_pk_fma_f16 v11, v60, v4, v11
	v_mov_b32_e32 v60, s19
	s_add_i32 s19, s2, 0x608
	ds_load_2addr_b32 v[60:61], v60 offset1:1
	s_waitcnt lgkmcnt(0)
	v_pk_fma_f16 v62, v59, v60, 0
	v_pk_fma_f16 v69, v46, v60, 0
	s_delay_alu instid0(VALU_DEP_2) | instskip(SKIP_2) | instid1(VALU_DEP_3)
	v_pk_fma_f16 v64, v58, v61, v62
	v_mov_b32_e32 v62, s19
	s_add_i32 s19, s2, 0x610
	v_pk_fma_f16 v69, v47, v61, v69
	ds_load_2addr_b32 v[62:63], v62 offset1:1
	s_waitcnt lgkmcnt(0)
	v_pk_fma_f16 v64, v57, v62, v64
	v_pk_fma_f16 v69, v48, v62, v69
	s_delay_alu instid0(VALU_DEP_2) | instskip(SKIP_2) | instid1(VALU_DEP_3)
	v_pk_fma_f16 v66, v56, v63, v64
	v_mov_b32_e32 v64, s19
	s_add_i32 s19, s2, 0x618
	v_pk_fma_f16 v69, v49, v63, v69
	ds_load_2addr_b32 v[64:65], v64 offset1:1
	s_waitcnt lgkmcnt(0)
	v_pk_fma_f16 v66, v55, v64, v66
	v_pk_fma_f16 v69, v50, v64, v69
	s_delay_alu instid0(VALU_DEP_2) | instskip(SKIP_1) | instid1(VALU_DEP_3)
	v_pk_fma_f16 v68, v54, v65, v66
	v_mov_b32_e32 v66, s19
	v_pk_fma_f16 v69, v51, v65, v69
	s_add_i32 s19, s2, 0x700
	ds_load_2addr_b32 v[66:67], v66 offset1:1
	s_waitcnt lgkmcnt(0)
	v_pk_fma_f16 v68, v35, v66, v68
	v_pk_fma_f16 v69, v52, v66, v69
	s_delay_alu instid0(VALU_DEP_2) | instskip(NEXT) | instid1(VALU_DEP_2)
	v_pk_fma_f16 v68, v36, v67, v68
	v_pk_fma_f16 v69, v53, v67, v69
	s_delay_alu instid0(VALU_DEP_1) | instskip(SKIP_1) | instid1(VALU_DEP_1)
	v_pack_b32_f16 v70, v68, v69
	v_perm_b32 v68, v69, v68, 0x7060302
	v_pk_add_f16 v68, v70, v68
	s_delay_alu instid0(VALU_DEP_1) | instskip(SKIP_2) | instid1(VALU_DEP_2)
	v_pk_fma_f16 v10, v68, v3, v10
	v_pk_fma_f16 v68, v37, v60, 0
	;; [unrolled: 1-line block ×4, first 2 shown]
	s_delay_alu instid0(VALU_DEP_2) | instskip(NEXT) | instid1(VALU_DEP_2)
	v_pk_fma_f16 v60, v34, v61, v60
	v_pk_fma_f16 v68, v39, v62, v68
	s_delay_alu instid0(VALU_DEP_2) | instskip(NEXT) | instid1(VALU_DEP_2)
	v_pk_fma_f16 v60, v33, v62, v60
	v_pk_fma_f16 v68, v40, v63, v68
	;; [unrolled: 3-line block ×6, first 2 shown]
	s_delay_alu instid0(VALU_DEP_2) | instskip(NEXT) | instid1(VALU_DEP_1)
	v_pk_fma_f16 v60, v28, v67, v60
	v_pack_b32_f16 v61, v68, v60
	v_perm_b32 v60, v60, v68, 0x7060302
	s_delay_alu instid0(VALU_DEP_1) | instskip(NEXT) | instid1(VALU_DEP_1)
	v_pk_add_f16 v60, v61, v60
	v_pk_fma_f16 v9, v60, v4, v9
	v_mov_b32_e32 v60, s19
	s_add_i32 s19, s2, 0x708
	ds_load_2addr_b32 v[60:61], v60 offset1:1
	s_waitcnt lgkmcnt(0)
	v_pk_fma_f16 v59, v59, v60, 0
	s_delay_alu instid0(VALU_DEP_1)
	v_pk_fma_f16 v62, v58, v61, v59
	v_mov_b32_e32 v58, s19
	s_add_i32 s19, s2, 0x710
	ds_load_2addr_b32 v[58:59], v58 offset1:1
	s_waitcnt lgkmcnt(0)
	v_pk_fma_f16 v57, v57, v58, v62
	s_delay_alu instid0(VALU_DEP_1)
	v_pk_fma_f16 v62, v56, v59, v57
	v_mov_b32_e32 v56, s19
	s_add_i32 s19, s2, 0x718
	s_add_i32 s2, s2, 32
	s_cmp_ge_i32 s15, s20
	ds_load_2addr_b32 v[56:57], v56 offset1:1
	s_waitcnt lgkmcnt(0)
	v_pk_fma_f16 v55, v55, v56, v62
	s_delay_alu instid0(VALU_DEP_1) | instskip(SKIP_4) | instid1(VALU_DEP_1)
	v_pk_fma_f16 v62, v54, v57, v55
	v_mov_b32_e32 v54, s19
	ds_load_2addr_b32 v[54:55], v54 offset1:1
	s_waitcnt lgkmcnt(0)
	v_pk_fma_f16 v35, v35, v54, v62
	v_pk_fma_f16 v35, v36, v55, v35
	;; [unrolled: 1-line block ×3, first 2 shown]
	s_delay_alu instid0(VALU_DEP_1) | instskip(NEXT) | instid1(VALU_DEP_1)
	v_pk_fma_f16 v36, v47, v61, v36
	v_pk_fma_f16 v36, v48, v58, v36
	s_delay_alu instid0(VALU_DEP_1) | instskip(NEXT) | instid1(VALU_DEP_1)
	v_pk_fma_f16 v36, v49, v59, v36
	v_pk_fma_f16 v36, v50, v56, v36
	s_delay_alu instid0(VALU_DEP_1) | instskip(NEXT) | instid1(VALU_DEP_1)
	v_pk_fma_f16 v36, v51, v57, v36
	v_pk_fma_f16 v36, v52, v54, v36
	s_delay_alu instid0(VALU_DEP_1) | instskip(NEXT) | instid1(VALU_DEP_1)
	v_pk_fma_f16 v36, v53, v55, v36
	v_pack_b32_f16 v46, v35, v36
	v_perm_b32 v35, v36, v35, 0x7060302
	v_pk_fma_f16 v36, v45, v60, 0
	s_delay_alu instid0(VALU_DEP_2) | instskip(NEXT) | instid1(VALU_DEP_2)
	v_pk_add_f16 v35, v46, v35
	v_pk_fma_f16 v34, v34, v61, v36
	s_delay_alu instid0(VALU_DEP_2) | instskip(SKIP_1) | instid1(VALU_DEP_3)
	v_pk_fma_f16 v8, v35, v3, v8
	v_pk_fma_f16 v35, v37, v60, 0
	;; [unrolled: 1-line block ×3, first 2 shown]
	s_delay_alu instid0(VALU_DEP_2) | instskip(NEXT) | instid1(VALU_DEP_2)
	v_pk_fma_f16 v35, v38, v61, v35
	v_pk_fma_f16 v32, v32, v59, v33
	s_delay_alu instid0(VALU_DEP_2) | instskip(NEXT) | instid1(VALU_DEP_2)
	v_pk_fma_f16 v35, v39, v58, v35
	v_pk_fma_f16 v31, v31, v56, v32
	;; [unrolled: 3-line block ×5, first 2 shown]
	s_delay_alu instid0(VALU_DEP_2) | instskip(NEXT) | instid1(VALU_DEP_1)
	v_pk_fma_f16 v35, v43, v54, v35
	v_pk_fma_f16 v35, v44, v55, v35
	s_delay_alu instid0(VALU_DEP_1) | instskip(SKIP_1) | instid1(VALU_DEP_1)
	v_pack_b32_f16 v29, v35, v28
	v_perm_b32 v28, v28, v35, 0x7060302
	v_pk_add_f16 v28, v29, v28
	s_delay_alu instid0(VALU_DEP_1)
	v_pk_fma_f16 v7, v28, v4, v7
	s_cbranch_scc1 .LBB43_24
.LBB43_22:                              ; =>This Inner Loop Header: Depth=1
	s_cmp_lg_u32 s15, s18
	s_cbranch_scc1 .LBB43_21
; %bb.23:                               ;   in Loop: Header=BB43_22 Depth=1
	s_add_i32 s13, s13, 1
	s_add_i32 s18, s18, s3
	s_mul_i32 s19, s13, s16
	s_delay_alu instid0(SALU_CYCLE_1) | instskip(SKIP_2) | instid1(SALU_CYCLE_1)
	s_ashr_i32 s21, s19, 31
	v_add_nc_u32_e32 v24, s19, v1
	s_lshr_b32 s21, s21, 28
	s_add_i32 s21, s19, s21
	s_delay_alu instid0(VALU_DEP_1) | instskip(SKIP_3) | instid1(VALU_DEP_2)
	v_ashrrev_i32_e32 v25, 31, v24
	s_ashr_i32 s21, s21, 4
	s_waitcnt vmcnt(0)
	v_add_nc_u32_e32 v3, s21, v22
	v_lshlrev_b64 v[24:25], 1, v[24:25]
	s_delay_alu instid0(VALU_DEP_2) | instskip(NEXT) | instid1(VALU_DEP_1)
	v_ashrrev_i32_e32 v4, 31, v3
	v_lshlrev_b64 v[3:4], 2, v[3:4]
	s_delay_alu instid0(VALU_DEP_1) | instskip(NEXT) | instid1(VALU_DEP_2)
	v_add_co_u32 v3, vcc_lo, s6, v3
	v_add_co_ci_u32_e32 v4, vcc_lo, s7, v4, vcc_lo
	global_load_b32 v26, v[3:4], off
	v_add_co_u32 v3, vcc_lo, s8, v24
	v_add_co_ci_u32_e32 v4, vcc_lo, s9, v25, vcc_lo
	global_load_b64 v[3:4], v[3:4], off
	s_waitcnt vmcnt(1)
	v_lshrrev_b32_e32 v27, v0, v26
	v_bfe_u32 v24, v26, v0, 2
	s_delay_alu instid0(VALU_DEP_2)
	v_bfe_u32 v25, v27, 2, 2
	v_bfe_u32 v26, v27, 4, 2
	;; [unrolled: 1-line block ×3, first 2 shown]
	s_branch .LBB43_21
.LBB43_24:
	v_mad_u64_u32 v[2:3], null, s12, s16, v[1:2]
	s_mov_b32 s0, 0
	s_delay_alu instid0(VALU_DEP_1) | instskip(NEXT) | instid1(VALU_DEP_1)
	v_ashrrev_i32_e32 v3, 31, v2
	v_lshlrev_b64 v[0:1], 1, v[2:3]
	s_delay_alu instid0(VALU_DEP_1) | instskip(NEXT) | instid1(VALU_DEP_2)
	v_add_co_u32 v0, vcc_lo, s10, v0
	v_add_co_ci_u32_e32 v1, vcc_lo, s11, v1, vcc_lo
	global_load_b32 v4, v[0:1], off
.LBB43_25:                              ; =>This Inner Loop Header: Depth=1
	s_waitcnt vmcnt(0)
	v_pk_add_f16 v3, v23, v4
	global_atomic_cmpswap_b32 v3, v[0:1], v[3:4], off glc
	s_waitcnt vmcnt(0)
	v_cmp_eq_u32_e32 vcc_lo, v4, v3
	v_mov_b32_e32 v4, v3
	s_or_b32 s0, vcc_lo, s0
	s_delay_alu instid0(SALU_CYCLE_1)
	s_and_not1_b32 exec_lo, exec_lo, s0
	s_cbranch_execnz .LBB43_25
; %bb.26:
	s_or_b32 exec_lo, exec_lo, s0
	global_load_b32 v4, v[0:1], off offset:4
	s_mov_b32 s0, 0
.LBB43_27:                              ; =>This Inner Loop Header: Depth=1
	s_waitcnt vmcnt(0)
	v_pk_add_f16 v3, v21, v4
	global_atomic_cmpswap_b32 v3, v[0:1], v[3:4], off offset:4 glc
	s_waitcnt vmcnt(0)
	v_cmp_eq_u32_e32 vcc_lo, v4, v3
	v_mov_b32_e32 v4, v3
	s_or_b32 s0, vcc_lo, s0
	s_delay_alu instid0(SALU_CYCLE_1)
	s_and_not1_b32 exec_lo, exec_lo, s0
	s_cbranch_execnz .LBB43_27
; %bb.28:
	s_or_b32 exec_lo, exec_lo, s0
	v_add_nc_u32_e32 v0, s16, v2
	s_mov_b32 s0, 0
	s_delay_alu instid0(VALU_DEP_1) | instskip(NEXT) | instid1(VALU_DEP_1)
	v_ashrrev_i32_e32 v1, 31, v0
	v_lshlrev_b64 v[1:2], 1, v[0:1]
	s_delay_alu instid0(VALU_DEP_1) | instskip(NEXT) | instid1(VALU_DEP_2)
	v_add_co_u32 v1, vcc_lo, s10, v1
	v_add_co_ci_u32_e32 v2, vcc_lo, s11, v2, vcc_lo
	global_load_b32 v4, v[1:2], off
.LBB43_29:                              ; =>This Inner Loop Header: Depth=1
	s_waitcnt vmcnt(0)
	v_pk_add_f16 v3, v20, v4
	global_atomic_cmpswap_b32 v3, v[1:2], v[3:4], off glc
	s_waitcnt vmcnt(0)
	v_cmp_eq_u32_e32 vcc_lo, v4, v3
	v_mov_b32_e32 v4, v3
	s_or_b32 s0, vcc_lo, s0
	s_delay_alu instid0(SALU_CYCLE_1)
	s_and_not1_b32 exec_lo, exec_lo, s0
	s_cbranch_execnz .LBB43_29
; %bb.30:
	s_or_b32 exec_lo, exec_lo, s0
	global_load_b32 v4, v[1:2], off offset:4
	s_mov_b32 s0, 0
.LBB43_31:                              ; =>This Inner Loop Header: Depth=1
	s_waitcnt vmcnt(0)
	v_pk_add_f16 v3, v19, v4
	global_atomic_cmpswap_b32 v3, v[1:2], v[3:4], off offset:4 glc
	s_waitcnt vmcnt(0)
	v_cmp_eq_u32_e32 vcc_lo, v4, v3
	v_mov_b32_e32 v4, v3
	s_or_b32 s0, vcc_lo, s0
	s_delay_alu instid0(SALU_CYCLE_1)
	s_and_not1_b32 exec_lo, exec_lo, s0
	s_cbranch_execnz .LBB43_31
; %bb.32:
	s_or_b32 exec_lo, exec_lo, s0
	v_add_nc_u32_e32 v0, s16, v0
	;; [unrolled: 37-line block ×7, first 2 shown]
	s_mov_b32 s0, 0
	s_delay_alu instid0(VALU_DEP_1) | instskip(NEXT) | instid1(VALU_DEP_1)
	v_ashrrev_i32_e32 v1, 31, v0
	v_lshlrev_b64 v[0:1], 1, v[0:1]
	s_delay_alu instid0(VALU_DEP_1) | instskip(NEXT) | instid1(VALU_DEP_2)
	v_add_co_u32 v0, vcc_lo, s10, v0
	v_add_co_ci_u32_e32 v1, vcc_lo, s11, v1, vcc_lo
	global_load_b32 v3, v[0:1], off
.LBB43_53:                              ; =>This Inner Loop Header: Depth=1
	s_waitcnt vmcnt(0)
	v_pk_add_f16 v2, v8, v3
	global_atomic_cmpswap_b32 v2, v[0:1], v[2:3], off glc
	s_waitcnt vmcnt(0)
	v_cmp_eq_u32_e32 vcc_lo, v3, v2
	v_mov_b32_e32 v3, v2
	s_or_b32 s0, vcc_lo, s0
	s_delay_alu instid0(SALU_CYCLE_1)
	s_and_not1_b32 exec_lo, exec_lo, s0
	s_cbranch_execnz .LBB43_53
; %bb.54:
	s_or_b32 exec_lo, exec_lo, s0
	global_load_b32 v3, v[0:1], off offset:4
	s_mov_b32 s0, 0
.LBB43_55:                              ; =>This Inner Loop Header: Depth=1
	s_waitcnt vmcnt(0)
	v_pk_add_f16 v2, v7, v3
	global_atomic_cmpswap_b32 v2, v[0:1], v[2:3], off offset:4 glc
	s_waitcnt vmcnt(0)
	v_cmp_eq_u32_e32 vcc_lo, v3, v2
	v_mov_b32_e32 v3, v2
	s_or_b32 s0, vcc_lo, s0
	s_delay_alu instid0(SALU_CYCLE_1)
	s_and_not1_b32 exec_lo, exec_lo, s0
	s_cbranch_execnz .LBB43_55
.LBB43_56:
	s_endpgm
	.section	.rodata,"a",@progbits
	.p2align	6, 0x0
	.amdhsa_kernel _ZN4vllm4gptq33gemm_half_q_half_gptq_2bit_kernelILb1ELi8EEEvPK6__halfPKjS6_S4_PS2_iiiibPKi
		.amdhsa_group_segment_fixed_size 2048
		.amdhsa_private_segment_fixed_size 0
		.amdhsa_kernarg_size 72
		.amdhsa_user_sgpr_count 13
		.amdhsa_user_sgpr_dispatch_ptr 0
		.amdhsa_user_sgpr_queue_ptr 0
		.amdhsa_user_sgpr_kernarg_segment_ptr 1
		.amdhsa_user_sgpr_dispatch_id 0
		.amdhsa_user_sgpr_private_segment_size 0
		.amdhsa_wavefront_size32 1
		.amdhsa_uses_dynamic_stack 0
		.amdhsa_enable_private_segment 0
		.amdhsa_system_sgpr_workgroup_id_x 1
		.amdhsa_system_sgpr_workgroup_id_y 1
		.amdhsa_system_sgpr_workgroup_id_z 1
		.amdhsa_system_sgpr_workgroup_info 0
		.amdhsa_system_vgpr_workitem_id 0
		.amdhsa_next_free_vgpr 72
		.amdhsa_next_free_sgpr 24
		.amdhsa_reserve_vcc 1
		.amdhsa_float_round_mode_32 0
		.amdhsa_float_round_mode_16_64 0
		.amdhsa_float_denorm_mode_32 3
		.amdhsa_float_denorm_mode_16_64 3
		.amdhsa_dx10_clamp 1
		.amdhsa_ieee_mode 1
		.amdhsa_fp16_overflow 0
		.amdhsa_workgroup_processor_mode 1
		.amdhsa_memory_ordered 1
		.amdhsa_forward_progress 0
		.amdhsa_shared_vgpr_count 0
		.amdhsa_exception_fp_ieee_invalid_op 0
		.amdhsa_exception_fp_denorm_src 0
		.amdhsa_exception_fp_ieee_div_zero 0
		.amdhsa_exception_fp_ieee_overflow 0
		.amdhsa_exception_fp_ieee_underflow 0
		.amdhsa_exception_fp_ieee_inexact 0
		.amdhsa_exception_int_div_zero 0
	.end_amdhsa_kernel
	.section	.text._ZN4vllm4gptq33gemm_half_q_half_gptq_2bit_kernelILb1ELi8EEEvPK6__halfPKjS6_S4_PS2_iiiibPKi,"axG",@progbits,_ZN4vllm4gptq33gemm_half_q_half_gptq_2bit_kernelILb1ELi8EEEvPK6__halfPKjS6_S4_PS2_iiiibPKi,comdat
.Lfunc_end43:
	.size	_ZN4vllm4gptq33gemm_half_q_half_gptq_2bit_kernelILb1ELi8EEEvPK6__halfPKjS6_S4_PS2_iiiibPKi, .Lfunc_end43-_ZN4vllm4gptq33gemm_half_q_half_gptq_2bit_kernelILb1ELi8EEEvPK6__halfPKjS6_S4_PS2_iiiibPKi
                                        ; -- End function
	.section	.AMDGPU.csdata,"",@progbits
; Kernel info:
; codeLenInByte = 7844
; NumSgprs: 26
; NumVgprs: 72
; ScratchSize: 0
; MemoryBound: 0
; FloatMode: 240
; IeeeMode: 1
; LDSByteSize: 2048 bytes/workgroup (compile time only)
; SGPRBlocks: 3
; VGPRBlocks: 8
; NumSGPRsForWavesPerEU: 26
; NumVGPRsForWavesPerEU: 72
; Occupancy: 16
; WaveLimiterHint : 0
; COMPUTE_PGM_RSRC2:SCRATCH_EN: 0
; COMPUTE_PGM_RSRC2:USER_SGPR: 13
; COMPUTE_PGM_RSRC2:TRAP_HANDLER: 0
; COMPUTE_PGM_RSRC2:TGID_X_EN: 1
; COMPUTE_PGM_RSRC2:TGID_Y_EN: 1
; COMPUTE_PGM_RSRC2:TGID_Z_EN: 1
; COMPUTE_PGM_RSRC2:TIDIG_COMP_CNT: 0
	.section	.text._ZN4vllm4gptq33gemm_half_q_half_gptq_3bit_kernelILb1ELi8EEEvPK6__halfPKjS6_S4_PS2_iiiibPKi,"axG",@progbits,_ZN4vllm4gptq33gemm_half_q_half_gptq_3bit_kernelILb1ELi8EEEvPK6__halfPKjS6_S4_PS2_iiiibPKi,comdat
	.protected	_ZN4vllm4gptq33gemm_half_q_half_gptq_3bit_kernelILb1ELi8EEEvPK6__halfPKjS6_S4_PS2_iiiibPKi ; -- Begin function _ZN4vllm4gptq33gemm_half_q_half_gptq_3bit_kernelILb1ELi8EEEvPK6__halfPKjS6_S4_PS2_iiiibPKi
	.globl	_ZN4vllm4gptq33gemm_half_q_half_gptq_3bit_kernelILb1ELi8EEEvPK6__halfPKjS6_S4_PS2_iiiibPKi
	.p2align	8
	.type	_ZN4vllm4gptq33gemm_half_q_half_gptq_3bit_kernelILb1ELi8EEEvPK6__halfPKjS6_S4_PS2_iiiibPKi,@function
_ZN4vllm4gptq33gemm_half_q_half_gptq_3bit_kernelILb1ELi8EEEvPK6__halfPKjS6_S4_PS2_iiiibPKi: ; @_ZN4vllm4gptq33gemm_half_q_half_gptq_3bit_kernelILb1ELi8EEEvPK6__halfPKjS6_S4_PS2_iiiibPKi
; %bb.0:
	s_load_b128 s[16:19], s[0:1], 0x2c
	s_lshl_b32 s15, s15, 7
	s_load_b256 s[4:11], s[0:1], 0x8
	s_add_i32 s2, s15, 0x80
	s_lshl_b32 s12, s14, 3
	v_cvt_f64_u32_e32 v[1:2], s2
	s_mov_b32 s14, exec_lo
	s_waitcnt lgkmcnt(0)
	v_cvt_f64_i32_e32 v[3:4], s17
	s_delay_alu instid0(VALU_DEP_1) | instskip(NEXT) | instid1(VALU_DEP_1)
	v_min_f64 v[1:2], v[1:2], v[3:4]
	v_cvt_i32_f64_e32 v2, v[1:2]
	v_add_nc_u32_e32 v1, s15, v0
	s_delay_alu instid0(VALU_DEP_2) | instskip(NEXT) | instid1(VALU_DEP_2)
	v_readfirstlane_b32 s20, v2
	v_cmpx_lt_u32_e64 v1, v2
	s_cbranch_execz .LBB44_18
; %bb.1:
	s_clause 0x1
	s_load_b64 s[2:3], s[0:1], 0x40
	s_load_b64 s[0:1], s[0:1], 0x0
	v_mov_b32_e32 v2, 0
	s_delay_alu instid0(VALU_DEP_1) | instskip(SKIP_2) | instid1(VALU_DEP_2)
	v_lshlrev_b64 v[3:4], 2, v[1:2]
	v_dual_mov_b32 v6, v2 :: v_dual_mov_b32 v5, v1
	s_waitcnt lgkmcnt(0)
	v_add_co_u32 v3, vcc_lo, s2, v3
	s_delay_alu instid0(VALU_DEP_3)
	v_add_co_ci_u32_e32 v4, vcc_lo, s3, v4, vcc_lo
	s_cmp_lg_u64 s[2:3], 0
	s_cselect_b32 s21, -1, 0
	s_cmp_eq_u64 s[2:3], 0
	s_cbranch_scc1 .LBB44_3
; %bb.2:
	global_load_b32 v5, v[3:4], off
	s_waitcnt vmcnt(0)
	v_ashrrev_i32_e32 v6, 31, v5
.LBB44_3:
	s_mul_i32 s2, s12, s17
	s_delay_alu instid0(VALU_DEP_1)
	v_lshlrev_b64 v[5:6], 1, v[5:6]
	s_ashr_i32 s3, s2, 31
	v_lshlrev_b32_e32 v7, 1, v0
	s_lshl_b64 s[22:23], s[2:3], 1
	v_cndmask_b32_e64 v8, 0, 1, s21
	s_add_u32 s3, s0, s22
	s_addc_u32 s22, s1, s23
	v_add_co_u32 v5, vcc_lo, s3, v5
	v_add_co_ci_u32_e32 v6, vcc_lo, s22, v6, vcc_lo
	s_and_not1_b32 vcc_lo, exec_lo, s21
	global_load_u16 v9, v[5:6], off
	v_dual_mov_b32 v6, v2 :: v_dual_mov_b32 v5, v1
	s_waitcnt vmcnt(0)
	ds_store_b16 v7, v9
	s_cbranch_vccnz .LBB44_5
; %bb.4:
	global_load_b32 v5, v[3:4], off
	s_waitcnt vmcnt(0)
	v_ashrrev_i32_e32 v6, 31, v5
.LBB44_5:
	s_add_i32 s2, s2, s17
	s_delay_alu instid0(VALU_DEP_1) | instskip(SKIP_1) | instid1(SALU_CYCLE_1)
	v_lshlrev_b64 v[5:6], 1, v[5:6]
	s_ashr_i32 s3, s2, 31
	s_lshl_b64 s[22:23], s[2:3], 1
	s_delay_alu instid0(SALU_CYCLE_1) | instskip(SKIP_1) | instid1(VALU_DEP_1)
	s_add_u32 s3, s0, s22
	s_addc_u32 s21, s1, s23
	v_add_co_u32 v5, vcc_lo, s3, v5
	v_add_co_ci_u32_e32 v6, vcc_lo, s21, v6, vcc_lo
	v_cmp_ne_u32_e32 vcc_lo, 1, v8
	global_load_u16 v9, v[5:6], off
	v_dual_mov_b32 v6, v2 :: v_dual_mov_b32 v5, v1
	s_waitcnt vmcnt(0)
	ds_store_b16 v7, v9 offset:256
	s_cbranch_vccnz .LBB44_7
; %bb.6:
	global_load_b32 v5, v[3:4], off
	s_waitcnt vmcnt(0)
	v_ashrrev_i32_e32 v6, 31, v5
.LBB44_7:
	s_add_i32 s2, s2, s17
	s_delay_alu instid0(VALU_DEP_1) | instskip(SKIP_1) | instid1(SALU_CYCLE_1)
	v_lshlrev_b64 v[5:6], 1, v[5:6]
	s_ashr_i32 s3, s2, 31
	s_lshl_b64 s[22:23], s[2:3], 1
	s_delay_alu instid0(SALU_CYCLE_1) | instskip(SKIP_1) | instid1(VALU_DEP_1)
	s_add_u32 s3, s0, s22
	s_addc_u32 s21, s1, s23
	v_add_co_u32 v5, vcc_lo, s3, v5
	v_add_co_ci_u32_e32 v6, vcc_lo, s21, v6, vcc_lo
	v_cmp_ne_u32_e32 vcc_lo, 1, v8
	global_load_u16 v9, v[5:6], off
	v_dual_mov_b32 v6, v2 :: v_dual_mov_b32 v5, v1
	s_waitcnt vmcnt(0)
	ds_store_b16 v7, v9 offset:512
	;; [unrolled: 21-line block ×5, first 2 shown]
	s_cbranch_vccnz .LBB44_15
; %bb.14:
	global_load_b32 v5, v[3:4], off
	s_waitcnt vmcnt(0)
	v_ashrrev_i32_e32 v6, 31, v5
.LBB44_15:
	s_add_i32 s2, s2, s17
	s_delay_alu instid0(VALU_DEP_1) | instskip(SKIP_1) | instid1(SALU_CYCLE_1)
	v_lshlrev_b64 v[5:6], 1, v[5:6]
	s_ashr_i32 s3, s2, 31
	s_lshl_b64 s[22:23], s[2:3], 1
	s_delay_alu instid0(SALU_CYCLE_1) | instskip(SKIP_1) | instid1(VALU_DEP_1)
	s_add_u32 s3, s0, s22
	s_addc_u32 s21, s1, s23
	v_add_co_u32 v5, vcc_lo, s3, v5
	v_add_co_ci_u32_e32 v6, vcc_lo, s21, v6, vcc_lo
	v_cmp_ne_u32_e32 vcc_lo, 1, v8
	global_load_u16 v5, v[5:6], off
	s_waitcnt vmcnt(0)
	ds_store_b16 v7, v5 offset:1536
	s_cbranch_vccnz .LBB44_17
; %bb.16:
	global_load_b32 v1, v[3:4], off
	s_waitcnt vmcnt(0)
	v_ashrrev_i32_e32 v2, 31, v1
.LBB44_17:
	s_add_i32 s2, s2, s17
	s_delay_alu instid0(VALU_DEP_1) | instskip(SKIP_1) | instid1(SALU_CYCLE_1)
	v_lshlrev_b64 v[1:2], 1, v[1:2]
	s_ashr_i32 s3, s2, 31
	s_lshl_b64 s[2:3], s[2:3], 1
	s_delay_alu instid0(SALU_CYCLE_1) | instskip(SKIP_1) | instid1(VALU_DEP_1)
	s_add_u32 s0, s0, s2
	s_addc_u32 s1, s1, s3
	v_add_co_u32 v1, vcc_lo, s0, v1
	v_add_co_ci_u32_e32 v2, vcc_lo, s1, v2, vcc_lo
	global_load_u16 v1, v[1:2], off
	s_waitcnt vmcnt(0)
	ds_store_b16 v7, v1 offset:1792
.LBB44_18:
	s_or_b32 exec_lo, exec_lo, s14
	v_lshlrev_b32_e32 v1, 2, v0
	s_mov_b32 s0, exec_lo
	s_delay_alu instid0(VALU_DEP_1) | instskip(NEXT) | instid1(VALU_DEP_1)
	v_lshl_add_u32 v0, s13, 9, v1
	v_cmpx_gt_i32_e64 s16, v0
	s_cbranch_execz .LBB44_88
; %bb.19:
	s_abs_i32 s0, s18
	s_abs_i32 s3, s17
	v_cvt_f32_u32_e32 v2, s0
	s_sub_i32 s2, 0, s0
	s_waitcnt lgkmcnt(0)
	s_barrier
	buffer_gl0_inv
	v_rcp_iflag_f32_e32 v2, v2
                                        ; implicit-def: $vgpr4
                                        ; implicit-def: $vgpr5
	v_and_b32_e32 v3, 28, v1
	s_delay_alu instid0(VALU_DEP_1) | instskip(SKIP_2) | instid1(VALU_DEP_1)
	v_cmp_lt_u32_e32 vcc_lo, 4, v3
	s_waitcnt_depctr 0xfff
	v_mul_f32_e32 v2, 0x4f7ffffe, v2
	v_cvt_u32_f32_e32 v2, v2
	s_delay_alu instid0(VALU_DEP_1) | instskip(NEXT) | instid1(VALU_DEP_1)
	v_readfirstlane_b32 s1, v2
	s_mul_i32 s2, s2, s1
	s_delay_alu instid0(SALU_CYCLE_1) | instskip(NEXT) | instid1(SALU_CYCLE_1)
	s_mul_hi_u32 s2, s1, s2
	s_add_i32 s1, s1, s2
	s_xor_b32 s2, s17, s18
	s_mul_hi_u32 s1, s3, s1
	s_ashr_i32 s2, s2, 31
	s_mul_i32 s13, s1, s0
	s_delay_alu instid0(SALU_CYCLE_1)
	s_sub_i32 s3, s3, s13
	s_add_i32 s13, s1, 1
	s_sub_i32 s14, s3, s0
	s_cmp_ge_u32 s3, s0
	s_cselect_b32 s1, s13, s1
	s_cselect_b32 s3, s14, s3
	s_add_i32 s13, s1, 1
	s_cmp_ge_u32 s3, s0
	s_cselect_b32 s0, s13, s1
	s_delay_alu instid0(SALU_CYCLE_1) | instskip(NEXT) | instid1(SALU_CYCLE_1)
	s_xor_b32 s0, s0, s2
	s_sub_i32 s13, s0, s2
	s_delay_alu instid0(SALU_CYCLE_1) | instskip(SKIP_1) | instid1(VALU_DEP_1)
	v_cvt_f32_u32_e32 v2, s13
	s_sub_i32 s1, 0, s13
	v_rcp_iflag_f32_e32 v2, v2
	s_waitcnt_depctr 0xfff
	v_mul_f32_e32 v2, 0x4f7ffffe, v2
	s_delay_alu instid0(VALU_DEP_1) | instskip(NEXT) | instid1(VALU_DEP_1)
	v_cvt_u32_f32_e32 v2, v2
	v_readfirstlane_b32 s0, v2
	s_delay_alu instid0(VALU_DEP_1) | instskip(NEXT) | instid1(SALU_CYCLE_1)
	s_mul_i32 s1, s1, s0
	s_mul_hi_u32 s1, s0, s1
	s_delay_alu instid0(SALU_CYCLE_1) | instskip(NEXT) | instid1(SALU_CYCLE_1)
	s_add_i32 s0, s0, s1
	s_mul_hi_u32 s0, s15, s0
	s_delay_alu instid0(SALU_CYCLE_1) | instskip(SKIP_2) | instid1(SALU_CYCLE_1)
	s_mul_i32 s1, s0, s13
	s_add_i32 s2, s0, 1
	s_sub_i32 s1, s15, s1
	s_sub_i32 s3, s1, s13
	s_cmp_ge_u32 s1, s13
	s_cselect_b32 s0, s2, s0
	s_cselect_b32 s1, s3, s1
	s_add_i32 s2, s0, 1
	s_cmp_ge_u32 s1, s13
	s_cselect_b32 s14, s2, s0
	s_and_saveexec_b32 s0, vcc_lo
	s_delay_alu instid0(SALU_CYCLE_1)
	s_xor_b32 s1, exec_lo, s0
	s_cbranch_execz .LBB44_33
; %bb.20:
	s_mov_b32 s2, exec_lo
                                        ; implicit-def: $vgpr4
                                        ; implicit-def: $vgpr5
	v_cmpx_ne_u32_e32 8, v3
	s_xor_b32 s2, exec_lo, s2
	s_cbranch_execz .LBB44_30
; %bb.21:
	s_mov_b32 s3, exec_lo
                                        ; implicit-def: $vgpr4
                                        ; implicit-def: $vgpr5
	v_cmpx_lt_u32_e32 16, v3
	s_xor_b32 s3, exec_lo, s3
	s_cbranch_execz .LBB44_27
; %bb.22:
	v_lshl_add_u32 v1, v0, 1, v0
	s_mul_i32 s17, s14, s16
	s_delay_alu instid0(SALU_CYCLE_1) | instskip(NEXT) | instid1(SALU_CYCLE_1)
	s_ashr_i32 s0, s17, 31
	s_lshr_b32 s0, s0, 27
	s_delay_alu instid0(VALU_DEP_1) | instskip(SKIP_1) | instid1(SALU_CYCLE_1)
	v_ashrrev_i32_e32 v2, 31, v1
	s_add_i32 s0, s17, s0
	s_ashr_i32 s0, s0, 5
	s_delay_alu instid0(VALU_DEP_1) | instskip(NEXT) | instid1(VALU_DEP_1)
	v_lshrrev_b32_e32 v2, 27, v2
	v_add_nc_u32_e32 v1, v1, v2
	s_delay_alu instid0(VALU_DEP_1) | instskip(NEXT) | instid1(VALU_DEP_1)
	v_ashrrev_i32_e32 v1, 5, v1
	v_mad_u64_u32 v[4:5], null, s0, 3, v[1:2]
	s_delay_alu instid0(VALU_DEP_1) | instskip(NEXT) | instid1(VALU_DEP_1)
	v_ashrrev_i32_e32 v5, 31, v4
	v_lshlrev_b64 v[1:2], 2, v[4:5]
                                        ; implicit-def: $vgpr4
	s_delay_alu instid0(VALU_DEP_1) | instskip(NEXT) | instid1(VALU_DEP_1)
	v_add_co_u32 v1, s0, s6, v1
	v_add_co_ci_u32_e64 v2, s0, s7, v2, s0
	v_cmp_ne_u32_e64 s0, 20, v3
	global_load_b32 v6, v[1:2], off
	s_and_saveexec_b32 s18, s0
	s_delay_alu instid0(SALU_CYCLE_1)
	s_xor_b32 s0, exec_lo, s18
	s_cbranch_execz .LBB44_24
; %bb.23:
	v_mad_u32_u24 v1, v3, 3, 0xffffffc0
	s_waitcnt vmcnt(0)
	s_delay_alu instid0(VALU_DEP_1)
	v_lshrrev_b32_e32 v4, v1, v6
                                        ; implicit-def: $vgpr1_vgpr2
                                        ; implicit-def: $vgpr6
.LBB44_24:
	s_or_saveexec_b32 s0, s0
	v_mov_b32_e32 v5, s17
	s_xor_b32 exec_lo, exec_lo, s0
	s_cbranch_execz .LBB44_26
; %bb.25:
	global_load_b32 v1, v[1:2], off offset:4
	v_mov_b32_e32 v5, s17
	s_waitcnt vmcnt(0)
	v_alignbit_b32 v1, v1, v6, 28
	s_delay_alu instid0(VALU_DEP_1)
	v_and_b32_e32 v4, 0xfff, v1
.LBB44_26:
	s_or_b32 exec_lo, exec_lo, s0
.LBB44_27:
	s_and_not1_saveexec_b32 s3, s3
	s_cbranch_execz .LBB44_29
; %bb.28:
	v_lshl_add_u32 v1, v0, 1, v0
	s_mul_i32 s17, s14, s16
	s_delay_alu instid0(SALU_CYCLE_1) | instskip(NEXT) | instid1(SALU_CYCLE_1)
	s_ashr_i32 s0, s17, 31
	s_lshr_b32 s0, s0, 27
	s_delay_alu instid0(VALU_DEP_1) | instskip(SKIP_1) | instid1(SALU_CYCLE_1)
	v_ashrrev_i32_e32 v2, 31, v1
	s_add_i32 s0, s17, s0
	s_ashr_i32 s0, s0, 5
	s_delay_alu instid0(VALU_DEP_1) | instskip(NEXT) | instid1(VALU_DEP_1)
	v_lshrrev_b32_e32 v2, 27, v2
	v_add_nc_u32_e32 v1, v1, v2
	s_delay_alu instid0(VALU_DEP_1) | instskip(NEXT) | instid1(VALU_DEP_1)
	v_ashrrev_i32_e32 v1, 5, v1
	v_mad_u64_u32 v[4:5], null, s0, 3, v[1:2]
	s_delay_alu instid0(VALU_DEP_1) | instskip(NEXT) | instid1(VALU_DEP_1)
	v_ashrrev_i32_e32 v5, 31, v4
	v_lshlrev_b64 v[1:2], 2, v[4:5]
	v_mov_b32_e32 v5, s17
	s_delay_alu instid0(VALU_DEP_2) | instskip(NEXT) | instid1(VALU_DEP_1)
	v_add_co_u32 v1, s0, s6, v1
	v_add_co_ci_u32_e64 v2, s0, s7, v2, s0
	global_load_b32 v1, v[1:2], off
	v_mad_u32_u24 v2, v3, 3, 0xffffffe0
	s_waitcnt vmcnt(0)
	s_delay_alu instid0(VALU_DEP_1)
	v_lshrrev_b32_e32 v4, v2, v1
.LBB44_29:
	s_or_b32 exec_lo, exec_lo, s3
.LBB44_30:
	s_and_not1_saveexec_b32 s2, s2
	s_cbranch_execz .LBB44_32
; %bb.31:
	v_lshl_add_u32 v1, v0, 1, v0
	s_mul_i32 s3, s14, s16
	s_delay_alu instid0(SALU_CYCLE_1) | instskip(NEXT) | instid1(SALU_CYCLE_1)
	s_ashr_i32 s0, s3, 31
	s_lshr_b32 s0, s0, 27
	s_delay_alu instid0(VALU_DEP_1) | instskip(SKIP_1) | instid1(SALU_CYCLE_1)
	v_ashrrev_i32_e32 v2, 31, v1
	s_add_i32 s0, s3, s0
	s_ashr_i32 s0, s0, 5
	s_delay_alu instid0(VALU_DEP_1) | instskip(NEXT) | instid1(VALU_DEP_1)
	v_lshrrev_b32_e32 v2, 27, v2
	v_add_nc_u32_e32 v1, v1, v2
	s_delay_alu instid0(VALU_DEP_1) | instskip(NEXT) | instid1(VALU_DEP_1)
	v_ashrrev_i32_e32 v1, 5, v1
	v_mad_u64_u32 v[4:5], null, s0, 3, v[1:2]
	s_delay_alu instid0(VALU_DEP_1) | instskip(NEXT) | instid1(VALU_DEP_1)
	v_ashrrev_i32_e32 v5, 31, v4
	v_lshlrev_b64 v[1:2], 2, v[4:5]
	v_mov_b32_e32 v5, s3
	s_delay_alu instid0(VALU_DEP_2) | instskip(NEXT) | instid1(VALU_DEP_1)
	v_add_co_u32 v1, s0, s6, v1
	v_add_co_ci_u32_e64 v2, s0, s7, v2, s0
	global_load_b64 v[1:2], v[1:2], off
	s_waitcnt vmcnt(0)
	v_perm_b32 v1, v1, v2, 0x2010007
	s_delay_alu instid0(VALU_DEP_1)
	v_and_b32_e32 v4, 0xfff, v1
.LBB44_32:
	s_or_b32 exec_lo, exec_lo, s2
.LBB44_33:
	s_or_saveexec_b32 s1, s1
	v_lshl_add_u32 v2, v0, 1, v0
	v_mul_u32_u24_e32 v33, 3, v3
	s_delay_alu instid0(VALU_DEP_2)
	v_ashrrev_i32_e32 v7, 31, v2
	s_xor_b32 exec_lo, exec_lo, s1
	s_cbranch_execz .LBB44_35
; %bb.34:
	s_delay_alu instid0(VALU_DEP_1) | instskip(SKIP_1) | instid1(SALU_CYCLE_1)
	v_lshrrev_b32_e32 v1, 27, v7
	s_mul_i32 s2, s14, s16
	s_ashr_i32 s0, s2, 31
	s_delay_alu instid0(SALU_CYCLE_1) | instskip(NEXT) | instid1(VALU_DEP_1)
	s_lshr_b32 s0, s0, 27
	v_add_nc_u32_e32 v1, v2, v1
	s_add_i32 s0, s2, s0
	s_delay_alu instid0(SALU_CYCLE_1) | instskip(NEXT) | instid1(VALU_DEP_1)
	s_ashr_i32 s0, s0, 5
	v_ashrrev_i32_e32 v1, 5, v1
	s_delay_alu instid0(VALU_DEP_1) | instskip(NEXT) | instid1(VALU_DEP_1)
	v_mad_u64_u32 v[4:5], null, s0, 3, v[1:2]
	v_ashrrev_i32_e32 v5, 31, v4
	s_delay_alu instid0(VALU_DEP_1) | instskip(NEXT) | instid1(VALU_DEP_1)
	v_lshlrev_b64 v[4:5], 2, v[4:5]
	v_add_co_u32 v4, s0, s6, v4
	s_delay_alu instid0(VALU_DEP_1)
	v_add_co_ci_u32_e64 v5, s0, s7, v5, s0
	global_load_b32 v1, v[4:5], off
	v_mov_b32_e32 v5, s2
	s_waitcnt vmcnt(0)
	v_lshrrev_b32_e32 v4, v33, v1
.LBB44_35:
	s_or_b32 exec_lo, exec_lo, s1
	v_dual_mov_b32 v37, 0 :: v_dual_mov_b32 v36, 0
	v_dual_mov_b32 v35, 0 :: v_dual_mov_b32 v34, 0
	;; [unrolled: 1-line block ×8, first 2 shown]
	s_cmp_ge_i32 s15, s20
	s_mov_b32 s18, 0
	s_cbranch_scc1 .LBB44_56
; %bb.36:
	v_dual_mov_b32 v22, 0 :: v_dual_add_nc_u32 v5, v5, v0
	s_add_i32 s21, s13, s15
	v_ashrrev_i32_e32 v1, 31, v0
	v_lshrrev_b32_e32 v7, 27, v7
	s_waitcnt vmcnt(0)
	v_ashrrev_i32_e32 v6, 31, v5
	v_dual_mov_b32 v24, 0 :: v_dual_and_b32 v41, 7, v4
	v_bfe_u32 v42, v4, 3, 3
	v_bfe_u32 v43, v4, 6, 3
	s_delay_alu instid0(VALU_DEP_4)
	v_lshlrev_b64 v[5:6], 1, v[5:6]
	v_bfe_u32 v44, v4, 9, 3
	v_cmp_lt_u32_e64 s1, 16, v3
	v_cmp_ne_u32_e64 s2, 20, v3
	v_mad_u32_u24 v39, v3, 3, 0xffffffc0
	v_mad_u32_u24 v40, v3, 3, 0xffffffe0
	v_add_co_u32 v5, s0, s8, v5
	s_delay_alu instid0(VALU_DEP_1)
	v_add_co_ci_u32_e64 v6, s0, s9, v6, s0
	s_lshr_b32 s0, s15, 5
	v_dual_mov_b32 v21, 0 :: v_dual_add_nc_u32 v2, v2, v7
	global_load_b64 v[5:6], v[5:6], off
	s_mul_i32 s0, s0, s16
	v_dual_mov_b32 v23, 0 :: v_dual_mov_b32 v26, 0
	s_mul_i32 s22, s0, 3
	v_ashrrev_i32_e32 v2, 5, v2
	s_ashr_i32 s23, s22, 31
	s_bitcmp1_b32 s19, 0
	v_dual_mov_b32 v25, 0 :: v_dual_mov_b32 v28, 0
	s_cselect_b32 s0, -1, 0
	s_lshl_b64 s[22:23], s[22:23], 2
	s_xor_b32 s0, s0, -1
	s_ashr_i32 s17, s16, 31
	v_cndmask_b32_e64 v38, 0, 1, s0
	v_cmp_ne_u32_e64 s0, 8, v3
	v_lshlrev_b64 v[3:4], 2, v[0:1]
	s_add_u32 s3, s4, s22
	s_addc_u32 s4, s5, s23
	v_dual_mov_b32 v27, 0 :: v_dual_mov_b32 v30, 0
	v_dual_mov_b32 v29, 0 :: v_dual_mov_b32 v32, 0
	s_delay_alu instid0(VALU_DEP_3) | instskip(NEXT) | instid1(VALU_DEP_1)
	v_add_co_u32 v3, s3, s3, v3
	v_add_co_ci_u32_e64 v4, s3, s4, v4, s3
	v_dual_mov_b32 v31, 0 :: v_dual_mov_b32 v34, 0
	v_dual_mov_b32 v35, 0 :: v_dual_mov_b32 v36, 0
	v_mov_b32_e32 v37, 0
	s_mul_hi_i32 s19, s16, 12
	s_mul_i32 s22, s16, 12
	s_lshl_b64 s[4:5], s[16:17], 2
	s_mov_b32 s17, 0x70007
	s_mov_b32 s23, 0x380038
	;; [unrolled: 1-line block ×3, first 2 shown]
	s_branch .LBB44_39
.LBB44_37:                              ;   in Loop: Header=BB44_39 Depth=1
	s_or_b32 exec_lo, exec_lo, s3
	v_add_nc_u32_e32 v5, s25, v0
	s_delay_alu instid0(VALU_DEP_2)
	v_and_b32_e32 v41, 7, v1
	v_bfe_u32 v42, v1, 3, 3
	v_bfe_u32 v43, v1, 6, 3
	;; [unrolled: 1-line block ×3, first 2 shown]
	v_ashrrev_i32_e32 v6, 31, v5
	s_add_i32 s21, s21, s13
	s_delay_alu instid0(VALU_DEP_1) | instskip(NEXT) | instid1(VALU_DEP_1)
	v_lshlrev_b64 v[5:6], 1, v[5:6]
	v_add_co_u32 v5, s3, s8, v5
	s_delay_alu instid0(VALU_DEP_1)
	v_add_co_ci_u32_e64 v6, s3, s9, v6, s3
	global_load_b64 v[5:6], v[5:6], off
.LBB44_38:                              ;   in Loop: Header=BB44_39 Depth=1
	s_waitcnt vmcnt(1)
	v_add_nc_u32_e32 v7, v42, v38
	v_add_co_u32 v15, s3, v3, s4
	s_delay_alu instid0(VALU_DEP_1) | instskip(NEXT) | instid1(VALU_DEP_3)
	v_add_co_ci_u32_e64 v16, s3, s5, v4, s3
	v_or_b32_e32 v51, 0xffffe400, v7
	v_cvt_f32_i32_e32 v7, v7
	v_add_nc_u32_e32 v1, v41, v38
	s_add_i32 s15, s15, 32
	global_load_b128 v[11:14], v[15:16], off
	v_add_co_u32 v15, s3, v15, s4
	v_cvt_f16_f32_e32 v7, v7
	v_or_b32_e32 v49, 0xffffe400, v1
	v_cvt_f32_i32_e32 v1, v1
	v_add_co_ci_u32_e64 v16, s3, s5, v16, s3
	s_delay_alu instid0(VALU_DEP_4)
	v_sub_f16_e32 v52, 0xd800, v7
	v_sub_f16_e32 v53, 0xcc00, v7
	v_add_nc_u32_e32 v7, v43, v38
	v_cvt_f16_f32_e32 v1, v1
	s_add_i32 s3, s18, 0x400
	global_load_b128 v[45:48], v[15:16], off
	v_or_b32_e32 v54, 0xffffe400, v7
	v_cvt_f32_i32_e32 v7, v7
	v_sub_f16_e32 v50, 0xd800, v1
	v_sub_f16_e32 v1, 0xcc00, v1
	s_delay_alu instid0(VALU_DEP_3) | instskip(NEXT) | instid1(VALU_DEP_1)
	v_cvt_f16_f32_e32 v7, v7
	v_sub_f16_e32 v55, 0xd800, v7
	v_sub_f16_e32 v56, 0xcc00, v7
	v_add_nc_u32_e32 v7, v44, v38
	s_delay_alu instid0(VALU_DEP_1) | instskip(SKIP_1) | instid1(VALU_DEP_1)
	v_or_b32_e32 v104, 0xffffe400, v7
	v_cvt_f32_i32_e32 v7, v7
	v_cvt_f16_f32_e32 v7, v7
	s_delay_alu instid0(VALU_DEP_1)
	v_sub_f16_e32 v105, 0xd800, v7
	v_sub_f16_e32 v106, 0xcc00, v7
	global_load_b128 v[7:10], v[3:4], off
	s_waitcnt vmcnt(2)
	v_and_or_b32 v59, v11, s17, 0x64006400
	v_and_or_b32 v60, v11, s23, 0x64006400
	s_delay_alu instid0(VALU_DEP_2) | instskip(NEXT) | instid1(VALU_DEP_2)
	v_pk_add_f16 v102, v49, v59 op_sel_hi:[0,1]
	v_pk_fma_f16 v101, 0x3000, v60, v50 op_sel_hi:[0,1,0]
	s_waitcnt vmcnt(1)
	v_and_or_b32 v64, v45, s17, 0x64006400
	v_and_or_b32 v65, v45, s23, 0x64006400
	;; [unrolled: 1-line block ×4, first 2 shown]
	s_delay_alu instid0(VALU_DEP_4) | instskip(NEXT) | instid1(VALU_DEP_4)
	v_pk_add_f16 v97, v49, v64 op_sel_hi:[0,1]
	v_pk_fma_f16 v96, 0x3000, v65, v50 op_sel_hi:[0,1,0]
	s_delay_alu instid0(VALU_DEP_4) | instskip(NEXT) | instid1(VALU_DEP_4)
	v_pk_add_f16 v86, v51, v59 op_sel_hi:[0,1]
	v_pk_fma_f16 v87, 0x3000, v60, v52 op_sel_hi:[0,1,0]
	s_waitcnt vmcnt(0)
	v_lshrrev_b32_e32 v17, 6, v7
	v_and_or_b32 v15, v7, s17, 0x64006400
	v_and_or_b32 v16, v7, s23, 0x64006400
	v_lshrrev_b32_e32 v7, 15, v7
	s_delay_alu instid0(VALU_DEP_4)
	v_and_or_b32 v18, v17, s17, 0x64006400
	v_and_or_b32 v57, v17, s23, 0x64006400
	;; [unrolled: 1-line block ×3, first 2 shown]
	v_lshrrev_b32_e32 v17, 6, v11
	v_lshrrev_b32_e32 v11, 14, v11
	v_pk_add_f16 v20, v49, v15 op_sel_hi:[0,1]
	v_pk_fma_f16 v19, 0x3000, v16, v50 op_sel_hi:[0,1,0]
	v_pk_add_f16 v18, v49, v18 op_sel_hi:[0,1]
	v_and_or_b32 v61, v17, s17, 0x64006400
	v_and_or_b32 v62, v17, s23, 0x64006400
	;; [unrolled: 1-line block ×3, first 2 shown]
	v_lshrrev_b32_e32 v17, 6, v45
	v_and_b32_e32 v11, 0x20002, v11
	v_pk_add_f16 v100, v49, v61 op_sel_hi:[0,1]
	v_pk_fma_f16 v99, 0x3000, v62, v50 op_sel_hi:[0,1,0]
	v_pk_fma_f16 v103, 0x2400, v58, v1 op_sel_hi:[0,1,0]
	v_and_or_b32 v66, v17, s17, 0x64006400
	v_and_or_b32 v67, v17, s23, 0x64006400
	;; [unrolled: 1-line block ×3, first 2 shown]
	v_lshrrev_b32_e32 v17, 13, v45
	v_and_or_b32 v7, 0x10001, v7, v11
	v_pk_add_f16 v95, v49, v66 op_sel_hi:[0,1]
	v_pk_fma_f16 v94, 0x3000, v67, v50 op_sel_hi:[0,1,0]
	v_and_or_b32 v45, v12, s17, 0x64006400
	v_and_b32_e32 v17, 0x40004, v17
	v_pk_fma_f16 v98, 0x2400, v63, v1 op_sel_hi:[0,1,0]
	v_pk_fma_f16 v92, 0x2400, v68, v1 op_sel_hi:[0,1,0]
	v_and_or_b32 v1, v8, s17, 0x64006400
	v_lshrrev_b32_e32 v11, 6, v8
	v_or3_b32 v7, v7, v17, 0x64006400
	v_pk_fma_f16 v17, 0x3000, v57, v50 op_sel_hi:[0,1,0]
	v_lshrrev_b32_e32 v50, 6, v12
	v_lshrrev_b32_e32 v61, 6, v46
	;; [unrolled: 1-line block ×3, first 2 shown]
	v_pk_add_f16 v93, v49, v7 op_sel_hi:[0,1]
	v_and_or_b32 v49, v12, s23, 0x64006400
	v_lshrrev_b32_e32 v12, 14, v12
	v_and_or_b32 v7, v8, s23, 0x64006400
	v_lshrrev_b32_e32 v8, 15, v8
	v_and_b32_e32 v46, 0x40004, v46
	v_and_or_b32 v15, v11, s17, 0x64006400
	v_and_b32_e32 v12, 0x20002, v12
	v_and_or_b32 v16, v11, s23, 0x64006400
	v_and_or_b32 v57, v50, s17, 0x64006400
	;; [unrolled: 1-line block ×7, first 2 shown]
	v_pk_add_f16 v78, v51, v15 op_sel_hi:[0,1]
	v_pk_fma_f16 v79, 0x3000, v16, v52 op_sel_hi:[0,1,0]
	v_or3_b32 v8, v8, v46, 0x64006400
	v_pk_add_f16 v81, v51, v45 op_sel_hi:[0,1]
	v_and_or_b32 v15, v13, s17, 0x64006400
	v_and_or_b32 v16, v13, s23, 0x64006400
	v_lshrrev_b32_e32 v45, 6, v13
	v_pk_add_f16 v91, v51, v8 op_sel_hi:[0,1]
	v_lshrrev_b32_e32 v8, 6, v9
	v_lshrrev_b32_e32 v13, 14, v13
	v_and_or_b32 v11, v11, s24, 0x64006400
	v_pk_add_f16 v76, v51, v1 op_sel_hi:[0,1]
	v_pk_fma_f16 v77, 0x3000, v7, v52 op_sel_hi:[0,1,0]
	v_pk_fma_f16 v82, 0x3000, v49, v52 op_sel_hi:[0,1,0]
	v_pk_add_f16 v83, v51, v57 op_sel_hi:[0,1]
	v_pk_fma_f16 v84, 0x3000, v58, v52 op_sel_hi:[0,1,0]
	v_pk_fma_f16 v85, 0x2400, v50, v53 op_sel_hi:[0,1,0]
	v_pk_add_f16 v88, v51, v62 op_sel_hi:[0,1]
	v_pk_fma_f16 v89, 0x3000, v63, v52 op_sel_hi:[0,1,0]
	v_and_or_b32 v1, v9, s17, 0x64006400
	v_and_or_b32 v7, v9, s23, 0x64006400
	v_and_or_b32 v12, v8, s23, 0x64006400
	v_lshrrev_b32_e32 v9, 15, v9
	v_and_b32_e32 v13, 0x20002, v13
	v_and_or_b32 v50, v47, s17, 0x64006400
	v_and_or_b32 v51, v47, s23, 0x64006400
	v_lshrrev_b32_e32 v52, 6, v47
	v_lshrrev_b32_e32 v47, 13, v47
	v_and_or_b32 v61, v61, s24, 0x64006400
	v_pk_fma_f16 v80, 0x2400, v11, v53 op_sel_hi:[0,1,0]
	v_and_or_b32 v11, v8, s17, 0x64006400
	v_and_or_b32 v8, v8, s24, 0x64006400
	;; [unrolled: 1-line block ×4, first 2 shown]
	v_and_b32_e32 v47, 0x40004, v47
	v_and_or_b32 v9, 0x10001, v9, v13
	v_pk_fma_f16 v63, 0x3000, v12, v55 op_sel_hi:[0,1,0]
	v_pk_add_f16 v65, v54, v15 op_sel_hi:[0,1]
	v_and_or_b32 v12, v14, s17, 0x64006400
	v_and_or_b32 v13, v14, s23, 0x64006400
	v_lshrrev_b32_e32 v15, 6, v14
	v_lshrrev_b32_e32 v14, 14, v14
	v_pk_fma_f16 v90, 0x2400, v61, v53 op_sel_hi:[0,1,0]
	v_or3_b32 v9, v9, v47, 0x64006400
	v_pk_add_f16 v60, v54, v1 op_sel_hi:[0,1]
	v_pk_fma_f16 v61, 0x3000, v7, v55 op_sel_hi:[0,1,0]
	v_pk_fma_f16 v64, 0x2400, v8, v56 op_sel_hi:[0,1,0]
	v_pk_add_f16 v67, v54, v46 op_sel_hi:[0,1]
	v_pk_fma_f16 v68, 0x3000, v49, v55 op_sel_hi:[0,1,0]
	v_and_or_b32 v1, v10, s17, 0x64006400
	v_and_or_b32 v7, v10, s23, 0x64006400
	v_lshrrev_b32_e32 v8, 6, v10
	v_lshrrev_b32_e32 v10, 15, v10
	v_and_b32_e32 v14, 0x20002, v14
	v_and_or_b32 v46, v48, s17, 0x64006400
	v_and_or_b32 v47, v48, s23, 0x64006400
	v_lshrrev_b32_e32 v49, 6, v48
	v_lshrrev_b32_e32 v48, 13, v48
	v_and_or_b32 v10, 0x10001, v10, v14
	v_and_or_b32 v53, v52, s17, 0x64006400
	;; [unrolled: 1-line block ×4, first 2 shown]
	v_and_b32_e32 v48, 0x40004, v48
	v_pk_fma_f16 v66, 0x3000, v16, v55 op_sel_hi:[0,1,0]
	v_pk_add_f16 v75, v54, v9 op_sel_hi:[0,1]
	v_and_or_b32 v9, v8, s17, 0x64006400
	v_and_or_b32 v16, v15, s17, 0x64006400
	;; [unrolled: 1-line block ×3, first 2 shown]
	v_or3_b32 v10, v10, v48, 0x64006400
	v_pk_add_f16 v62, v54, v11 op_sel_hi:[0,1]
	v_pk_add_f16 v70, v54, v50 op_sel_hi:[0,1]
	;; [unrolled: 1-line block ×3, first 2 shown]
	v_pk_fma_f16 v73, 0x3000, v57, v55 op_sel_hi:[0,1,0]
	v_pk_fma_f16 v74, 0x2400, v52, v56 op_sel_hi:[0,1,0]
	v_and_or_b32 v11, v8, s23, 0x64006400
	v_and_or_b32 v8, v8, s24, 0x64006400
	;; [unrolled: 1-line block ×4, first 2 shown]
	v_pk_add_f16 v59, v104, v1 op_sel_hi:[0,1]
	v_pk_add_f16 v57, v104, v9 op_sel_hi:[0,1]
	;; [unrolled: 1-line block ×5, first 2 shown]
	v_pk_fma_f16 v48, 0x3000, v47, v105 op_sel_hi:[0,1,0]
	v_pk_add_f16 v47, v104, v107 op_sel_hi:[0,1]
	v_pk_add_f16 v1, v104, v10 op_sel_hi:[0,1]
	v_mov_b32_e32 v104, s18
	v_pk_fma_f16 v71, 0x3000, v51, v55 op_sel_hi:[0,1,0]
	v_pk_fma_f16 v58, 0x3000, v7, v105 op_sel_hi:[0,1,0]
	;; [unrolled: 1-line block ×3, first 2 shown]
	v_and_or_b32 v45, v45, s24, 0x64006400
	ds_load_2addr_b32 v[7:8], v104 offset1:1
	v_pk_fma_f16 v53, 0x3000, v13, v105 op_sel_hi:[0,1,0]
	v_pk_fma_f16 v46, 0x3000, v108, v105 op_sel_hi:[0,1,0]
	;; [unrolled: 1-line block ×4, first 2 shown]
	v_and_or_b32 v45, v15, s23, 0x64006400
	v_and_or_b32 v15, v15, s24, 0x64006400
	s_delay_alu instid0(VALU_DEP_2) | instskip(NEXT) | instid1(VALU_DEP_2)
	v_pk_fma_f16 v51, 0x3000, v45, v105 op_sel_hi:[0,1,0]
	v_pk_fma_f16 v50, 0x2400, v15, v106 op_sel_hi:[0,1,0]
	;; [unrolled: 1-line block ×3, first 2 shown]
	s_waitcnt lgkmcnt(0)
	v_pk_fma_f16 v9, v20, v7, 0
	v_pk_fma_f16 v112, v76, v7, 0
	s_delay_alu instid0(VALU_DEP_2) | instskip(SKIP_4) | instid1(VALU_DEP_2)
	v_pk_fma_f16 v11, v19, v8, v9
	ds_load_2addr_b32 v[9:10], v104 offset0:2 offset1:3
	v_pk_fma_f16 v112, v77, v8, v112
	s_waitcnt lgkmcnt(0)
	v_pk_fma_f16 v11, v18, v9, v11
	v_pk_fma_f16 v112, v78, v9, v112
	s_delay_alu instid0(VALU_DEP_2) | instskip(SKIP_4) | instid1(VALU_DEP_2)
	v_pk_fma_f16 v13, v17, v10, v11
	ds_load_2addr_b32 v[11:12], v104 offset0:4 offset1:5
	v_pk_fma_f16 v112, v79, v10, v112
	;; [unrolled: 7-line block ×7, first 2 shown]
	s_waitcnt lgkmcnt(0)
	v_pk_fma_f16 v111, v92, v109, v111
	v_pk_fma_f16 v112, v90, v109, v112
	s_delay_alu instid0(VALU_DEP_2) | instskip(NEXT) | instid1(VALU_DEP_2)
	v_pk_fma_f16 v111, v93, v110, v111
	v_pk_fma_f16 v112, v91, v110, v112
	s_delay_alu instid0(VALU_DEP_1) | instskip(SKIP_1) | instid1(VALU_DEP_1)
	v_pack_b32_f16 v113, v111, v112
	v_perm_b32 v111, v112, v111, 0x7060302
	v_pk_add_f16 v111, v113, v111
	s_delay_alu instid0(VALU_DEP_1) | instskip(SKIP_2) | instid1(VALU_DEP_2)
	v_pk_fma_f16 v37, v111, v5, v37
	v_pk_fma_f16 v111, v60, v7, 0
	;; [unrolled: 1-line block ×4, first 2 shown]
	s_delay_alu instid0(VALU_DEP_2) | instskip(NEXT) | instid1(VALU_DEP_2)
	v_pk_fma_f16 v7, v58, v8, v7
	v_pk_fma_f16 v111, v62, v9, v111
	s_delay_alu instid0(VALU_DEP_2) | instskip(NEXT) | instid1(VALU_DEP_2)
	v_pk_fma_f16 v7, v57, v9, v7
	v_pk_fma_f16 v111, v63, v10, v111
	;; [unrolled: 3-line block ×14, first 2 shown]
	s_delay_alu instid0(VALU_DEP_2) | instskip(NEXT) | instid1(VALU_DEP_1)
	v_pk_fma_f16 v7, v1, v110, v7
	v_pack_b32_f16 v8, v111, v7
	v_perm_b32 v7, v7, v111, 0x7060302
	s_delay_alu instid0(VALU_DEP_1) | instskip(NEXT) | instid1(VALU_DEP_1)
	v_pk_add_f16 v7, v8, v7
	v_pk_fma_f16 v36, v7, v6, v36
	ds_load_2addr_b32 v[7:8], v104 offset0:64 offset1:65
	s_waitcnt lgkmcnt(0)
	v_pk_fma_f16 v9, v20, v7, 0
	v_pk_fma_f16 v112, v76, v7, 0
	s_delay_alu instid0(VALU_DEP_2) | instskip(SKIP_4) | instid1(VALU_DEP_2)
	v_pk_fma_f16 v11, v19, v8, v9
	ds_load_2addr_b32 v[9:10], v104 offset0:66 offset1:67
	v_pk_fma_f16 v112, v77, v8, v112
	s_waitcnt lgkmcnt(0)
	v_pk_fma_f16 v11, v18, v9, v11
	v_pk_fma_f16 v112, v78, v9, v112
	s_delay_alu instid0(VALU_DEP_2) | instskip(SKIP_4) | instid1(VALU_DEP_2)
	v_pk_fma_f16 v13, v17, v10, v11
	ds_load_2addr_b32 v[11:12], v104 offset0:68 offset1:69
	v_pk_fma_f16 v112, v79, v10, v112
	;; [unrolled: 7-line block ×7, first 2 shown]
	s_waitcnt lgkmcnt(0)
	v_pk_fma_f16 v111, v92, v109, v111
	v_pk_fma_f16 v112, v90, v109, v112
	s_delay_alu instid0(VALU_DEP_2) | instskip(NEXT) | instid1(VALU_DEP_2)
	v_pk_fma_f16 v111, v93, v110, v111
	v_pk_fma_f16 v112, v91, v110, v112
	s_delay_alu instid0(VALU_DEP_1) | instskip(SKIP_1) | instid1(VALU_DEP_1)
	v_pack_b32_f16 v113, v111, v112
	v_perm_b32 v111, v112, v111, 0x7060302
	v_pk_add_f16 v111, v113, v111
	s_delay_alu instid0(VALU_DEP_1) | instskip(SKIP_2) | instid1(VALU_DEP_2)
	v_pk_fma_f16 v35, v111, v5, v35
	v_pk_fma_f16 v111, v60, v7, 0
	;; [unrolled: 1-line block ×4, first 2 shown]
	s_delay_alu instid0(VALU_DEP_2) | instskip(NEXT) | instid1(VALU_DEP_2)
	v_pk_fma_f16 v7, v58, v8, v7
	v_pk_fma_f16 v111, v62, v9, v111
	s_delay_alu instid0(VALU_DEP_2) | instskip(NEXT) | instid1(VALU_DEP_2)
	v_pk_fma_f16 v7, v57, v9, v7
	v_pk_fma_f16 v111, v63, v10, v111
	;; [unrolled: 3-line block ×10, first 2 shown]
	s_delay_alu instid0(VALU_DEP_2) | instskip(SKIP_3) | instid1(VALU_DEP_2)
	v_pk_fma_f16 v7, v48, v106, v7
	ds_load_2addr_b32 v[105:106], v104 offset0:128 offset1:129
	v_pk_fma_f16 v111, v72, v107, v111
	v_pk_fma_f16 v7, v47, v107, v7
	v_pk_fma_f16 v111, v73, v108, v111
	s_delay_alu instid0(VALU_DEP_2) | instskip(SKIP_3) | instid1(VALU_DEP_2)
	v_pk_fma_f16 v7, v46, v108, v7
	ds_load_2addr_b32 v[107:108], v104 offset0:130 offset1:131
	v_pk_fma_f16 v111, v74, v109, v111
	v_pk_fma_f16 v7, v45, v109, v7
	;; [unrolled: 1-line block ×3, first 2 shown]
	s_delay_alu instid0(VALU_DEP_2)
	v_pk_fma_f16 v7, v1, v110, v7
	ds_load_2addr_b32 v[109:110], v104 offset0:132 offset1:133
	s_waitcnt lgkmcnt(2)
	v_pk_fma_f16 v112, v76, v105, 0
	v_pack_b32_f16 v8, v111, v7
	v_perm_b32 v7, v7, v111, 0x7060302
	s_delay_alu instid0(VALU_DEP_3) | instskip(NEXT) | instid1(VALU_DEP_2)
	v_pk_fma_f16 v112, v77, v106, v112
	v_pk_add_f16 v7, v8, v7
	s_waitcnt lgkmcnt(1)
	s_delay_alu instid0(VALU_DEP_2) | instskip(NEXT) | instid1(VALU_DEP_2)
	v_pk_fma_f16 v112, v78, v107, v112
	v_pk_fma_f16 v34, v7, v6, v34
	v_pk_fma_f16 v7, v20, v105, 0
	s_delay_alu instid0(VALU_DEP_3) | instskip(NEXT) | instid1(VALU_DEP_2)
	v_pk_fma_f16 v112, v79, v108, v112
	v_pk_fma_f16 v7, v19, v106, v7
	s_waitcnt lgkmcnt(0)
	s_delay_alu instid0(VALU_DEP_2) | instskip(NEXT) | instid1(VALU_DEP_2)
	v_pk_fma_f16 v112, v80, v109, v112
	v_pk_fma_f16 v7, v18, v107, v7
	s_delay_alu instid0(VALU_DEP_2) | instskip(NEXT) | instid1(VALU_DEP_2)
	v_pk_fma_f16 v112, v81, v110, v112
	v_pk_fma_f16 v7, v17, v108, v7
	s_delay_alu instid0(VALU_DEP_1) | instskip(NEXT) | instid1(VALU_DEP_1)
	v_pk_fma_f16 v7, v103, v109, v7
	v_pk_fma_f16 v9, v102, v110, v7
	ds_load_2addr_b32 v[7:8], v104 offset0:134 offset1:135
	s_waitcnt lgkmcnt(0)
	v_pk_fma_f16 v9, v101, v7, v9
	v_pk_fma_f16 v112, v82, v7, v112
	s_delay_alu instid0(VALU_DEP_2) | instskip(SKIP_4) | instid1(VALU_DEP_2)
	v_pk_fma_f16 v11, v100, v8, v9
	ds_load_2addr_b32 v[9:10], v104 offset0:136 offset1:137
	v_pk_fma_f16 v112, v83, v8, v112
	s_waitcnt lgkmcnt(0)
	v_pk_fma_f16 v11, v99, v9, v11
	v_pk_fma_f16 v112, v84, v9, v112
	s_delay_alu instid0(VALU_DEP_2) | instskip(SKIP_4) | instid1(VALU_DEP_2)
	v_pk_fma_f16 v13, v98, v10, v11
	ds_load_2addr_b32 v[11:12], v104 offset0:138 offset1:139
	v_pk_fma_f16 v112, v85, v10, v112
	;; [unrolled: 7-line block ×4, first 2 shown]
	s_waitcnt lgkmcnt(0)
	v_pk_fma_f16 v111, v92, v15, v111
	v_pk_fma_f16 v112, v90, v15, v112
	s_delay_alu instid0(VALU_DEP_2) | instskip(NEXT) | instid1(VALU_DEP_2)
	v_pk_fma_f16 v111, v93, v16, v111
	v_pk_fma_f16 v112, v91, v16, v112
	s_delay_alu instid0(VALU_DEP_1) | instskip(SKIP_1) | instid1(VALU_DEP_1)
	v_pack_b32_f16 v113, v111, v112
	v_perm_b32 v111, v112, v111, 0x7060302
	v_pk_add_f16 v111, v113, v111
	s_delay_alu instid0(VALU_DEP_1) | instskip(SKIP_2) | instid1(VALU_DEP_2)
	v_pk_fma_f16 v32, v111, v5, v32
	v_pk_fma_f16 v111, v60, v105, 0
	;; [unrolled: 1-line block ×4, first 2 shown]
	s_delay_alu instid0(VALU_DEP_2) | instskip(NEXT) | instid1(VALU_DEP_2)
	v_pk_fma_f16 v105, v58, v106, v105
	v_pk_fma_f16 v111, v62, v107, v111
	s_delay_alu instid0(VALU_DEP_2) | instskip(NEXT) | instid1(VALU_DEP_2)
	v_pk_fma_f16 v105, v57, v107, v105
	v_pk_fma_f16 v111, v63, v108, v111
	;; [unrolled: 3-line block ×14, first 2 shown]
	s_delay_alu instid0(VALU_DEP_2) | instskip(NEXT) | instid1(VALU_DEP_1)
	v_pk_fma_f16 v7, v1, v16, v7
	v_pack_b32_f16 v8, v111, v7
	v_perm_b32 v7, v7, v111, 0x7060302
	s_delay_alu instid0(VALU_DEP_1) | instskip(NEXT) | instid1(VALU_DEP_1)
	v_pk_add_f16 v7, v8, v7
	v_pk_fma_f16 v31, v7, v6, v31
	ds_load_2addr_b32 v[7:8], v104 offset0:192 offset1:193
	s_waitcnt lgkmcnt(0)
	v_pk_fma_f16 v9, v20, v7, 0
	s_delay_alu instid0(VALU_DEP_1) | instskip(SKIP_3) | instid1(VALU_DEP_1)
	v_pk_fma_f16 v11, v19, v8, v9
	ds_load_2addr_b32 v[9:10], v104 offset0:194 offset1:195
	s_waitcnt lgkmcnt(0)
	v_pk_fma_f16 v11, v18, v9, v11
	v_pk_fma_f16 v13, v17, v10, v11
	ds_load_2addr_b32 v[11:12], v104 offset0:196 offset1:197
	s_waitcnt lgkmcnt(0)
	v_pk_fma_f16 v13, v103, v11, v13
	s_delay_alu instid0(VALU_DEP_1) | instskip(SKIP_3) | instid1(VALU_DEP_1)
	v_pk_fma_f16 v15, v102, v12, v13
	ds_load_2addr_b32 v[13:14], v104 offset0:198 offset1:199
	s_waitcnt lgkmcnt(0)
	v_pk_fma_f16 v15, v101, v13, v15
	;; [unrolled: 9-line block ×3, first 2 shown]
	v_pk_fma_f16 v109, v96, v106, v107
	ds_load_2addr_b32 v[107:108], v104 offset0:204 offset1:205
	s_waitcnt lgkmcnt(0)
	v_pk_fma_f16 v109, v95, v107, v109
	s_delay_alu instid0(VALU_DEP_1) | instskip(SKIP_4) | instid1(VALU_DEP_2)
	v_pk_fma_f16 v111, v94, v108, v109
	ds_load_2addr_b32 v[109:110], v104 offset0:206 offset1:207
	s_waitcnt lgkmcnt(0)
	v_pk_fma_f16 v104, v92, v109, v111
	v_pk_fma_f16 v111, v76, v7, 0
	;; [unrolled: 1-line block ×3, first 2 shown]
	s_delay_alu instid0(VALU_DEP_2) | instskip(NEXT) | instid1(VALU_DEP_1)
	v_pk_fma_f16 v111, v77, v8, v111
	v_pk_fma_f16 v111, v78, v9, v111
	s_delay_alu instid0(VALU_DEP_1) | instskip(NEXT) | instid1(VALU_DEP_1)
	v_pk_fma_f16 v111, v79, v10, v111
	v_pk_fma_f16 v111, v80, v11, v111
	s_delay_alu instid0(VALU_DEP_1) | instskip(NEXT) | instid1(VALU_DEP_1)
	;; [unrolled: 3-line block ×7, first 2 shown]
	v_pk_fma_f16 v111, v91, v110, v111
	v_pack_b32_f16 v112, v104, v111
	v_perm_b32 v104, v111, v104, 0x7060302
	s_delay_alu instid0(VALU_DEP_1) | instskip(NEXT) | instid1(VALU_DEP_1)
	v_pk_add_f16 v104, v112, v104
	v_pk_fma_f16 v30, v104, v5, v30
	v_pk_fma_f16 v104, v60, v7, 0
	;; [unrolled: 1-line block ×3, first 2 shown]
	s_delay_alu instid0(VALU_DEP_2) | instskip(NEXT) | instid1(VALU_DEP_2)
	v_pk_fma_f16 v104, v61, v8, v104
	v_pk_fma_f16 v7, v58, v8, v7
	s_delay_alu instid0(VALU_DEP_2) | instskip(NEXT) | instid1(VALU_DEP_2)
	v_pk_fma_f16 v104, v62, v9, v104
	v_pk_fma_f16 v7, v57, v9, v7
	;; [unrolled: 3-line block ×15, first 2 shown]
	s_delay_alu instid0(VALU_DEP_1) | instskip(SKIP_1) | instid1(VALU_DEP_1)
	v_pack_b32_f16 v8, v104, v7
	v_perm_b32 v7, v7, v104, 0x7060302
	v_pk_add_f16 v7, v8, v7
	s_delay_alu instid0(VALU_DEP_1)
	v_pk_fma_f16 v29, v7, v6, v29
	v_mov_b32_e32 v7, s3
	s_add_i32 s3, s18, 0x408
	ds_load_2addr_b32 v[7:8], v7 offset1:1
	s_waitcnt lgkmcnt(0)
	v_pk_fma_f16 v9, v20, v7, 0
	v_pk_fma_f16 v111, v76, v7, 0
	s_delay_alu instid0(VALU_DEP_2) | instskip(SKIP_2) | instid1(VALU_DEP_3)
	v_pk_fma_f16 v11, v19, v8, v9
	v_mov_b32_e32 v9, s3
	s_add_i32 s3, s18, 0x410
	v_pk_fma_f16 v111, v77, v8, v111
	ds_load_2addr_b32 v[9:10], v9 offset1:1
	s_waitcnt lgkmcnt(0)
	v_pk_fma_f16 v11, v18, v9, v11
	v_pk_fma_f16 v111, v78, v9, v111
	s_delay_alu instid0(VALU_DEP_2) | instskip(SKIP_2) | instid1(VALU_DEP_3)
	v_pk_fma_f16 v13, v17, v10, v11
	v_mov_b32_e32 v11, s3
	s_add_i32 s3, s18, 0x418
	v_pk_fma_f16 v111, v79, v10, v111
	;; [unrolled: 9-line block ×6, first 2 shown]
	ds_load_2addr_b32 v[106:107], v106 offset1:1
	s_waitcnt lgkmcnt(0)
	v_pk_fma_f16 v108, v95, v106, v108
	v_pk_fma_f16 v111, v88, v106, v111
	s_delay_alu instid0(VALU_DEP_2) | instskip(SKIP_1) | instid1(VALU_DEP_3)
	v_pk_fma_f16 v110, v94, v107, v108
	v_mov_b32_e32 v108, s3
	v_pk_fma_f16 v111, v89, v107, v111
	s_add_i32 s3, s18, 0x500
	ds_load_2addr_b32 v[108:109], v108 offset1:1
	s_waitcnt lgkmcnt(0)
	v_pk_fma_f16 v110, v92, v108, v110
	v_pk_fma_f16 v111, v90, v108, v111
	s_delay_alu instid0(VALU_DEP_2) | instskip(NEXT) | instid1(VALU_DEP_2)
	v_pk_fma_f16 v110, v93, v109, v110
	v_pk_fma_f16 v111, v91, v109, v111
	s_delay_alu instid0(VALU_DEP_1) | instskip(SKIP_1) | instid1(VALU_DEP_1)
	v_pack_b32_f16 v112, v110, v111
	v_perm_b32 v110, v111, v110, 0x7060302
	v_pk_add_f16 v110, v112, v110
	s_delay_alu instid0(VALU_DEP_1) | instskip(SKIP_2) | instid1(VALU_DEP_2)
	v_pk_fma_f16 v28, v110, v5, v28
	v_pk_fma_f16 v110, v60, v7, 0
	;; [unrolled: 1-line block ×4, first 2 shown]
	s_delay_alu instid0(VALU_DEP_2) | instskip(NEXT) | instid1(VALU_DEP_2)
	v_pk_fma_f16 v7, v58, v8, v7
	v_pk_fma_f16 v110, v62, v9, v110
	s_delay_alu instid0(VALU_DEP_2) | instskip(NEXT) | instid1(VALU_DEP_2)
	v_pk_fma_f16 v7, v57, v9, v7
	v_pk_fma_f16 v110, v63, v10, v110
	;; [unrolled: 3-line block ×14, first 2 shown]
	s_delay_alu instid0(VALU_DEP_2) | instskip(NEXT) | instid1(VALU_DEP_1)
	v_pk_fma_f16 v7, v1, v109, v7
	v_pack_b32_f16 v8, v110, v7
	v_perm_b32 v7, v7, v110, 0x7060302
	s_delay_alu instid0(VALU_DEP_1) | instskip(NEXT) | instid1(VALU_DEP_1)
	v_pk_add_f16 v7, v8, v7
	v_pk_fma_f16 v27, v7, v6, v27
	v_mov_b32_e32 v7, s3
	s_add_i32 s3, s18, 0x508
	ds_load_2addr_b32 v[7:8], v7 offset1:1
	s_waitcnt lgkmcnt(0)
	v_pk_fma_f16 v9, v20, v7, 0
	v_pk_fma_f16 v111, v76, v7, 0
	s_delay_alu instid0(VALU_DEP_2) | instskip(SKIP_2) | instid1(VALU_DEP_3)
	v_pk_fma_f16 v11, v19, v8, v9
	v_mov_b32_e32 v9, s3
	s_add_i32 s3, s18, 0x510
	v_pk_fma_f16 v111, v77, v8, v111
	ds_load_2addr_b32 v[9:10], v9 offset1:1
	s_waitcnt lgkmcnt(0)
	v_pk_fma_f16 v11, v18, v9, v11
	v_pk_fma_f16 v111, v78, v9, v111
	s_delay_alu instid0(VALU_DEP_2) | instskip(SKIP_2) | instid1(VALU_DEP_3)
	v_pk_fma_f16 v13, v17, v10, v11
	v_mov_b32_e32 v11, s3
	s_add_i32 s3, s18, 0x518
	v_pk_fma_f16 v111, v79, v10, v111
	;; [unrolled: 9-line block ×6, first 2 shown]
	ds_load_2addr_b32 v[106:107], v106 offset1:1
	s_waitcnt lgkmcnt(0)
	v_pk_fma_f16 v108, v95, v106, v108
	v_pk_fma_f16 v111, v88, v106, v111
	s_delay_alu instid0(VALU_DEP_2) | instskip(SKIP_1) | instid1(VALU_DEP_3)
	v_pk_fma_f16 v110, v94, v107, v108
	v_mov_b32_e32 v108, s3
	v_pk_fma_f16 v111, v89, v107, v111
	s_add_i32 s3, s18, 0x600
	ds_load_2addr_b32 v[108:109], v108 offset1:1
	s_waitcnt lgkmcnt(0)
	v_pk_fma_f16 v110, v92, v108, v110
	v_pk_fma_f16 v111, v90, v108, v111
	s_delay_alu instid0(VALU_DEP_2) | instskip(NEXT) | instid1(VALU_DEP_2)
	v_pk_fma_f16 v110, v93, v109, v110
	v_pk_fma_f16 v111, v91, v109, v111
	s_delay_alu instid0(VALU_DEP_1) | instskip(SKIP_1) | instid1(VALU_DEP_1)
	v_pack_b32_f16 v112, v110, v111
	v_perm_b32 v110, v111, v110, 0x7060302
	v_pk_add_f16 v110, v112, v110
	s_delay_alu instid0(VALU_DEP_1) | instskip(SKIP_2) | instid1(VALU_DEP_2)
	v_pk_fma_f16 v26, v110, v5, v26
	v_pk_fma_f16 v110, v60, v7, 0
	;; [unrolled: 1-line block ×4, first 2 shown]
	s_delay_alu instid0(VALU_DEP_2) | instskip(NEXT) | instid1(VALU_DEP_2)
	v_pk_fma_f16 v7, v58, v8, v7
	v_pk_fma_f16 v110, v62, v9, v110
	s_delay_alu instid0(VALU_DEP_2) | instskip(NEXT) | instid1(VALU_DEP_2)
	v_pk_fma_f16 v7, v57, v9, v7
	v_pk_fma_f16 v110, v63, v10, v110
	;; [unrolled: 3-line block ×14, first 2 shown]
	s_delay_alu instid0(VALU_DEP_2) | instskip(NEXT) | instid1(VALU_DEP_1)
	v_pk_fma_f16 v7, v1, v109, v7
	v_pack_b32_f16 v8, v110, v7
	v_perm_b32 v7, v7, v110, 0x7060302
	s_delay_alu instid0(VALU_DEP_1) | instskip(NEXT) | instid1(VALU_DEP_1)
	v_pk_add_f16 v7, v8, v7
	v_pk_fma_f16 v25, v7, v6, v25
	v_mov_b32_e32 v7, s3
	s_add_i32 s3, s18, 0x608
	ds_load_2addr_b32 v[7:8], v7 offset1:1
	s_waitcnt lgkmcnt(0)
	v_pk_fma_f16 v9, v20, v7, 0
	v_pk_fma_f16 v111, v76, v7, 0
	s_delay_alu instid0(VALU_DEP_2) | instskip(SKIP_2) | instid1(VALU_DEP_3)
	v_pk_fma_f16 v11, v19, v8, v9
	v_mov_b32_e32 v9, s3
	s_add_i32 s3, s18, 0x610
	v_pk_fma_f16 v111, v77, v8, v111
	ds_load_2addr_b32 v[9:10], v9 offset1:1
	s_waitcnt lgkmcnt(0)
	v_pk_fma_f16 v11, v18, v9, v11
	v_pk_fma_f16 v111, v78, v9, v111
	s_delay_alu instid0(VALU_DEP_2) | instskip(SKIP_2) | instid1(VALU_DEP_3)
	v_pk_fma_f16 v13, v17, v10, v11
	v_mov_b32_e32 v11, s3
	s_add_i32 s3, s18, 0x618
	v_pk_fma_f16 v111, v79, v10, v111
	;; [unrolled: 9-line block ×6, first 2 shown]
	ds_load_2addr_b32 v[106:107], v106 offset1:1
	s_waitcnt lgkmcnt(0)
	v_pk_fma_f16 v108, v95, v106, v108
	v_pk_fma_f16 v111, v88, v106, v111
	s_delay_alu instid0(VALU_DEP_2) | instskip(SKIP_1) | instid1(VALU_DEP_3)
	v_pk_fma_f16 v110, v94, v107, v108
	v_mov_b32_e32 v108, s3
	v_pk_fma_f16 v111, v89, v107, v111
	s_add_i32 s3, s18, 0x700
	ds_load_2addr_b32 v[108:109], v108 offset1:1
	s_waitcnt lgkmcnt(0)
	v_pk_fma_f16 v110, v92, v108, v110
	v_pk_fma_f16 v111, v90, v108, v111
	s_delay_alu instid0(VALU_DEP_2) | instskip(NEXT) | instid1(VALU_DEP_2)
	v_pk_fma_f16 v110, v93, v109, v110
	v_pk_fma_f16 v111, v91, v109, v111
	s_delay_alu instid0(VALU_DEP_1) | instskip(SKIP_1) | instid1(VALU_DEP_1)
	v_pack_b32_f16 v112, v110, v111
	v_perm_b32 v110, v111, v110, 0x7060302
	v_pk_add_f16 v110, v112, v110
	s_delay_alu instid0(VALU_DEP_1) | instskip(SKIP_2) | instid1(VALU_DEP_2)
	v_pk_fma_f16 v24, v110, v5, v24
	v_pk_fma_f16 v110, v60, v7, 0
	;; [unrolled: 1-line block ×4, first 2 shown]
	s_delay_alu instid0(VALU_DEP_2) | instskip(NEXT) | instid1(VALU_DEP_2)
	v_pk_fma_f16 v7, v58, v8, v7
	v_pk_fma_f16 v110, v62, v9, v110
	s_delay_alu instid0(VALU_DEP_2) | instskip(NEXT) | instid1(VALU_DEP_2)
	v_pk_fma_f16 v7, v57, v9, v7
	v_pk_fma_f16 v110, v63, v10, v110
	;; [unrolled: 3-line block ×14, first 2 shown]
	s_delay_alu instid0(VALU_DEP_2) | instskip(NEXT) | instid1(VALU_DEP_1)
	v_pk_fma_f16 v7, v1, v109, v7
	v_pack_b32_f16 v8, v110, v7
	v_perm_b32 v7, v7, v110, 0x7060302
	s_delay_alu instid0(VALU_DEP_1) | instskip(NEXT) | instid1(VALU_DEP_1)
	v_pk_add_f16 v7, v8, v7
	v_pk_fma_f16 v23, v7, v6, v23
	v_mov_b32_e32 v7, s3
	s_add_i32 s3, s18, 0x708
	s_delay_alu instid0(SALU_CYCLE_1)
	v_mov_b32_e32 v8, s3
	s_add_i32 s3, s18, 0x710
	ds_load_2addr_b32 v[104:105], v7 offset1:1
	s_waitcnt lgkmcnt(0)
	v_pk_fma_f16 v7, v20, v104, 0
	v_pk_fma_f16 v76, v76, v104, 0
	v_pk_fma_f16 v60, v60, v104, 0
	v_pk_fma_f16 v59, v59, v104, 0
	s_delay_alu instid0(VALU_DEP_4)
	v_pk_fma_f16 v7, v19, v105, v7
	ds_load_2addr_b32 v[19:20], v8 offset1:1
	v_mov_b32_e32 v8, s3
	s_add_i32 s3, s18, 0x718
	v_pk_fma_f16 v76, v77, v105, v76
	v_pk_fma_f16 v60, v61, v105, v60
	;; [unrolled: 1-line block ×3, first 2 shown]
	s_waitcnt lgkmcnt(0)
	v_pk_fma_f16 v7, v18, v19, v7
	v_pk_fma_f16 v76, v78, v19, v76
	v_pk_fma_f16 v60, v62, v19, v60
	v_pk_fma_f16 v19, v57, v19, v58
	s_delay_alu instid0(VALU_DEP_4)
	v_pk_fma_f16 v7, v17, v20, v7
	ds_load_2addr_b32 v[17:18], v8 offset1:1
	v_mov_b32_e32 v8, s3
	s_add_i32 s3, s18, 0x720
	v_pk_fma_f16 v76, v79, v20, v76
	v_pk_fma_f16 v60, v63, v20, v60
	;; [unrolled: 1-line block ×3, first 2 shown]
	ds_load_2addr_b32 v[15:16], v8 offset1:1
	v_mov_b32_e32 v8, s3
	s_add_i32 s3, s18, 0x728
	ds_load_2addr_b32 v[13:14], v8 offset1:1
	v_mov_b32_e32 v8, s3
	s_add_i32 s3, s18, 0x730
	ds_load_2addr_b32 v[11:12], v8 offset1:1
	v_mov_b32_e32 v8, s3
	s_waitcnt lgkmcnt(3)
	v_pk_fma_f16 v7, v103, v17, v7
	v_pk_fma_f16 v76, v80, v17, v76
	;; [unrolled: 1-line block ×4, first 2 shown]
	ds_load_2addr_b32 v[9:10], v8 offset1:1
	v_pk_fma_f16 v7, v102, v18, v7
	v_pk_fma_f16 v76, v81, v18, v76
	;; [unrolled: 1-line block ×4, first 2 shown]
	s_add_i32 s3, s18, 0x738
	s_waitcnt lgkmcnt(3)
	v_pk_fma_f16 v7, v101, v15, v7
	v_pk_fma_f16 v76, v82, v15, v76
	;; [unrolled: 1-line block ×4, first 2 shown]
	s_add_i32 s18, s18, 64
	v_pk_fma_f16 v7, v100, v16, v7
	v_pk_fma_f16 v76, v83, v16, v76
	;; [unrolled: 1-line block ×4, first 2 shown]
	s_cmp_ge_i32 s15, s20
	s_waitcnt lgkmcnt(2)
	v_pk_fma_f16 v7, v99, v13, v7
	v_pk_fma_f16 v76, v84, v13, v76
	;; [unrolled: 1-line block ×4, first 2 shown]
	s_delay_alu instid0(VALU_DEP_4) | instskip(NEXT) | instid1(VALU_DEP_4)
	v_pk_fma_f16 v7, v98, v14, v7
	v_pk_fma_f16 v76, v85, v14, v76
	s_delay_alu instid0(VALU_DEP_4) | instskip(NEXT) | instid1(VALU_DEP_4)
	v_pk_fma_f16 v60, v69, v14, v60
	v_pk_fma_f16 v13, v50, v14, v13
	s_waitcnt lgkmcnt(1)
	v_pk_fma_f16 v7, v97, v11, v7
	v_pk_fma_f16 v76, v86, v11, v76
	;; [unrolled: 1-line block ×4, first 2 shown]
	s_delay_alu instid0(VALU_DEP_4) | instskip(NEXT) | instid1(VALU_DEP_4)
	v_pk_fma_f16 v7, v96, v12, v7
	v_pk_fma_f16 v76, v87, v12, v76
	s_delay_alu instid0(VALU_DEP_4) | instskip(NEXT) | instid1(VALU_DEP_4)
	v_pk_fma_f16 v60, v71, v12, v60
	v_pk_fma_f16 v11, v48, v12, v11
	s_waitcnt lgkmcnt(0)
	v_pk_fma_f16 v7, v95, v9, v7
	v_pk_fma_f16 v76, v88, v9, v76
	;; [unrolled: 1-line block ×4, first 2 shown]
	s_delay_alu instid0(VALU_DEP_4)
	v_pk_fma_f16 v94, v94, v10, v7
	v_mov_b32_e32 v7, s3
	v_pk_fma_f16 v76, v89, v10, v76
	v_pk_fma_f16 v60, v73, v10, v60
	;; [unrolled: 1-line block ×3, first 2 shown]
	v_add_co_u32 v3, s3, v3, s22
	ds_load_2addr_b32 v[7:8], v7 offset1:1
	v_add_co_ci_u32_e64 v4, s3, s19, v4, s3
	s_waitcnt lgkmcnt(0)
	v_pk_fma_f16 v92, v92, v7, v94
	v_pk_fma_f16 v76, v90, v7, v76
	;; [unrolled: 1-line block ×4, first 2 shown]
	s_delay_alu instid0(VALU_DEP_4) | instskip(NEXT) | instid1(VALU_DEP_4)
	v_pk_fma_f16 v92, v93, v8, v92
	v_pk_fma_f16 v76, v91, v8, v76
	s_delay_alu instid0(VALU_DEP_4) | instskip(NEXT) | instid1(VALU_DEP_4)
	v_pk_fma_f16 v60, v75, v8, v60
	v_pk_fma_f16 v1, v1, v8, v7
	s_delay_alu instid0(VALU_DEP_3) | instskip(SKIP_1) | instid1(VALU_DEP_3)
	v_pack_b32_f16 v77, v92, v76
	v_perm_b32 v76, v76, v92, 0x7060302
	v_pack_b32_f16 v7, v60, v1
	v_perm_b32 v1, v1, v60, 0x7060302
	s_delay_alu instid0(VALU_DEP_3) | instskip(NEXT) | instid1(VALU_DEP_2)
	v_pk_add_f16 v76, v77, v76
	v_pk_add_f16 v1, v7, v1
	s_delay_alu instid0(VALU_DEP_2) | instskip(NEXT) | instid1(VALU_DEP_2)
	v_pk_fma_f16 v22, v76, v5, v22
	v_pk_fma_f16 v21, v1, v6, v21
	s_cbranch_scc1 .LBB44_56
.LBB44_39:                              ; =>This Inner Loop Header: Depth=1
	s_cmp_lg_u32 s15, s21
	s_cbranch_scc1 .LBB44_38
; %bb.40:                               ;   in Loop: Header=BB44_39 Depth=1
	s_add_i32 s14, s14, 1
                                        ; implicit-def: $vgpr1
	s_delay_alu instid0(SALU_CYCLE_1) | instskip(NEXT) | instid1(SALU_CYCLE_1)
	s_mul_i32 s25, s14, s16
	s_ashr_i32 s3, s25, 31
	s_delay_alu instid0(SALU_CYCLE_1) | instskip(NEXT) | instid1(SALU_CYCLE_1)
	s_lshr_b32 s3, s3, 27
	s_add_i32 s3, s25, s3
	s_delay_alu instid0(SALU_CYCLE_1) | instskip(SKIP_2) | instid1(VALU_DEP_1)
	s_ashr_i32 s3, s3, 5
	s_waitcnt vmcnt(0)
	v_mad_u64_u32 v[5:6], null, s3, 3, v[2:3]
	v_ashrrev_i32_e32 v6, 31, v5
	s_delay_alu instid0(VALU_DEP_1) | instskip(NEXT) | instid1(VALU_DEP_1)
	v_lshlrev_b64 v[5:6], 2, v[5:6]
	v_add_co_u32 v5, s3, s6, v5
	s_delay_alu instid0(VALU_DEP_1) | instskip(SKIP_2) | instid1(SALU_CYCLE_1)
	v_add_co_ci_u32_e64 v6, s3, s7, v6, s3
	global_load_b32 v7, v[5:6], off
	s_and_saveexec_b32 s3, vcc_lo
	s_xor_b32 s3, exec_lo, s3
	s_cbranch_execz .LBB44_54
; %bb.41:                               ;   in Loop: Header=BB44_39 Depth=1
                                        ; implicit-def: $vgpr1
	s_and_saveexec_b32 s26, s0
	s_delay_alu instid0(SALU_CYCLE_1)
	s_xor_b32 s26, exec_lo, s26
	s_cbranch_execz .LBB44_51
; %bb.42:                               ;   in Loop: Header=BB44_39 Depth=1
                                        ; implicit-def: $vgpr1
	s_and_saveexec_b32 s27, s1
	s_delay_alu instid0(SALU_CYCLE_1)
	;; [unrolled: 6-line block ×3, first 2 shown]
	s_xor_b32 s28, exec_lo, s28
	s_cbranch_execz .LBB44_45
; %bb.44:                               ;   in Loop: Header=BB44_39 Depth=1
	s_waitcnt vmcnt(0)
	v_lshrrev_b32_e32 v1, v39, v7
                                        ; implicit-def: $vgpr5_vgpr6
                                        ; implicit-def: $vgpr7
.LBB44_45:                              ;   in Loop: Header=BB44_39 Depth=1
	s_and_not1_saveexec_b32 s28, s28
	s_cbranch_execz .LBB44_47
; %bb.46:                               ;   in Loop: Header=BB44_39 Depth=1
	global_load_b32 v1, v[5:6], off offset:4
	s_waitcnt vmcnt(0)
	v_alignbit_b32 v1, v1, v7, 28
	s_delay_alu instid0(VALU_DEP_1)
	v_and_b32_e32 v1, 0xfff, v1
.LBB44_47:                              ;   in Loop: Header=BB44_39 Depth=1
	s_or_b32 exec_lo, exec_lo, s28
                                        ; implicit-def: $vgpr7
.LBB44_48:                              ;   in Loop: Header=BB44_39 Depth=1
	s_and_not1_saveexec_b32 s27, s27
	s_cbranch_execz .LBB44_50
; %bb.49:                               ;   in Loop: Header=BB44_39 Depth=1
	s_waitcnt vmcnt(0)
	v_lshrrev_b32_e32 v1, v40, v7
.LBB44_50:                              ;   in Loop: Header=BB44_39 Depth=1
	s_or_b32 exec_lo, exec_lo, s27
                                        ; implicit-def: $vgpr5_vgpr6
                                        ; implicit-def: $vgpr7
.LBB44_51:                              ;   in Loop: Header=BB44_39 Depth=1
	s_and_not1_saveexec_b32 s26, s26
	s_cbranch_execz .LBB44_53
; %bb.52:                               ;   in Loop: Header=BB44_39 Depth=1
	global_load_b32 v1, v[5:6], off offset:4
	s_waitcnt vmcnt(0)
	v_perm_b32 v1, v7, v1, 0x2010007
	s_delay_alu instid0(VALU_DEP_1)
	v_and_b32_e32 v1, 0xfff, v1
.LBB44_53:                              ;   in Loop: Header=BB44_39 Depth=1
	s_or_b32 exec_lo, exec_lo, s26
                                        ; implicit-def: $vgpr7
.LBB44_54:                              ;   in Loop: Header=BB44_39 Depth=1
	s_and_not1_saveexec_b32 s3, s3
	s_cbranch_execz .LBB44_37
; %bb.55:                               ;   in Loop: Header=BB44_39 Depth=1
	s_waitcnt vmcnt(0)
	v_lshrrev_b32_e32 v1, v33, v7
	s_branch .LBB44_37
.LBB44_56:
	v_mad_u64_u32 v[1:2], null, s12, s16, v[0:1]
	s_mov_b32 s0, 0
	s_delay_alu instid0(VALU_DEP_1) | instskip(NEXT) | instid1(VALU_DEP_1)
	v_ashrrev_i32_e32 v2, 31, v1
	v_lshlrev_b64 v[2:3], 1, v[1:2]
	s_delay_alu instid0(VALU_DEP_1) | instskip(NEXT) | instid1(VALU_DEP_2)
	v_add_co_u32 v2, vcc_lo, s10, v2
	v_add_co_ci_u32_e32 v3, vcc_lo, s11, v3, vcc_lo
	global_load_b32 v5, v[2:3], off
.LBB44_57:                              ; =>This Inner Loop Header: Depth=1
	s_waitcnt vmcnt(0)
	v_pk_add_f16 v4, v37, v5
	global_atomic_cmpswap_b32 v0, v[2:3], v[4:5], off glc
	s_waitcnt vmcnt(0)
	v_cmp_eq_u32_e32 vcc_lo, v5, v0
	v_mov_b32_e32 v5, v0
	s_or_b32 s0, vcc_lo, s0
	s_delay_alu instid0(SALU_CYCLE_1)
	s_and_not1_b32 exec_lo, exec_lo, s0
	s_cbranch_execnz .LBB44_57
; %bb.58:
	s_or_b32 exec_lo, exec_lo, s0
	global_load_b32 v5, v[2:3], off offset:4
	s_mov_b32 s0, 0
.LBB44_59:                              ; =>This Inner Loop Header: Depth=1
	s_waitcnt vmcnt(0)
	v_pk_add_f16 v4, v36, v5
	global_atomic_cmpswap_b32 v0, v[2:3], v[4:5], off offset:4 glc
	s_waitcnt vmcnt(0)
	v_cmp_eq_u32_e32 vcc_lo, v5, v0
	v_mov_b32_e32 v5, v0
	s_or_b32 s0, vcc_lo, s0
	s_delay_alu instid0(SALU_CYCLE_1)
	s_and_not1_b32 exec_lo, exec_lo, s0
	s_cbranch_execnz .LBB44_59
; %bb.60:
	s_or_b32 exec_lo, exec_lo, s0
	v_add_nc_u32_e32 v0, s16, v1
	s_mov_b32 s0, 0
	s_delay_alu instid0(VALU_DEP_1) | instskip(NEXT) | instid1(VALU_DEP_1)
	v_ashrrev_i32_e32 v1, 31, v0
	v_lshlrev_b64 v[1:2], 1, v[0:1]
	s_delay_alu instid0(VALU_DEP_1) | instskip(NEXT) | instid1(VALU_DEP_2)
	v_add_co_u32 v1, vcc_lo, s10, v1
	v_add_co_ci_u32_e32 v2, vcc_lo, s11, v2, vcc_lo
	global_load_b32 v4, v[1:2], off
.LBB44_61:                              ; =>This Inner Loop Header: Depth=1
	s_waitcnt vmcnt(0)
	v_pk_add_f16 v3, v35, v4
	global_atomic_cmpswap_b32 v3, v[1:2], v[3:4], off glc
	s_waitcnt vmcnt(0)
	v_cmp_eq_u32_e32 vcc_lo, v4, v3
	v_mov_b32_e32 v4, v3
	s_or_b32 s0, vcc_lo, s0
	s_delay_alu instid0(SALU_CYCLE_1)
	s_and_not1_b32 exec_lo, exec_lo, s0
	s_cbranch_execnz .LBB44_61
; %bb.62:
	s_or_b32 exec_lo, exec_lo, s0
	global_load_b32 v4, v[1:2], off offset:4
	s_mov_b32 s0, 0
.LBB44_63:                              ; =>This Inner Loop Header: Depth=1
	s_waitcnt vmcnt(0)
	v_pk_add_f16 v3, v34, v4
	global_atomic_cmpswap_b32 v3, v[1:2], v[3:4], off offset:4 glc
	s_waitcnt vmcnt(0)
	v_cmp_eq_u32_e32 vcc_lo, v4, v3
	v_mov_b32_e32 v4, v3
	s_or_b32 s0, vcc_lo, s0
	s_delay_alu instid0(SALU_CYCLE_1)
	s_and_not1_b32 exec_lo, exec_lo, s0
	s_cbranch_execnz .LBB44_63
; %bb.64:
	s_or_b32 exec_lo, exec_lo, s0
	v_add_nc_u32_e32 v0, s16, v0
	;; [unrolled: 37-line block ×7, first 2 shown]
	s_mov_b32 s0, 0
	s_delay_alu instid0(VALU_DEP_1) | instskip(NEXT) | instid1(VALU_DEP_1)
	v_ashrrev_i32_e32 v1, 31, v0
	v_lshlrev_b64 v[0:1], 1, v[0:1]
	s_delay_alu instid0(VALU_DEP_1) | instskip(NEXT) | instid1(VALU_DEP_2)
	v_add_co_u32 v0, vcc_lo, s10, v0
	v_add_co_ci_u32_e32 v1, vcc_lo, s11, v1, vcc_lo
	global_load_b32 v3, v[0:1], off
.LBB44_85:                              ; =>This Inner Loop Header: Depth=1
	s_waitcnt vmcnt(0)
	v_pk_add_f16 v2, v22, v3
	global_atomic_cmpswap_b32 v2, v[0:1], v[2:3], off glc
	s_waitcnt vmcnt(0)
	v_cmp_eq_u32_e32 vcc_lo, v3, v2
	v_mov_b32_e32 v3, v2
	s_or_b32 s0, vcc_lo, s0
	s_delay_alu instid0(SALU_CYCLE_1)
	s_and_not1_b32 exec_lo, exec_lo, s0
	s_cbranch_execnz .LBB44_85
; %bb.86:
	s_or_b32 exec_lo, exec_lo, s0
	global_load_b32 v3, v[0:1], off offset:4
	s_mov_b32 s0, 0
.LBB44_87:                              ; =>This Inner Loop Header: Depth=1
	s_waitcnt vmcnt(0)
	v_pk_add_f16 v2, v21, v3
	global_atomic_cmpswap_b32 v2, v[0:1], v[2:3], off offset:4 glc
	s_waitcnt vmcnt(0)
	v_cmp_eq_u32_e32 vcc_lo, v3, v2
	v_mov_b32_e32 v3, v2
	s_or_b32 s0, vcc_lo, s0
	s_delay_alu instid0(SALU_CYCLE_1)
	s_and_not1_b32 exec_lo, exec_lo, s0
	s_cbranch_execnz .LBB44_87
.LBB44_88:
	s_endpgm
	.section	.rodata,"a",@progbits
	.p2align	6, 0x0
	.amdhsa_kernel _ZN4vllm4gptq33gemm_half_q_half_gptq_3bit_kernelILb1ELi8EEEvPK6__halfPKjS6_S4_PS2_iiiibPKi
		.amdhsa_group_segment_fixed_size 2048
		.amdhsa_private_segment_fixed_size 0
		.amdhsa_kernarg_size 72
		.amdhsa_user_sgpr_count 13
		.amdhsa_user_sgpr_dispatch_ptr 0
		.amdhsa_user_sgpr_queue_ptr 0
		.amdhsa_user_sgpr_kernarg_segment_ptr 1
		.amdhsa_user_sgpr_dispatch_id 0
		.amdhsa_user_sgpr_private_segment_size 0
		.amdhsa_wavefront_size32 1
		.amdhsa_uses_dynamic_stack 0
		.amdhsa_enable_private_segment 0
		.amdhsa_system_sgpr_workgroup_id_x 1
		.amdhsa_system_sgpr_workgroup_id_y 1
		.amdhsa_system_sgpr_workgroup_id_z 1
		.amdhsa_system_sgpr_workgroup_info 0
		.amdhsa_system_vgpr_workitem_id 0
		.amdhsa_next_free_vgpr 114
		.amdhsa_next_free_sgpr 29
		.amdhsa_reserve_vcc 1
		.amdhsa_float_round_mode_32 0
		.amdhsa_float_round_mode_16_64 0
		.amdhsa_float_denorm_mode_32 3
		.amdhsa_float_denorm_mode_16_64 3
		.amdhsa_dx10_clamp 1
		.amdhsa_ieee_mode 1
		.amdhsa_fp16_overflow 0
		.amdhsa_workgroup_processor_mode 1
		.amdhsa_memory_ordered 1
		.amdhsa_forward_progress 0
		.amdhsa_shared_vgpr_count 0
		.amdhsa_exception_fp_ieee_invalid_op 0
		.amdhsa_exception_fp_denorm_src 0
		.amdhsa_exception_fp_ieee_div_zero 0
		.amdhsa_exception_fp_ieee_overflow 0
		.amdhsa_exception_fp_ieee_underflow 0
		.amdhsa_exception_fp_ieee_inexact 0
		.amdhsa_exception_int_div_zero 0
	.end_amdhsa_kernel
	.section	.text._ZN4vllm4gptq33gemm_half_q_half_gptq_3bit_kernelILb1ELi8EEEvPK6__halfPKjS6_S4_PS2_iiiibPKi,"axG",@progbits,_ZN4vllm4gptq33gemm_half_q_half_gptq_3bit_kernelILb1ELi8EEEvPK6__halfPKjS6_S4_PS2_iiiibPKi,comdat
.Lfunc_end44:
	.size	_ZN4vllm4gptq33gemm_half_q_half_gptq_3bit_kernelILb1ELi8EEEvPK6__halfPKjS6_S4_PS2_iiiibPKi, .Lfunc_end44-_ZN4vllm4gptq33gemm_half_q_half_gptq_3bit_kernelILb1ELi8EEEvPK6__halfPKjS6_S4_PS2_iiiibPKi
                                        ; -- End function
	.section	.AMDGPU.csdata,"",@progbits
; Kernel info:
; codeLenInByte = 12628
; NumSgprs: 31
; NumVgprs: 114
; ScratchSize: 0
; MemoryBound: 0
; FloatMode: 240
; IeeeMode: 1
; LDSByteSize: 2048 bytes/workgroup (compile time only)
; SGPRBlocks: 3
; VGPRBlocks: 14
; NumSGPRsForWavesPerEU: 31
; NumVGPRsForWavesPerEU: 114
; Occupancy: 12
; WaveLimiterHint : 0
; COMPUTE_PGM_RSRC2:SCRATCH_EN: 0
; COMPUTE_PGM_RSRC2:USER_SGPR: 13
; COMPUTE_PGM_RSRC2:TRAP_HANDLER: 0
; COMPUTE_PGM_RSRC2:TGID_X_EN: 1
; COMPUTE_PGM_RSRC2:TGID_Y_EN: 1
; COMPUTE_PGM_RSRC2:TGID_Z_EN: 1
; COMPUTE_PGM_RSRC2:TIDIG_COMP_CNT: 0
	.section	.text._ZN4vllm4gptq33gemm_half_q_half_gptq_4bit_kernelILb1ELi8EEEvPK6__halfPKjS6_S4_PS2_iiiibPKi,"axG",@progbits,_ZN4vllm4gptq33gemm_half_q_half_gptq_4bit_kernelILb1ELi8EEEvPK6__halfPKjS6_S4_PS2_iiiibPKi,comdat
	.protected	_ZN4vllm4gptq33gemm_half_q_half_gptq_4bit_kernelILb1ELi8EEEvPK6__halfPKjS6_S4_PS2_iiiibPKi ; -- Begin function _ZN4vllm4gptq33gemm_half_q_half_gptq_4bit_kernelILb1ELi8EEEvPK6__halfPKjS6_S4_PS2_iiiibPKi
	.globl	_ZN4vllm4gptq33gemm_half_q_half_gptq_4bit_kernelILb1ELi8EEEvPK6__halfPKjS6_S4_PS2_iiiibPKi
	.p2align	8
	.type	_ZN4vllm4gptq33gemm_half_q_half_gptq_4bit_kernelILb1ELi8EEEvPK6__halfPKjS6_S4_PS2_iiiibPKi,@function
_ZN4vllm4gptq33gemm_half_q_half_gptq_4bit_kernelILb1ELi8EEEvPK6__halfPKjS6_S4_PS2_iiiibPKi: ; @_ZN4vllm4gptq33gemm_half_q_half_gptq_4bit_kernelILb1ELi8EEEvPK6__halfPKjS6_S4_PS2_iiiibPKi
; %bb.0:
	s_load_b128 s[16:19], s[0:1], 0x2c
	s_lshl_b32 s15, s15, 7
	s_load_b256 s[4:11], s[0:1], 0x8
	s_add_i32 s2, s15, 0x80
	s_lshl_b32 s12, s14, 3
	v_cvt_f64_u32_e32 v[1:2], s2
	s_mov_b32 s14, exec_lo
	s_waitcnt lgkmcnt(0)
	v_cvt_f64_i32_e32 v[3:4], s17
	s_delay_alu instid0(VALU_DEP_1) | instskip(NEXT) | instid1(VALU_DEP_1)
	v_min_f64 v[1:2], v[1:2], v[3:4]
	v_cvt_i32_f64_e32 v2, v[1:2]
	v_add_nc_u32_e32 v1, s15, v0
	s_delay_alu instid0(VALU_DEP_2) | instskip(NEXT) | instid1(VALU_DEP_2)
	v_readfirstlane_b32 s20, v2
	v_cmpx_lt_u32_e64 v1, v2
	s_cbranch_execz .LBB45_18
; %bb.1:
	s_clause 0x1
	s_load_b64 s[2:3], s[0:1], 0x40
	s_load_b64 s[0:1], s[0:1], 0x0
	v_mov_b32_e32 v2, 0
	s_delay_alu instid0(VALU_DEP_1) | instskip(SKIP_2) | instid1(VALU_DEP_2)
	v_lshlrev_b64 v[3:4], 2, v[1:2]
	v_dual_mov_b32 v6, v2 :: v_dual_mov_b32 v5, v1
	s_waitcnt lgkmcnt(0)
	v_add_co_u32 v3, vcc_lo, s2, v3
	s_delay_alu instid0(VALU_DEP_3)
	v_add_co_ci_u32_e32 v4, vcc_lo, s3, v4, vcc_lo
	s_cmp_lg_u64 s[2:3], 0
	s_cselect_b32 s21, -1, 0
	s_cmp_eq_u64 s[2:3], 0
	s_cbranch_scc1 .LBB45_3
; %bb.2:
	global_load_b32 v5, v[3:4], off
	s_waitcnt vmcnt(0)
	v_ashrrev_i32_e32 v6, 31, v5
.LBB45_3:
	s_mul_i32 s2, s12, s17
	s_delay_alu instid0(VALU_DEP_1)
	v_lshlrev_b64 v[5:6], 1, v[5:6]
	s_ashr_i32 s3, s2, 31
	v_lshlrev_b32_e32 v7, 1, v0
	s_lshl_b64 s[22:23], s[2:3], 1
	v_cndmask_b32_e64 v8, 0, 1, s21
	s_add_u32 s3, s0, s22
	s_addc_u32 s22, s1, s23
	v_add_co_u32 v5, vcc_lo, s3, v5
	v_add_co_ci_u32_e32 v6, vcc_lo, s22, v6, vcc_lo
	s_and_not1_b32 vcc_lo, exec_lo, s21
	global_load_u16 v9, v[5:6], off
	v_dual_mov_b32 v6, v2 :: v_dual_mov_b32 v5, v1
	s_waitcnt vmcnt(0)
	ds_store_b16 v7, v9
	s_cbranch_vccnz .LBB45_5
; %bb.4:
	global_load_b32 v5, v[3:4], off
	s_waitcnt vmcnt(0)
	v_ashrrev_i32_e32 v6, 31, v5
.LBB45_5:
	s_add_i32 s2, s2, s17
	s_delay_alu instid0(VALU_DEP_1) | instskip(SKIP_1) | instid1(SALU_CYCLE_1)
	v_lshlrev_b64 v[5:6], 1, v[5:6]
	s_ashr_i32 s3, s2, 31
	s_lshl_b64 s[22:23], s[2:3], 1
	s_delay_alu instid0(SALU_CYCLE_1) | instskip(SKIP_1) | instid1(VALU_DEP_1)
	s_add_u32 s3, s0, s22
	s_addc_u32 s21, s1, s23
	v_add_co_u32 v5, vcc_lo, s3, v5
	v_add_co_ci_u32_e32 v6, vcc_lo, s21, v6, vcc_lo
	v_cmp_ne_u32_e32 vcc_lo, 1, v8
	global_load_u16 v9, v[5:6], off
	v_dual_mov_b32 v6, v2 :: v_dual_mov_b32 v5, v1
	s_waitcnt vmcnt(0)
	ds_store_b16 v7, v9 offset:256
	s_cbranch_vccnz .LBB45_7
; %bb.6:
	global_load_b32 v5, v[3:4], off
	s_waitcnt vmcnt(0)
	v_ashrrev_i32_e32 v6, 31, v5
.LBB45_7:
	s_add_i32 s2, s2, s17
	s_delay_alu instid0(VALU_DEP_1) | instskip(SKIP_1) | instid1(SALU_CYCLE_1)
	v_lshlrev_b64 v[5:6], 1, v[5:6]
	s_ashr_i32 s3, s2, 31
	s_lshl_b64 s[22:23], s[2:3], 1
	s_delay_alu instid0(SALU_CYCLE_1) | instskip(SKIP_1) | instid1(VALU_DEP_1)
	s_add_u32 s3, s0, s22
	s_addc_u32 s21, s1, s23
	v_add_co_u32 v5, vcc_lo, s3, v5
	v_add_co_ci_u32_e32 v6, vcc_lo, s21, v6, vcc_lo
	v_cmp_ne_u32_e32 vcc_lo, 1, v8
	global_load_u16 v9, v[5:6], off
	v_dual_mov_b32 v6, v2 :: v_dual_mov_b32 v5, v1
	s_waitcnt vmcnt(0)
	ds_store_b16 v7, v9 offset:512
	;; [unrolled: 21-line block ×5, first 2 shown]
	s_cbranch_vccnz .LBB45_15
; %bb.14:
	global_load_b32 v5, v[3:4], off
	s_waitcnt vmcnt(0)
	v_ashrrev_i32_e32 v6, 31, v5
.LBB45_15:
	s_add_i32 s2, s2, s17
	s_delay_alu instid0(VALU_DEP_1) | instskip(SKIP_1) | instid1(SALU_CYCLE_1)
	v_lshlrev_b64 v[5:6], 1, v[5:6]
	s_ashr_i32 s3, s2, 31
	s_lshl_b64 s[22:23], s[2:3], 1
	s_delay_alu instid0(SALU_CYCLE_1) | instskip(SKIP_1) | instid1(VALU_DEP_1)
	s_add_u32 s3, s0, s22
	s_addc_u32 s21, s1, s23
	v_add_co_u32 v5, vcc_lo, s3, v5
	v_add_co_ci_u32_e32 v6, vcc_lo, s21, v6, vcc_lo
	v_cmp_ne_u32_e32 vcc_lo, 1, v8
	global_load_u16 v5, v[5:6], off
	s_waitcnt vmcnt(0)
	ds_store_b16 v7, v5 offset:1536
	s_cbranch_vccnz .LBB45_17
; %bb.16:
	global_load_b32 v1, v[3:4], off
	s_waitcnt vmcnt(0)
	v_ashrrev_i32_e32 v2, 31, v1
.LBB45_17:
	s_add_i32 s2, s2, s17
	s_delay_alu instid0(VALU_DEP_1) | instskip(SKIP_1) | instid1(SALU_CYCLE_1)
	v_lshlrev_b64 v[1:2], 1, v[1:2]
	s_ashr_i32 s3, s2, 31
	s_lshl_b64 s[2:3], s[2:3], 1
	s_delay_alu instid0(SALU_CYCLE_1) | instskip(SKIP_1) | instid1(VALU_DEP_1)
	s_add_u32 s0, s0, s2
	s_addc_u32 s1, s1, s3
	v_add_co_u32 v1, vcc_lo, s0, v1
	v_add_co_ci_u32_e32 v2, vcc_lo, s1, v2, vcc_lo
	global_load_u16 v1, v[1:2], off
	s_waitcnt vmcnt(0)
	ds_store_b16 v7, v1 offset:1792
.LBB45_18:
	s_or_b32 exec_lo, exec_lo, s14
	v_lshlrev_b32_e32 v1, 2, v0
	s_mov_b32 s0, exec_lo
	s_delay_alu instid0(VALU_DEP_1) | instskip(NEXT) | instid1(VALU_DEP_1)
	v_lshl_add_u32 v1, s13, 9, v1
	v_cmpx_gt_i32_e64 s16, v1
	s_cbranch_execz .LBB45_56
; %bb.19:
	s_abs_i32 s0, s18
	v_dual_mov_b32 v11, 0 :: v_dual_mov_b32 v8, 0
	v_cvt_f32_u32_e32 v2, s0
	v_dual_mov_b32 v9, 0 :: v_dual_mov_b32 v10, 0
	v_dual_mov_b32 v12, 0 :: v_dual_mov_b32 v13, 0
	s_delay_alu instid0(VALU_DEP_3)
	v_rcp_iflag_f32_e32 v2, v2
	v_dual_mov_b32 v14, 0 :: v_dual_mov_b32 v15, 0
	v_dual_mov_b32 v16, 0 :: v_dual_mov_b32 v17, 0
	;; [unrolled: 1-line block ×4, first 2 shown]
	s_waitcnt_depctr 0xfff
	v_dual_mov_b32 v23, 0 :: v_dual_mul_f32 v2, 0x4f7ffffe, v2
	v_dual_mov_b32 v22, 0 :: v_dual_mov_b32 v25, 0
	v_dual_mov_b32 v24, 0 :: v_dual_mov_b32 v27, 0
	s_delay_alu instid0(VALU_DEP_3) | instskip(SKIP_2) | instid1(VALU_DEP_3)
	v_cvt_u32_f32_e32 v2, v2
	v_dual_mov_b32 v26, 0 :: v_dual_mov_b32 v29, 0
	v_dual_mov_b32 v28, 0 :: v_dual_mov_b32 v31, 0
	v_readfirstlane_b32 s1, v2
	v_dual_mov_b32 v30, 0 :: v_dual_mov_b32 v33, 0
	v_dual_mov_b32 v32, 0 :: v_dual_mov_b32 v35, 0
	;; [unrolled: 1-line block ×4, first 2 shown]
	v_mov_b32_e32 v38, 0
	s_cmp_ge_i32 s15, s20
	s_mov_b32 s13, 0
	s_waitcnt lgkmcnt(0)
	s_barrier
	buffer_gl0_inv
	s_cbranch_scc1 .LBB45_24
; %bb.20:
	s_sub_i32 s2, 0, s0
	s_abs_i32 s3, s17
	s_mul_i32 s2, s2, s1
	s_ashr_i32 s14, s18, 31
	s_mul_hi_u32 s2, s1, s2
	v_dual_mov_b32 v39, 0 :: v_dual_mov_b32 v32, 0
	s_add_i32 s1, s1, s2
	s_ashr_i32 s2, s17, 31
	s_mul_hi_u32 s1, s3, s1
	s_xor_b32 s2, s2, s14
	s_mul_i32 s17, s1, s0
	s_add_i32 s14, s1, 1
	s_sub_i32 s3, s3, s17
	v_dual_mov_b32 v37, 0 :: v_dual_mov_b32 v30, 0
	s_sub_i32 s17, s3, s0
	s_cmp_ge_u32 s3, s0
	v_dual_mov_b32 v35, 0 :: v_dual_mov_b32 v28, 0
	s_cselect_b32 s1, s14, s1
	s_cselect_b32 s3, s17, s3
	s_add_i32 s14, s1, 1
	s_cmp_ge_u32 s3, s0
	v_dual_mov_b32 v33, 0 :: v_dual_mov_b32 v26, 0
	s_cselect_b32 s0, s14, s1
	v_dual_mov_b32 v31, 0 :: v_dual_mov_b32 v24, 0
	s_xor_b32 s0, s0, s2
	v_dual_mov_b32 v29, 0 :: v_dual_mov_b32 v22, 0
	s_sub_i32 s14, s0, s2
	s_bitcmp1_b32 s19, 0
	v_cvt_f32_u32_e32 v2, s14
	s_cselect_b32 s1, -1, 0
	s_sub_i32 s2, 0, s14
	s_xor_b32 s3, s1, -1
	v_dual_mov_b32 v27, 0 :: v_dual_mov_b32 v20, 0
	v_rcp_iflag_f32_e32 v2, v2
	v_cndmask_b32_e64 v41, 0, 1, s3
	v_dual_mov_b32 v25, 0 :: v_dual_mov_b32 v18, 0
	v_dual_mov_b32 v23, 0 :: v_dual_mov_b32 v16, 0
	;; [unrolled: 1-line block ×4, first 2 shown]
	s_waitcnt_depctr 0xfff
	v_dual_mul_f32 v2, 0x4f7ffffe, v2 :: v_dual_mov_b32 v17, 0
	v_dual_mov_b32 v10, 0 :: v_dual_mov_b32 v15, 0
	v_mov_b32_e32 v8, 0
	s_delay_alu instid0(VALU_DEP_3) | instskip(SKIP_3) | instid1(VALU_DEP_4)
	v_cvt_u32_f32_e32 v2, v2
	v_mov_b32_e32 v38, 0
	v_mov_b32_e32 v36, 0
	;; [unrolled: 1-line block ×3, first 2 shown]
	v_readfirstlane_b32 s0, v2
	v_ashrrev_i32_e32 v2, 31, v1
	s_delay_alu instid0(VALU_DEP_2) | instskip(NEXT) | instid1(VALU_DEP_1)
	s_mul_i32 s2, s2, s0
	v_lshrrev_b32_e32 v3, 29, v2
	s_mul_hi_u32 s2, s0, s2
	s_delay_alu instid0(SALU_CYCLE_1) | instskip(NEXT) | instid1(SALU_CYCLE_1)
	s_add_i32 s0, s0, s2
	s_mul_hi_u32 s0, s15, s0
	s_delay_alu instid0(VALU_DEP_1) | instskip(SKIP_1) | instid1(SALU_CYCLE_1)
	v_add_nc_u32_e32 v3, v1, v3
	s_mul_i32 s2, s0, s14
	s_sub_i32 s1, s15, s2
	s_add_i32 s2, s0, 1
	s_sub_i32 s17, s1, s14
	s_cmp_ge_u32 s1, s14
	v_ashrrev_i32_e32 v40, 3, v3
	s_cselect_b32 s0, s2, s0
	s_cselect_b32 s1, s17, s1
	s_add_i32 s2, s0, 1
	s_cmp_ge_u32 s1, s14
	s_cselect_b32 s18, s2, s0
	s_delay_alu instid0(SALU_CYCLE_1) | instskip(NEXT) | instid1(SALU_CYCLE_1)
	s_mul_i32 s0, s18, s16
	s_ashr_i32 s1, s0, 31
	v_add_nc_u32_e32 v3, s0, v1
	s_lshr_b32 s1, s1, 29
	s_delay_alu instid0(SALU_CYCLE_1) | instskip(NEXT) | instid1(SALU_CYCLE_1)
	s_add_i32 s0, s0, s1
	s_ashr_i32 s0, s0, 3
	s_delay_alu instid0(VALU_DEP_1) | instskip(SKIP_2) | instid1(SALU_CYCLE_1)
	v_ashrrev_i32_e32 v4, 31, v3
	v_add_nc_u32_e32 v5, s0, v40
	s_lshr_b32 s0, s15, 3
	s_mul_i32 s0, s0, s16
	s_delay_alu instid0(VALU_DEP_2) | instskip(NEXT) | instid1(VALU_DEP_2)
	v_lshlrev_b64 v[3:4], 1, v[3:4]
	v_ashrrev_i32_e32 v6, 31, v5
	s_ashr_i32 s1, s0, 31
	s_delay_alu instid0(SALU_CYCLE_1) | instskip(NEXT) | instid1(VALU_DEP_1)
	s_lshl_b64 s[0:1], s[0:1], 2
	v_lshlrev_b64 v[5:6], 2, v[5:6]
	s_delay_alu instid0(VALU_DEP_3) | instskip(SKIP_2) | instid1(VALU_DEP_3)
	v_add_co_u32 v3, vcc_lo, s8, v3
	v_add_co_ci_u32_e32 v4, vcc_lo, s9, v4, vcc_lo
	s_add_u32 s0, s4, s0
	v_add_co_u32 v5, vcc_lo, s6, v5
	s_delay_alu instid0(VALU_DEP_4)
	v_add_co_ci_u32_e32 v6, vcc_lo, s7, v6, vcc_lo
	global_load_b64 v[43:44], v[3:4], off
	global_load_b32 v4, v[5:6], off
	v_lshlrev_b32_e32 v5, 4, v0
	v_mov_b32_e32 v13, 0
	v_lshlrev_b64 v[2:3], 2, v[1:2]
	s_addc_u32 s1, s5, s1
	s_ashr_i32 s17, s16, 31
	v_and_b32_e32 v0, 16, v5
	s_add_i32 s4, s14, s15
	s_lshl_b64 s[2:3], s[16:17], 2
	v_add_co_u32 v2, vcc_lo, s0, v2
	v_add_co_ci_u32_e32 v3, vcc_lo, s1, v3, vcc_lo
	s_lshl_b64 s[0:1], s[16:17], 4
	s_mov_b32 s5, 0xf000f
	s_mov_b32 s17, 0xf000f0
	s_waitcnt vmcnt(1)
	v_lshrrev_b32_e32 v6, 16, v43
	s_waitcnt vmcnt(0)
	v_lshrrev_b32_e32 v5, v5, v4
	v_cvt_f32_f16_e32 v42, v43
	v_cvt_f32_f16_e32 v43, v44
	v_lshrrev_b32_e32 v7, 16, v44
	v_bfe_u32 v4, v4, v0, 4
	v_cvt_f32_f16_e32 v44, v6
	v_bfe_u32 v6, v5, 12, 4
	v_bfe_u32 v11, v5, 8, 4
	;; [unrolled: 1-line block ×3, first 2 shown]
	v_dual_mov_b32 v9, 0 :: v_dual_add_nc_u32 v4, v4, v41
	v_cvt_f32_f16_e32 v45, v7
	v_add_nc_u32_e32 v6, v6, v41
	v_add_nc_u32_e32 v7, v11, v41
	;; [unrolled: 1-line block ×3, first 2 shown]
	v_cvt_f32_ubyte0_e32 v11, v4
	v_or_b32_e32 v4, 0xffffe400, v4
	v_cvt_f32_ubyte0_e32 v47, v6
	v_or_b32_e32 v6, 0xffffe400, v6
	v_cvt_f32_ubyte0_e32 v49, v7
	v_cvt_f32_ubyte0_e32 v50, v5
	v_or_b32_e32 v7, 0xffffe400, v7
	v_cvt_f16_f32_e32 v11, v11
	v_perm_b32 v46, v4, v4, 0x5040100
	v_cvt_f16_f32_e32 v4, v47
	v_perm_b32 v48, v6, v6, 0x5040100
	v_cvt_f16_f32_e32 v6, v49
	v_cvt_f16_f32_e32 v49, v50
	v_or_b32_e32 v5, 0xffffe400, v5
	v_perm_b32 v47, v7, v7, 0x5040100
	v_sub_f16_e32 v7, 0xd400, v11
	v_sub_f16_e32 v4, 0xd400, v4
	;; [unrolled: 1-line block ×4, first 2 shown]
	v_perm_b32 v49, v5, v5, 0x5040100
	v_pack_b32_f16 v50, v7, v7
	v_pack_b32_f16 v51, v4, v4
	;; [unrolled: 1-line block ×4, first 2 shown]
	v_mov_b32_e32 v11, 0
	s_branch .LBB45_22
.LBB45_21:                              ;   in Loop: Header=BB45_22 Depth=1
	global_load_b128 v[4:7], v[2:3], off
	s_add_i32 s19, s13, 0x400
	s_add_i32 s15, s15, 32
	s_waitcnt vmcnt(0)
	v_and_or_b32 v54, v4, s5, 0x64006400
	v_and_or_b32 v55, v4, s17, 0x64006400
	v_lshrrev_b32_e32 v4, 8, v4
	s_delay_alu instid0(VALU_DEP_3) | instskip(SKIP_1) | instid1(VALU_DEP_3)
	v_pk_add_f16 v57, v46, v54
	v_and_or_b32 v54, v5, s17, 0x64006400
	v_and_or_b32 v56, v4, s5, 0x64006400
	v_and_or_b32 v4, v4, s17, 0x64006400
	v_pk_fma_f16 v58, 0x2c00, v55, v50 op_sel_hi:[0,1,1]
	s_delay_alu instid0(VALU_DEP_4) | instskip(NEXT) | instid1(VALU_DEP_4)
	v_pk_fma_f16 v61, 0x2c00, v54, v53 op_sel_hi:[0,1,1]
	v_pk_add_f16 v56, v46, v56
	s_delay_alu instid0(VALU_DEP_4) | instskip(SKIP_2) | instid1(VALU_DEP_2)
	v_pk_fma_f16 v59, 0x2c00, v4, v50 op_sel_hi:[0,1,1]
	v_and_or_b32 v4, v5, s5, 0x64006400
	v_lshrrev_b32_e32 v5, 8, v5
	v_pk_add_f16 v60, v49, v4
	s_delay_alu instid0(VALU_DEP_2) | instskip(SKIP_2) | instid1(VALU_DEP_3)
	v_and_or_b32 v55, v5, s5, 0x64006400
	v_and_or_b32 v5, v5, s17, 0x64006400
	;; [unrolled: 1-line block ×3, first 2 shown]
	v_pk_add_f16 v62, v49, v55
	s_delay_alu instid0(VALU_DEP_3) | instskip(SKIP_4) | instid1(VALU_DEP_4)
	v_pk_fma_f16 v63, 0x2c00, v5, v53 op_sel_hi:[0,1,1]
	v_and_or_b32 v5, v6, s17, 0x64006400
	v_lshrrev_b32_e32 v6, 8, v6
	v_pk_add_f16 v64, v47, v4
	v_and_or_b32 v4, v7, s5, 0x64006400
	v_pk_fma_f16 v65, 0x2c00, v5, v52 op_sel_hi:[0,1,1]
	s_delay_alu instid0(VALU_DEP_4) | instskip(SKIP_3) | instid1(VALU_DEP_4)
	v_and_or_b32 v54, v6, s5, 0x64006400
	v_and_or_b32 v6, v6, s17, 0x64006400
	;; [unrolled: 1-line block ×3, first 2 shown]
	v_pk_add_f16 v68, v48, v4
	v_pk_add_f16 v66, v47, v54
	s_delay_alu instid0(VALU_DEP_4) | instskip(SKIP_2) | instid1(VALU_DEP_2)
	v_pk_fma_f16 v67, 0x2c00, v6, v52 op_sel_hi:[0,1,1]
	v_lshrrev_b32_e32 v6, 8, v7
	v_pk_fma_f16 v69, 0x2c00, v5, v51 op_sel_hi:[0,1,1]
	v_and_or_b32 v7, v6, s5, 0x64006400
	v_and_or_b32 v6, v6, s17, 0x64006400
	s_delay_alu instid0(VALU_DEP_2) | instskip(NEXT) | instid1(VALU_DEP_2)
	v_pk_add_f16 v7, v48, v7
	v_pk_fma_f16 v70, 0x2c00, v6, v51 op_sel_hi:[0,1,1]
	v_mov_b32_e32 v6, s13
	ds_load_2addr_b32 v[4:5], v6 offset1:1
	s_waitcnt lgkmcnt(0)
	v_pk_fma_f16 v54, v57, v4, 0
	s_delay_alu instid0(VALU_DEP_1) | instskip(SKIP_3) | instid1(VALU_DEP_1)
	v_pk_fma_f16 v71, v58, v5, v54
	ds_load_2addr_b32 v[54:55], v6 offset0:2 offset1:3
	s_waitcnt lgkmcnt(0)
	v_pk_fma_f16 v71, v56, v54, v71
	v_pk_fma_f16 v71, v59, v55, v71
	s_delay_alu instid0(VALU_DEP_1) | instskip(SKIP_1) | instid1(VALU_DEP_1)
	v_cvt_f32_f16_e32 v72, v71
	v_lshrrev_b32_e32 v71, 16, v71
	v_cvt_f32_f16_e32 v71, v71
	s_delay_alu instid0(VALU_DEP_1) | instskip(NEXT) | instid1(VALU_DEP_1)
	v_add_f32_e32 v71, v72, v71
	v_fmac_f32_e32 v38, v71, v42
	v_pk_fma_f16 v71, v60, v4, 0
	s_delay_alu instid0(VALU_DEP_1) | instskip(NEXT) | instid1(VALU_DEP_1)
	v_pk_fma_f16 v71, v61, v5, v71
	v_pk_fma_f16 v71, v62, v54, v71
	s_delay_alu instid0(VALU_DEP_1) | instskip(NEXT) | instid1(VALU_DEP_1)
	v_pk_fma_f16 v71, v63, v55, v71
	v_cvt_f32_f16_e32 v72, v71
	v_lshrrev_b32_e32 v71, 16, v71
	s_delay_alu instid0(VALU_DEP_1) | instskip(NEXT) | instid1(VALU_DEP_1)
	v_cvt_f32_f16_e32 v71, v71
	v_add_f32_e32 v71, v72, v71
	s_delay_alu instid0(VALU_DEP_1) | instskip(SKIP_2) | instid1(VALU_DEP_2)
	v_fmac_f32_e32 v39, v71, v44
	v_pk_fma_f16 v71, v64, v4, 0
	v_pk_fma_f16 v4, v68, v4, 0
	;; [unrolled: 1-line block ×3, first 2 shown]
	s_delay_alu instid0(VALU_DEP_2) | instskip(NEXT) | instid1(VALU_DEP_2)
	v_pk_fma_f16 v4, v69, v5, v4
	v_pk_fma_f16 v71, v66, v54, v71
	s_delay_alu instid0(VALU_DEP_2) | instskip(NEXT) | instid1(VALU_DEP_2)
	v_pk_fma_f16 v4, v7, v54, v4
	v_pk_fma_f16 v71, v67, v55, v71
	s_delay_alu instid0(VALU_DEP_2) | instskip(NEXT) | instid1(VALU_DEP_2)
	v_pk_fma_f16 v4, v70, v55, v4
	v_cvt_f32_f16_e32 v72, v71
	v_lshrrev_b32_e32 v71, 16, v71
	s_delay_alu instid0(VALU_DEP_3) | instskip(SKIP_1) | instid1(VALU_DEP_3)
	v_cvt_f32_f16_e32 v5, v4
	v_lshrrev_b32_e32 v4, 16, v4
	v_cvt_f32_f16_e32 v71, v71
	s_delay_alu instid0(VALU_DEP_2) | instskip(NEXT) | instid1(VALU_DEP_1)
	v_cvt_f32_f16_e32 v4, v4
	v_dual_add_f32 v71, v72, v71 :: v_dual_add_f32 v4, v5, v4
	s_delay_alu instid0(VALU_DEP_1) | instskip(SKIP_3) | instid1(VALU_DEP_1)
	v_dual_fmac_f32 v37, v71, v43 :: v_dual_fmac_f32 v36, v4, v45
	ds_load_2addr_b32 v[4:5], v6 offset0:64 offset1:65
	s_waitcnt lgkmcnt(0)
	v_pk_fma_f16 v54, v57, v4, 0
	v_pk_fma_f16 v71, v58, v5, v54
	ds_load_2addr_b32 v[54:55], v6 offset0:66 offset1:67
	s_waitcnt lgkmcnt(0)
	v_pk_fma_f16 v71, v56, v54, v71
	s_delay_alu instid0(VALU_DEP_1) | instskip(NEXT) | instid1(VALU_DEP_1)
	v_pk_fma_f16 v71, v59, v55, v71
	v_cvt_f32_f16_e32 v72, v71
	v_lshrrev_b32_e32 v71, 16, v71
	s_delay_alu instid0(VALU_DEP_1) | instskip(NEXT) | instid1(VALU_DEP_1)
	v_cvt_f32_f16_e32 v71, v71
	v_add_f32_e32 v71, v72, v71
	s_delay_alu instid0(VALU_DEP_1) | instskip(SKIP_1) | instid1(VALU_DEP_1)
	v_fmac_f32_e32 v35, v71, v42
	v_pk_fma_f16 v71, v60, v4, 0
	v_pk_fma_f16 v71, v61, v5, v71
	s_delay_alu instid0(VALU_DEP_1) | instskip(NEXT) | instid1(VALU_DEP_1)
	v_pk_fma_f16 v71, v62, v54, v71
	v_pk_fma_f16 v71, v63, v55, v71
	s_delay_alu instid0(VALU_DEP_1) | instskip(SKIP_1) | instid1(VALU_DEP_1)
	v_cvt_f32_f16_e32 v72, v71
	v_lshrrev_b32_e32 v71, 16, v71
	v_cvt_f32_f16_e32 v71, v71
	s_delay_alu instid0(VALU_DEP_1) | instskip(NEXT) | instid1(VALU_DEP_1)
	v_add_f32_e32 v71, v72, v71
	v_fmac_f32_e32 v34, v71, v44
	v_pk_fma_f16 v71, v64, v4, 0
	v_pk_fma_f16 v4, v68, v4, 0
	s_delay_alu instid0(VALU_DEP_2) | instskip(NEXT) | instid1(VALU_DEP_2)
	v_pk_fma_f16 v71, v65, v5, v71
	v_pk_fma_f16 v4, v69, v5, v4
	s_delay_alu instid0(VALU_DEP_2) | instskip(NEXT) | instid1(VALU_DEP_2)
	;; [unrolled: 3-line block ×4, first 2 shown]
	v_cvt_f32_f16_e32 v72, v71
	v_cvt_f32_f16_e32 v5, v4
	v_lshrrev_b32_e32 v4, 16, v4
	v_lshrrev_b32_e32 v71, 16, v71
	s_delay_alu instid0(VALU_DEP_2) | instskip(NEXT) | instid1(VALU_DEP_2)
	v_cvt_f32_f16_e32 v4, v4
	v_cvt_f32_f16_e32 v71, v71
	s_delay_alu instid0(VALU_DEP_1) | instskip(NEXT) | instid1(VALU_DEP_1)
	v_dual_add_f32 v4, v5, v4 :: v_dual_add_f32 v71, v72, v71
	v_fmac_f32_e32 v32, v4, v45
	ds_load_2addr_b32 v[4:5], v6 offset0:128 offset1:129
	v_fmac_f32_e32 v33, v71, v43
	s_waitcnt lgkmcnt(0)
	v_pk_fma_f16 v54, v57, v4, 0
	s_delay_alu instid0(VALU_DEP_1) | instskip(SKIP_3) | instid1(VALU_DEP_1)
	v_pk_fma_f16 v71, v58, v5, v54
	ds_load_2addr_b32 v[54:55], v6 offset0:130 offset1:131
	s_waitcnt lgkmcnt(0)
	v_pk_fma_f16 v71, v56, v54, v71
	v_pk_fma_f16 v71, v59, v55, v71
	s_delay_alu instid0(VALU_DEP_1) | instskip(SKIP_1) | instid1(VALU_DEP_1)
	v_cvt_f32_f16_e32 v72, v71
	v_lshrrev_b32_e32 v71, 16, v71
	v_cvt_f32_f16_e32 v71, v71
	s_delay_alu instid0(VALU_DEP_1) | instskip(NEXT) | instid1(VALU_DEP_1)
	v_add_f32_e32 v71, v72, v71
	v_fmac_f32_e32 v31, v71, v42
	v_pk_fma_f16 v71, v60, v4, 0
	s_delay_alu instid0(VALU_DEP_1) | instskip(NEXT) | instid1(VALU_DEP_1)
	v_pk_fma_f16 v71, v61, v5, v71
	v_pk_fma_f16 v71, v62, v54, v71
	s_delay_alu instid0(VALU_DEP_1) | instskip(NEXT) | instid1(VALU_DEP_1)
	v_pk_fma_f16 v71, v63, v55, v71
	v_cvt_f32_f16_e32 v72, v71
	v_lshrrev_b32_e32 v71, 16, v71
	s_delay_alu instid0(VALU_DEP_1) | instskip(NEXT) | instid1(VALU_DEP_1)
	v_cvt_f32_f16_e32 v71, v71
	v_add_f32_e32 v71, v72, v71
	s_delay_alu instid0(VALU_DEP_1) | instskip(SKIP_2) | instid1(VALU_DEP_2)
	v_fmac_f32_e32 v30, v71, v44
	v_pk_fma_f16 v71, v64, v4, 0
	v_pk_fma_f16 v4, v68, v4, 0
	;; [unrolled: 1-line block ×3, first 2 shown]
	s_delay_alu instid0(VALU_DEP_2) | instskip(NEXT) | instid1(VALU_DEP_2)
	v_pk_fma_f16 v4, v69, v5, v4
	v_pk_fma_f16 v71, v66, v54, v71
	s_delay_alu instid0(VALU_DEP_2) | instskip(NEXT) | instid1(VALU_DEP_2)
	v_pk_fma_f16 v4, v7, v54, v4
	v_pk_fma_f16 v71, v67, v55, v71
	s_delay_alu instid0(VALU_DEP_2) | instskip(NEXT) | instid1(VALU_DEP_2)
	v_pk_fma_f16 v4, v70, v55, v4
	v_cvt_f32_f16_e32 v72, v71
	s_delay_alu instid0(VALU_DEP_2) | instskip(SKIP_2) | instid1(VALU_DEP_2)
	v_cvt_f32_f16_e32 v5, v4
	v_lshrrev_b32_e32 v4, 16, v4
	v_lshrrev_b32_e32 v71, 16, v71
	v_cvt_f32_f16_e32 v4, v4
	s_delay_alu instid0(VALU_DEP_2) | instskip(NEXT) | instid1(VALU_DEP_1)
	v_cvt_f32_f16_e32 v71, v71
	v_dual_add_f32 v4, v5, v4 :: v_dual_add_f32 v71, v72, v71
	s_delay_alu instid0(VALU_DEP_1) | instskip(SKIP_4) | instid1(VALU_DEP_1)
	v_fmac_f32_e32 v28, v4, v45
	ds_load_2addr_b32 v[4:5], v6 offset0:192 offset1:193
	v_fmac_f32_e32 v29, v71, v43
	s_waitcnt lgkmcnt(0)
	v_pk_fma_f16 v54, v57, v4, 0
	v_pk_fma_f16 v71, v58, v5, v54
	ds_load_2addr_b32 v[54:55], v6 offset0:194 offset1:195
	s_waitcnt lgkmcnt(0)
	v_pk_fma_f16 v71, v56, v54, v71
	s_delay_alu instid0(VALU_DEP_1) | instskip(NEXT) | instid1(VALU_DEP_1)
	v_pk_fma_f16 v71, v59, v55, v71
	v_cvt_f32_f16_e32 v72, v71
	v_lshrrev_b32_e32 v71, 16, v71
	s_delay_alu instid0(VALU_DEP_1) | instskip(NEXT) | instid1(VALU_DEP_1)
	v_cvt_f32_f16_e32 v71, v71
	v_add_f32_e32 v71, v72, v71
	s_delay_alu instid0(VALU_DEP_1) | instskip(SKIP_1) | instid1(VALU_DEP_1)
	v_fmac_f32_e32 v27, v71, v42
	v_pk_fma_f16 v71, v60, v4, 0
	v_pk_fma_f16 v71, v61, v5, v71
	s_delay_alu instid0(VALU_DEP_1) | instskip(NEXT) | instid1(VALU_DEP_1)
	v_pk_fma_f16 v71, v62, v54, v71
	v_pk_fma_f16 v71, v63, v55, v71
	s_delay_alu instid0(VALU_DEP_1) | instskip(SKIP_1) | instid1(VALU_DEP_1)
	v_cvt_f32_f16_e32 v72, v71
	v_lshrrev_b32_e32 v71, 16, v71
	v_cvt_f32_f16_e32 v71, v71
	s_delay_alu instid0(VALU_DEP_1) | instskip(NEXT) | instid1(VALU_DEP_1)
	v_add_f32_e32 v71, v72, v71
	v_fmac_f32_e32 v26, v71, v44
	v_pk_fma_f16 v71, v64, v4, 0
	v_pk_fma_f16 v4, v68, v4, 0
	s_delay_alu instid0(VALU_DEP_2) | instskip(NEXT) | instid1(VALU_DEP_2)
	v_pk_fma_f16 v71, v65, v5, v71
	v_pk_fma_f16 v4, v69, v5, v4
	s_delay_alu instid0(VALU_DEP_2) | instskip(NEXT) | instid1(VALU_DEP_2)
	v_pk_fma_f16 v71, v66, v54, v71
	v_pk_fma_f16 v4, v7, v54, v4
	s_delay_alu instid0(VALU_DEP_2) | instskip(NEXT) | instid1(VALU_DEP_2)
	v_pk_fma_f16 v71, v67, v55, v71
	v_pk_fma_f16 v4, v70, v55, v4
	s_delay_alu instid0(VALU_DEP_2) | instskip(NEXT) | instid1(VALU_DEP_2)
	v_cvt_f32_f16_e32 v72, v71
	v_cvt_f32_f16_e32 v5, v4
	v_lshrrev_b32_e32 v4, 16, v4
	v_lshrrev_b32_e32 v71, 16, v71
	s_delay_alu instid0(VALU_DEP_2) | instskip(NEXT) | instid1(VALU_DEP_2)
	v_cvt_f32_f16_e32 v4, v4
	v_cvt_f32_f16_e32 v71, v71
	s_delay_alu instid0(VALU_DEP_1) | instskip(NEXT) | instid1(VALU_DEP_1)
	v_dual_add_f32 v4, v5, v4 :: v_dual_add_f32 v71, v72, v71
	v_fmac_f32_e32 v24, v4, v45
	v_mov_b32_e32 v4, s19
	s_add_i32 s19, s13, 0x408
	s_delay_alu instid0(VALU_DEP_3) | instskip(SKIP_3) | instid1(VALU_DEP_1)
	v_fmac_f32_e32 v25, v71, v43
	ds_load_2addr_b32 v[4:5], v4 offset1:1
	s_waitcnt lgkmcnt(0)
	v_pk_fma_f16 v54, v57, v4, 0
	v_pk_fma_f16 v71, v58, v5, v54
	v_mov_b32_e32 v54, s19
	s_add_i32 s19, s13, 0x500
	ds_load_2addr_b32 v[54:55], v54 offset1:1
	s_waitcnt lgkmcnt(0)
	v_pk_fma_f16 v71, v56, v54, v71
	s_delay_alu instid0(VALU_DEP_1) | instskip(NEXT) | instid1(VALU_DEP_1)
	v_pk_fma_f16 v71, v59, v55, v71
	v_cvt_f32_f16_e32 v72, v71
	v_lshrrev_b32_e32 v71, 16, v71
	s_delay_alu instid0(VALU_DEP_1) | instskip(NEXT) | instid1(VALU_DEP_1)
	v_cvt_f32_f16_e32 v71, v71
	v_add_f32_e32 v71, v72, v71
	s_delay_alu instid0(VALU_DEP_1) | instskip(SKIP_1) | instid1(VALU_DEP_1)
	v_fmac_f32_e32 v23, v71, v42
	v_pk_fma_f16 v71, v60, v4, 0
	v_pk_fma_f16 v71, v61, v5, v71
	s_delay_alu instid0(VALU_DEP_1) | instskip(NEXT) | instid1(VALU_DEP_1)
	v_pk_fma_f16 v71, v62, v54, v71
	v_pk_fma_f16 v71, v63, v55, v71
	s_delay_alu instid0(VALU_DEP_1) | instskip(SKIP_1) | instid1(VALU_DEP_1)
	v_cvt_f32_f16_e32 v72, v71
	v_lshrrev_b32_e32 v71, 16, v71
	v_cvt_f32_f16_e32 v71, v71
	s_delay_alu instid0(VALU_DEP_1) | instskip(NEXT) | instid1(VALU_DEP_1)
	v_add_f32_e32 v71, v72, v71
	v_fmac_f32_e32 v22, v71, v44
	v_pk_fma_f16 v71, v64, v4, 0
	v_pk_fma_f16 v4, v68, v4, 0
	s_delay_alu instid0(VALU_DEP_2) | instskip(NEXT) | instid1(VALU_DEP_2)
	v_pk_fma_f16 v71, v65, v5, v71
	v_pk_fma_f16 v4, v69, v5, v4
	s_delay_alu instid0(VALU_DEP_2) | instskip(NEXT) | instid1(VALU_DEP_2)
	v_pk_fma_f16 v71, v66, v54, v71
	v_pk_fma_f16 v4, v7, v54, v4
	s_delay_alu instid0(VALU_DEP_2) | instskip(NEXT) | instid1(VALU_DEP_2)
	v_pk_fma_f16 v71, v67, v55, v71
	v_pk_fma_f16 v4, v70, v55, v4
	s_delay_alu instid0(VALU_DEP_2) | instskip(NEXT) | instid1(VALU_DEP_2)
	v_cvt_f32_f16_e32 v72, v71
	v_cvt_f32_f16_e32 v5, v4
	v_lshrrev_b32_e32 v4, 16, v4
	v_lshrrev_b32_e32 v71, 16, v71
	s_delay_alu instid0(VALU_DEP_2) | instskip(NEXT) | instid1(VALU_DEP_2)
	v_cvt_f32_f16_e32 v4, v4
	v_cvt_f32_f16_e32 v71, v71
	s_delay_alu instid0(VALU_DEP_1) | instskip(NEXT) | instid1(VALU_DEP_1)
	v_dual_add_f32 v4, v5, v4 :: v_dual_add_f32 v71, v72, v71
	v_fmac_f32_e32 v20, v4, v45
	v_mov_b32_e32 v4, s19
	s_add_i32 s19, s13, 0x508
	s_delay_alu instid0(VALU_DEP_3) | instskip(SKIP_3) | instid1(VALU_DEP_1)
	v_fmac_f32_e32 v21, v71, v43
	ds_load_2addr_b32 v[4:5], v4 offset1:1
	s_waitcnt lgkmcnt(0)
	v_pk_fma_f16 v54, v57, v4, 0
	v_pk_fma_f16 v71, v58, v5, v54
	v_mov_b32_e32 v54, s19
	s_add_i32 s19, s13, 0x600
	ds_load_2addr_b32 v[54:55], v54 offset1:1
	;; [unrolled: 56-line block ×3, first 2 shown]
	s_waitcnt lgkmcnt(0)
	v_pk_fma_f16 v71, v56, v54, v71
	s_delay_alu instid0(VALU_DEP_1) | instskip(NEXT) | instid1(VALU_DEP_1)
	v_pk_fma_f16 v71, v59, v55, v71
	v_cvt_f32_f16_e32 v72, v71
	v_lshrrev_b32_e32 v71, 16, v71
	s_delay_alu instid0(VALU_DEP_1) | instskip(NEXT) | instid1(VALU_DEP_1)
	v_cvt_f32_f16_e32 v71, v71
	v_add_f32_e32 v71, v72, v71
	s_delay_alu instid0(VALU_DEP_1) | instskip(SKIP_1) | instid1(VALU_DEP_1)
	v_fmac_f32_e32 v15, v71, v42
	v_pk_fma_f16 v71, v60, v4, 0
	v_pk_fma_f16 v71, v61, v5, v71
	s_delay_alu instid0(VALU_DEP_1) | instskip(NEXT) | instid1(VALU_DEP_1)
	v_pk_fma_f16 v71, v62, v54, v71
	v_pk_fma_f16 v71, v63, v55, v71
	s_delay_alu instid0(VALU_DEP_1) | instskip(SKIP_1) | instid1(VALU_DEP_1)
	v_cvt_f32_f16_e32 v72, v71
	v_lshrrev_b32_e32 v71, 16, v71
	v_cvt_f32_f16_e32 v71, v71
	s_delay_alu instid0(VALU_DEP_1) | instskip(NEXT) | instid1(VALU_DEP_1)
	v_add_f32_e32 v71, v72, v71
	v_fmac_f32_e32 v14, v71, v44
	v_pk_fma_f16 v71, v64, v4, 0
	v_pk_fma_f16 v4, v68, v4, 0
	s_delay_alu instid0(VALU_DEP_2) | instskip(NEXT) | instid1(VALU_DEP_2)
	v_pk_fma_f16 v71, v65, v5, v71
	v_pk_fma_f16 v4, v69, v5, v4
	s_delay_alu instid0(VALU_DEP_2) | instskip(NEXT) | instid1(VALU_DEP_2)
	;; [unrolled: 3-line block ×4, first 2 shown]
	v_cvt_f32_f16_e32 v72, v71
	v_cvt_f32_f16_e32 v5, v4
	v_lshrrev_b32_e32 v4, 16, v4
	v_lshrrev_b32_e32 v71, 16, v71
	s_delay_alu instid0(VALU_DEP_2) | instskip(NEXT) | instid1(VALU_DEP_2)
	v_cvt_f32_f16_e32 v4, v4
	v_cvt_f32_f16_e32 v71, v71
	s_delay_alu instid0(VALU_DEP_1) | instskip(NEXT) | instid1(VALU_DEP_1)
	v_dual_add_f32 v4, v5, v4 :: v_dual_add_f32 v71, v72, v71
	v_fmac_f32_e32 v12, v4, v45
	v_mov_b32_e32 v4, s19
	s_add_i32 s19, s13, 0x708
	ds_load_2addr_b32 v[4:5], v4 offset1:1
	s_waitcnt lgkmcnt(0)
	v_pk_fma_f16 v54, v57, v4, 0
	s_delay_alu instid0(VALU_DEP_1)
	v_pk_fma_f16 v57, v58, v5, v54
	v_mov_b32_e32 v54, s19
	s_add_i32 s19, s13, 0x410
	ds_load_2addr_b32 v[54:55], v54 offset1:1
	s_waitcnt lgkmcnt(0)
	v_pk_fma_f16 v56, v56, v54, v57
	s_delay_alu instid0(VALU_DEP_1) | instskip(NEXT) | instid1(VALU_DEP_1)
	v_pk_fma_f16 v56, v59, v55, v56
	v_cvt_f32_f16_e32 v57, v56
	v_lshrrev_b32_e32 v56, 16, v56
	s_delay_alu instid0(VALU_DEP_1) | instskip(NEXT) | instid1(VALU_DEP_1)
	v_cvt_f32_f16_e32 v56, v56
	v_dual_add_f32 v56, v57, v56 :: v_dual_fmac_f32 v13, v71, v43
	s_delay_alu instid0(VALU_DEP_1) | instskip(SKIP_1) | instid1(VALU_DEP_1)
	v_fmac_f32_e32 v10, v56, v42
	v_pk_fma_f16 v56, v60, v4, 0
	v_pk_fma_f16 v56, v61, v5, v56
	s_delay_alu instid0(VALU_DEP_1) | instskip(NEXT) | instid1(VALU_DEP_1)
	v_pk_fma_f16 v56, v62, v54, v56
	v_pk_fma_f16 v56, v63, v55, v56
	s_delay_alu instid0(VALU_DEP_1) | instskip(SKIP_1) | instid1(VALU_DEP_1)
	v_cvt_f32_f16_e32 v57, v56
	v_lshrrev_b32_e32 v56, 16, v56
	v_cvt_f32_f16_e32 v56, v56
	s_delay_alu instid0(VALU_DEP_1) | instskip(NEXT) | instid1(VALU_DEP_1)
	v_add_f32_e32 v56, v57, v56
	v_fmac_f32_e32 v9, v56, v44
	v_pk_fma_f16 v56, v64, v4, 0
	v_pk_fma_f16 v4, v68, v4, 0
	s_delay_alu instid0(VALU_DEP_2) | instskip(NEXT) | instid1(VALU_DEP_2)
	v_pk_fma_f16 v56, v65, v5, v56
	v_pk_fma_f16 v4, v69, v5, v4
	s_delay_alu instid0(VALU_DEP_2) | instskip(NEXT) | instid1(VALU_DEP_2)
	;; [unrolled: 3-line block ×4, first 2 shown]
	v_cvt_f32_f16_e32 v57, v56
	v_cvt_f32_f16_e32 v5, v4
	v_lshrrev_b32_e32 v4, 16, v4
	v_lshrrev_b32_e32 v56, 16, v56
	s_delay_alu instid0(VALU_DEP_2) | instskip(NEXT) | instid1(VALU_DEP_2)
	v_cvt_f32_f16_e32 v4, v4
	v_cvt_f32_f16_e32 v56, v56
	s_delay_alu instid0(VALU_DEP_2) | instskip(NEXT) | instid1(VALU_DEP_1)
	v_add_f32_e32 v4, v5, v4
	v_dual_add_f32 v56, v57, v56 :: v_dual_fmac_f32 v11, v4, v45
	v_add_co_u32 v4, vcc_lo, v2, s2
	v_add_co_ci_u32_e32 v5, vcc_lo, s3, v3, vcc_lo
	s_delay_alu instid0(VALU_DEP_3)
	v_fmac_f32_e32 v8, v56, v43
	global_load_b128 v[60:63], v[4:5], off
	v_add_co_u32 v4, vcc_lo, v4, s2
	v_add_co_ci_u32_e32 v5, vcc_lo, s3, v5, vcc_lo
	s_waitcnt vmcnt(0)
	v_lshrrev_b32_e32 v55, 8, v60
	v_and_or_b32 v7, v60, s5, 0x64006400
	v_and_or_b32 v54, v60, s17, 0x64006400
	v_lshrrev_b32_e32 v57, 8, v61
	v_and_or_b32 v60, v62, s17, 0x64006400
	v_and_or_b32 v56, v55, s5, 0x64006400
	;; [unrolled: 1-line block ×3, first 2 shown]
	v_pk_add_f16 v68, v46, v7
	v_pk_fma_f16 v67, 0x2c00, v54, v50 op_sel_hi:[0,1,1]
	v_and_or_b32 v58, v57, s5, 0x64006400
	v_pk_add_f16 v7, v46, v56
	v_pk_fma_f16 v54, 0x2c00, v55, v50 op_sel_hi:[0,1,1]
	v_and_or_b32 v55, v61, s5, 0x64006400
	v_and_or_b32 v56, v61, s17, 0x64006400
	;; [unrolled: 1-line block ×3, first 2 shown]
	v_lshrrev_b32_e32 v61, 8, v62
	v_pk_add_f16 v57, v49, v58
	v_and_or_b32 v65, v63, s17, 0x64006400
	v_pk_add_f16 v55, v49, v55
	v_pk_fma_f16 v58, 0x2c00, v59, v53 op_sel_hi:[0,1,1]
	v_and_or_b32 v59, v62, s5, 0x64006400
	v_and_or_b32 v62, v61, s5, 0x64006400
	;; [unrolled: 1-line block ×3, first 2 shown]
	v_pk_fma_f16 v56, 0x2c00, v56, v53 op_sel_hi:[0,1,1]
	v_pk_fma_f16 v60, 0x2c00, v60, v52 op_sel_hi:[0,1,1]
	v_pk_add_f16 v59, v47, v59
	v_pk_add_f16 v61, v47, v62
	v_pk_fma_f16 v62, 0x2c00, v64, v52 op_sel_hi:[0,1,1]
	v_and_or_b32 v64, v63, s5, 0x64006400
	v_lshrrev_b32_e32 v63, 8, v63
	s_delay_alu instid0(VALU_DEP_1) | instskip(SKIP_1) | instid1(VALU_DEP_4)
	v_and_or_b32 v66, v63, s5, 0x64006400
	v_and_or_b32 v69, v63, s17, 0x64006400
	v_pk_add_f16 v63, v48, v64
	v_pk_fma_f16 v64, 0x2c00, v65, v51 op_sel_hi:[0,1,1]
	s_delay_alu instid0(VALU_DEP_4) | instskip(NEXT) | instid1(VALU_DEP_4)
	v_pk_add_f16 v65, v48, v66
	v_pk_fma_f16 v66, 0x2c00, v69, v51 op_sel_hi:[0,1,1]
	ds_load_2addr_b32 v[69:70], v6 offset0:4 offset1:5
	s_waitcnt lgkmcnt(0)
	v_pk_fma_f16 v71, v68, v69, 0
	s_delay_alu instid0(VALU_DEP_1) | instskip(SKIP_3) | instid1(VALU_DEP_1)
	v_pk_fma_f16 v73, v67, v70, v71
	ds_load_2addr_b32 v[71:72], v6 offset0:6 offset1:7
	s_waitcnt lgkmcnt(0)
	v_pk_fma_f16 v73, v7, v71, v73
	v_pk_fma_f16 v73, v54, v72, v73
	s_delay_alu instid0(VALU_DEP_1) | instskip(SKIP_1) | instid1(VALU_DEP_1)
	v_cvt_f32_f16_e32 v74, v73
	v_lshrrev_b32_e32 v73, 16, v73
	v_cvt_f32_f16_e32 v73, v73
	s_delay_alu instid0(VALU_DEP_1) | instskip(NEXT) | instid1(VALU_DEP_1)
	v_add_f32_e32 v73, v74, v73
	v_fmac_f32_e32 v38, v73, v42
	v_pk_fma_f16 v73, v55, v69, 0
	s_delay_alu instid0(VALU_DEP_1) | instskip(NEXT) | instid1(VALU_DEP_1)
	v_pk_fma_f16 v73, v56, v70, v73
	v_pk_fma_f16 v73, v57, v71, v73
	s_delay_alu instid0(VALU_DEP_1) | instskip(NEXT) | instid1(VALU_DEP_1)
	v_pk_fma_f16 v73, v58, v72, v73
	v_cvt_f32_f16_e32 v74, v73
	v_lshrrev_b32_e32 v73, 16, v73
	s_delay_alu instid0(VALU_DEP_1) | instskip(NEXT) | instid1(VALU_DEP_1)
	v_cvt_f32_f16_e32 v73, v73
	v_add_f32_e32 v73, v74, v73
	s_delay_alu instid0(VALU_DEP_1) | instskip(SKIP_2) | instid1(VALU_DEP_2)
	v_fmac_f32_e32 v39, v73, v44
	v_pk_fma_f16 v73, v59, v69, 0
	v_pk_fma_f16 v69, v63, v69, 0
	v_pk_fma_f16 v73, v60, v70, v73
	s_delay_alu instid0(VALU_DEP_2) | instskip(NEXT) | instid1(VALU_DEP_2)
	v_pk_fma_f16 v69, v64, v70, v69
	v_pk_fma_f16 v73, v61, v71, v73
	s_delay_alu instid0(VALU_DEP_2) | instskip(NEXT) | instid1(VALU_DEP_2)
	v_pk_fma_f16 v69, v65, v71, v69
	v_pk_fma_f16 v73, v62, v72, v73
	s_delay_alu instid0(VALU_DEP_2) | instskip(NEXT) | instid1(VALU_DEP_2)
	v_pk_fma_f16 v69, v66, v72, v69
	v_cvt_f32_f16_e32 v74, v73
	s_delay_alu instid0(VALU_DEP_2) | instskip(SKIP_2) | instid1(VALU_DEP_2)
	v_cvt_f32_f16_e32 v70, v69
	v_lshrrev_b32_e32 v69, 16, v69
	v_lshrrev_b32_e32 v73, 16, v73
	v_cvt_f32_f16_e32 v69, v69
	s_delay_alu instid0(VALU_DEP_2) | instskip(NEXT) | instid1(VALU_DEP_2)
	v_cvt_f32_f16_e32 v73, v73
	v_add_f32_e32 v69, v70, v69
	s_delay_alu instid0(VALU_DEP_2) | instskip(NEXT) | instid1(VALU_DEP_2)
	v_add_f32_e32 v73, v74, v73
	v_fmac_f32_e32 v36, v69, v45
	ds_load_2addr_b32 v[69:70], v6 offset0:68 offset1:69
	v_fmac_f32_e32 v37, v73, v43
	s_waitcnt lgkmcnt(0)
	v_pk_fma_f16 v71, v68, v69, 0
	s_delay_alu instid0(VALU_DEP_1) | instskip(SKIP_3) | instid1(VALU_DEP_1)
	v_pk_fma_f16 v73, v67, v70, v71
	ds_load_2addr_b32 v[71:72], v6 offset0:70 offset1:71
	s_waitcnt lgkmcnt(0)
	v_pk_fma_f16 v73, v7, v71, v73
	v_pk_fma_f16 v73, v54, v72, v73
	s_delay_alu instid0(VALU_DEP_1) | instskip(SKIP_1) | instid1(VALU_DEP_1)
	v_cvt_f32_f16_e32 v74, v73
	v_lshrrev_b32_e32 v73, 16, v73
	v_cvt_f32_f16_e32 v73, v73
	s_delay_alu instid0(VALU_DEP_1) | instskip(NEXT) | instid1(VALU_DEP_1)
	v_add_f32_e32 v73, v74, v73
	v_fmac_f32_e32 v35, v73, v42
	v_pk_fma_f16 v73, v55, v69, 0
	s_delay_alu instid0(VALU_DEP_1) | instskip(NEXT) | instid1(VALU_DEP_1)
	v_pk_fma_f16 v73, v56, v70, v73
	v_pk_fma_f16 v73, v57, v71, v73
	s_delay_alu instid0(VALU_DEP_1) | instskip(NEXT) | instid1(VALU_DEP_1)
	v_pk_fma_f16 v73, v58, v72, v73
	v_cvt_f32_f16_e32 v74, v73
	v_lshrrev_b32_e32 v73, 16, v73
	s_delay_alu instid0(VALU_DEP_1) | instskip(NEXT) | instid1(VALU_DEP_1)
	v_cvt_f32_f16_e32 v73, v73
	v_add_f32_e32 v73, v74, v73
	s_delay_alu instid0(VALU_DEP_1) | instskip(SKIP_2) | instid1(VALU_DEP_2)
	v_fmac_f32_e32 v34, v73, v44
	v_pk_fma_f16 v73, v59, v69, 0
	v_pk_fma_f16 v69, v63, v69, 0
	v_pk_fma_f16 v73, v60, v70, v73
	s_delay_alu instid0(VALU_DEP_2) | instskip(NEXT) | instid1(VALU_DEP_2)
	v_pk_fma_f16 v69, v64, v70, v69
	v_pk_fma_f16 v73, v61, v71, v73
	s_delay_alu instid0(VALU_DEP_2) | instskip(NEXT) | instid1(VALU_DEP_2)
	v_pk_fma_f16 v69, v65, v71, v69
	v_pk_fma_f16 v73, v62, v72, v73
	s_delay_alu instid0(VALU_DEP_2) | instskip(NEXT) | instid1(VALU_DEP_2)
	v_pk_fma_f16 v69, v66, v72, v69
	v_cvt_f32_f16_e32 v74, v73
	s_delay_alu instid0(VALU_DEP_2) | instskip(SKIP_2) | instid1(VALU_DEP_2)
	v_cvt_f32_f16_e32 v70, v69
	v_lshrrev_b32_e32 v69, 16, v69
	v_lshrrev_b32_e32 v73, 16, v73
	v_cvt_f32_f16_e32 v69, v69
	s_delay_alu instid0(VALU_DEP_2) | instskip(NEXT) | instid1(VALU_DEP_2)
	v_cvt_f32_f16_e32 v73, v73
	v_add_f32_e32 v69, v70, v69
	s_delay_alu instid0(VALU_DEP_2) | instskip(NEXT) | instid1(VALU_DEP_2)
	v_add_f32_e32 v73, v74, v73
	v_fmac_f32_e32 v32, v69, v45
	ds_load_2addr_b32 v[69:70], v6 offset0:132 offset1:133
	v_fmac_f32_e32 v33, v73, v43
	;; [unrolled: 53-line block ×3, first 2 shown]
	s_waitcnt lgkmcnt(0)
	v_pk_fma_f16 v71, v68, v69, 0
	s_delay_alu instid0(VALU_DEP_1) | instskip(SKIP_3) | instid1(VALU_DEP_1)
	v_pk_fma_f16 v73, v67, v70, v71
	ds_load_2addr_b32 v[71:72], v6 offset0:198 offset1:199
	s_waitcnt lgkmcnt(0)
	v_pk_fma_f16 v73, v7, v71, v73
	v_pk_fma_f16 v73, v54, v72, v73
	s_delay_alu instid0(VALU_DEP_1) | instskip(SKIP_1) | instid1(VALU_DEP_1)
	v_cvt_f32_f16_e32 v74, v73
	v_lshrrev_b32_e32 v73, 16, v73
	v_cvt_f32_f16_e32 v73, v73
	s_delay_alu instid0(VALU_DEP_1) | instskip(NEXT) | instid1(VALU_DEP_1)
	v_add_f32_e32 v73, v74, v73
	v_fmac_f32_e32 v27, v73, v42
	v_pk_fma_f16 v73, v55, v69, 0
	s_delay_alu instid0(VALU_DEP_1) | instskip(NEXT) | instid1(VALU_DEP_1)
	v_pk_fma_f16 v73, v56, v70, v73
	v_pk_fma_f16 v73, v57, v71, v73
	s_delay_alu instid0(VALU_DEP_1) | instskip(NEXT) | instid1(VALU_DEP_1)
	v_pk_fma_f16 v73, v58, v72, v73
	v_cvt_f32_f16_e32 v74, v73
	v_lshrrev_b32_e32 v73, 16, v73
	s_delay_alu instid0(VALU_DEP_1) | instskip(NEXT) | instid1(VALU_DEP_1)
	v_cvt_f32_f16_e32 v73, v73
	v_add_f32_e32 v73, v74, v73
	s_delay_alu instid0(VALU_DEP_1) | instskip(SKIP_2) | instid1(VALU_DEP_2)
	v_fmac_f32_e32 v26, v73, v44
	v_pk_fma_f16 v73, v59, v69, 0
	v_pk_fma_f16 v69, v63, v69, 0
	;; [unrolled: 1-line block ×3, first 2 shown]
	s_delay_alu instid0(VALU_DEP_2) | instskip(NEXT) | instid1(VALU_DEP_2)
	v_pk_fma_f16 v69, v64, v70, v69
	v_pk_fma_f16 v73, v61, v71, v73
	s_delay_alu instid0(VALU_DEP_2) | instskip(NEXT) | instid1(VALU_DEP_2)
	v_pk_fma_f16 v69, v65, v71, v69
	v_pk_fma_f16 v73, v62, v72, v73
	s_delay_alu instid0(VALU_DEP_2) | instskip(NEXT) | instid1(VALU_DEP_2)
	v_pk_fma_f16 v69, v66, v72, v69
	v_cvt_f32_f16_e32 v74, v73
	s_delay_alu instid0(VALU_DEP_2) | instskip(SKIP_2) | instid1(VALU_DEP_2)
	v_cvt_f32_f16_e32 v70, v69
	v_lshrrev_b32_e32 v69, 16, v69
	v_lshrrev_b32_e32 v73, 16, v73
	v_cvt_f32_f16_e32 v69, v69
	s_delay_alu instid0(VALU_DEP_2) | instskip(NEXT) | instid1(VALU_DEP_2)
	v_cvt_f32_f16_e32 v73, v73
	v_add_f32_e32 v69, v70, v69
	s_delay_alu instid0(VALU_DEP_2) | instskip(NEXT) | instid1(VALU_DEP_2)
	v_add_f32_e32 v73, v74, v73
	v_dual_fmac_f32 v24, v69, v45 :: v_dual_mov_b32 v69, s19
	s_add_i32 s19, s13, 0x418
	s_delay_alu instid0(VALU_DEP_2) | instskip(SKIP_3) | instid1(VALU_DEP_1)
	v_fmac_f32_e32 v25, v73, v43
	ds_load_2addr_b32 v[69:70], v69 offset1:1
	s_waitcnt lgkmcnt(0)
	v_pk_fma_f16 v71, v68, v69, 0
	v_pk_fma_f16 v73, v67, v70, v71
	v_mov_b32_e32 v71, s19
	s_add_i32 s19, s13, 0x510
	ds_load_2addr_b32 v[71:72], v71 offset1:1
	s_waitcnt lgkmcnt(0)
	v_pk_fma_f16 v73, v7, v71, v73
	s_delay_alu instid0(VALU_DEP_1) | instskip(NEXT) | instid1(VALU_DEP_1)
	v_pk_fma_f16 v73, v54, v72, v73
	v_cvt_f32_f16_e32 v74, v73
	v_lshrrev_b32_e32 v73, 16, v73
	s_delay_alu instid0(VALU_DEP_1) | instskip(NEXT) | instid1(VALU_DEP_1)
	v_cvt_f32_f16_e32 v73, v73
	v_add_f32_e32 v73, v74, v73
	s_delay_alu instid0(VALU_DEP_1) | instskip(SKIP_1) | instid1(VALU_DEP_1)
	v_fmac_f32_e32 v23, v73, v42
	v_pk_fma_f16 v73, v55, v69, 0
	v_pk_fma_f16 v73, v56, v70, v73
	s_delay_alu instid0(VALU_DEP_1) | instskip(NEXT) | instid1(VALU_DEP_1)
	v_pk_fma_f16 v73, v57, v71, v73
	v_pk_fma_f16 v73, v58, v72, v73
	s_delay_alu instid0(VALU_DEP_1) | instskip(SKIP_1) | instid1(VALU_DEP_1)
	v_cvt_f32_f16_e32 v74, v73
	v_lshrrev_b32_e32 v73, 16, v73
	v_cvt_f32_f16_e32 v73, v73
	s_delay_alu instid0(VALU_DEP_1) | instskip(NEXT) | instid1(VALU_DEP_1)
	v_add_f32_e32 v73, v74, v73
	v_fmac_f32_e32 v22, v73, v44
	v_pk_fma_f16 v73, v59, v69, 0
	v_pk_fma_f16 v69, v63, v69, 0
	s_delay_alu instid0(VALU_DEP_2) | instskip(NEXT) | instid1(VALU_DEP_2)
	v_pk_fma_f16 v73, v60, v70, v73
	v_pk_fma_f16 v69, v64, v70, v69
	s_delay_alu instid0(VALU_DEP_2) | instskip(NEXT) | instid1(VALU_DEP_2)
	v_pk_fma_f16 v73, v61, v71, v73
	v_pk_fma_f16 v69, v65, v71, v69
	s_delay_alu instid0(VALU_DEP_2) | instskip(NEXT) | instid1(VALU_DEP_2)
	v_pk_fma_f16 v73, v62, v72, v73
	v_pk_fma_f16 v69, v66, v72, v69
	s_delay_alu instid0(VALU_DEP_2) | instskip(NEXT) | instid1(VALU_DEP_2)
	v_cvt_f32_f16_e32 v74, v73
	v_cvt_f32_f16_e32 v70, v69
	v_lshrrev_b32_e32 v69, 16, v69
	v_lshrrev_b32_e32 v73, 16, v73
	s_delay_alu instid0(VALU_DEP_2) | instskip(NEXT) | instid1(VALU_DEP_2)
	v_cvt_f32_f16_e32 v69, v69
	v_cvt_f32_f16_e32 v73, v73
	s_delay_alu instid0(VALU_DEP_2) | instskip(NEXT) | instid1(VALU_DEP_2)
	v_add_f32_e32 v69, v70, v69
	v_add_f32_e32 v73, v74, v73
	s_delay_alu instid0(VALU_DEP_2) | instskip(SKIP_1) | instid1(VALU_DEP_2)
	v_dual_fmac_f32 v20, v69, v45 :: v_dual_mov_b32 v69, s19
	s_add_i32 s19, s13, 0x518
	v_fmac_f32_e32 v21, v73, v43
	ds_load_2addr_b32 v[69:70], v69 offset1:1
	s_waitcnt lgkmcnt(0)
	v_pk_fma_f16 v71, v68, v69, 0
	s_delay_alu instid0(VALU_DEP_1)
	v_pk_fma_f16 v73, v67, v70, v71
	v_mov_b32_e32 v71, s19
	s_add_i32 s19, s13, 0x610
	ds_load_2addr_b32 v[71:72], v71 offset1:1
	s_waitcnt lgkmcnt(0)
	v_pk_fma_f16 v73, v7, v71, v73
	s_delay_alu instid0(VALU_DEP_1) | instskip(NEXT) | instid1(VALU_DEP_1)
	v_pk_fma_f16 v73, v54, v72, v73
	v_cvt_f32_f16_e32 v74, v73
	v_lshrrev_b32_e32 v73, 16, v73
	s_delay_alu instid0(VALU_DEP_1) | instskip(NEXT) | instid1(VALU_DEP_1)
	v_cvt_f32_f16_e32 v73, v73
	v_add_f32_e32 v73, v74, v73
	s_delay_alu instid0(VALU_DEP_1) | instskip(SKIP_1) | instid1(VALU_DEP_1)
	v_fmac_f32_e32 v19, v73, v42
	v_pk_fma_f16 v73, v55, v69, 0
	v_pk_fma_f16 v73, v56, v70, v73
	s_delay_alu instid0(VALU_DEP_1) | instskip(NEXT) | instid1(VALU_DEP_1)
	v_pk_fma_f16 v73, v57, v71, v73
	v_pk_fma_f16 v73, v58, v72, v73
	s_delay_alu instid0(VALU_DEP_1) | instskip(SKIP_1) | instid1(VALU_DEP_1)
	v_cvt_f32_f16_e32 v74, v73
	v_lshrrev_b32_e32 v73, 16, v73
	v_cvt_f32_f16_e32 v73, v73
	s_delay_alu instid0(VALU_DEP_1) | instskip(NEXT) | instid1(VALU_DEP_1)
	v_add_f32_e32 v73, v74, v73
	v_fmac_f32_e32 v18, v73, v44
	v_pk_fma_f16 v73, v59, v69, 0
	v_pk_fma_f16 v69, v63, v69, 0
	s_delay_alu instid0(VALU_DEP_2) | instskip(NEXT) | instid1(VALU_DEP_2)
	v_pk_fma_f16 v73, v60, v70, v73
	v_pk_fma_f16 v69, v64, v70, v69
	s_delay_alu instid0(VALU_DEP_2) | instskip(NEXT) | instid1(VALU_DEP_2)
	v_pk_fma_f16 v73, v61, v71, v73
	v_pk_fma_f16 v69, v65, v71, v69
	s_delay_alu instid0(VALU_DEP_2) | instskip(NEXT) | instid1(VALU_DEP_2)
	v_pk_fma_f16 v73, v62, v72, v73
	v_pk_fma_f16 v69, v66, v72, v69
	s_delay_alu instid0(VALU_DEP_2) | instskip(NEXT) | instid1(VALU_DEP_2)
	v_cvt_f32_f16_e32 v74, v73
	v_cvt_f32_f16_e32 v70, v69
	v_lshrrev_b32_e32 v69, 16, v69
	v_lshrrev_b32_e32 v73, 16, v73
	s_delay_alu instid0(VALU_DEP_2) | instskip(NEXT) | instid1(VALU_DEP_2)
	v_cvt_f32_f16_e32 v69, v69
	v_cvt_f32_f16_e32 v73, v73
	s_delay_alu instid0(VALU_DEP_2) | instskip(NEXT) | instid1(VALU_DEP_2)
	v_add_f32_e32 v69, v70, v69
	v_add_f32_e32 v73, v74, v73
	s_delay_alu instid0(VALU_DEP_2) | instskip(SKIP_1) | instid1(VALU_DEP_2)
	v_dual_fmac_f32 v16, v69, v45 :: v_dual_mov_b32 v69, s19
	s_add_i32 s19, s13, 0x618
	v_fmac_f32_e32 v17, v73, v43
	ds_load_2addr_b32 v[69:70], v69 offset1:1
	s_waitcnt lgkmcnt(0)
	v_pk_fma_f16 v71, v68, v69, 0
	s_delay_alu instid0(VALU_DEP_1)
	;; [unrolled: 57-line block ×3, first 2 shown]
	v_pk_fma_f16 v71, v67, v70, v68
	v_mov_b32_e32 v67, s19
	s_add_i32 s19, s13, 0x420
	ds_load_2addr_b32 v[67:68], v67 offset1:1
	s_waitcnt lgkmcnt(0)
	v_pk_fma_f16 v7, v7, v67, v71
	s_delay_alu instid0(VALU_DEP_1) | instskip(NEXT) | instid1(VALU_DEP_1)
	v_pk_fma_f16 v7, v54, v68, v7
	v_cvt_f32_f16_e32 v54, v7
	v_lshrrev_b32_e32 v7, 16, v7
	s_delay_alu instid0(VALU_DEP_1) | instskip(NEXT) | instid1(VALU_DEP_1)
	v_cvt_f32_f16_e32 v7, v7
	v_add_f32_e32 v7, v54, v7
	s_delay_alu instid0(VALU_DEP_1) | instskip(SKIP_1) | instid1(VALU_DEP_1)
	v_fmac_f32_e32 v10, v7, v42
	v_pk_fma_f16 v7, v55, v69, 0
	v_pk_fma_f16 v7, v56, v70, v7
	s_delay_alu instid0(VALU_DEP_1) | instskip(NEXT) | instid1(VALU_DEP_1)
	v_pk_fma_f16 v7, v57, v67, v7
	v_pk_fma_f16 v7, v58, v68, v7
	s_delay_alu instid0(VALU_DEP_1) | instskip(SKIP_1) | instid1(VALU_DEP_1)
	v_cvt_f32_f16_e32 v54, v7
	v_lshrrev_b32_e32 v7, 16, v7
	v_cvt_f32_f16_e32 v7, v7
	s_delay_alu instid0(VALU_DEP_1) | instskip(NEXT) | instid1(VALU_DEP_1)
	v_add_f32_e32 v7, v54, v7
	v_fmac_f32_e32 v9, v7, v44
	v_pk_fma_f16 v7, v59, v69, 0
	s_delay_alu instid0(VALU_DEP_1) | instskip(NEXT) | instid1(VALU_DEP_1)
	v_pk_fma_f16 v7, v60, v70, v7
	v_pk_fma_f16 v7, v61, v67, v7
	s_delay_alu instid0(VALU_DEP_1) | instskip(NEXT) | instid1(VALU_DEP_1)
	v_pk_fma_f16 v7, v62, v68, v7
	v_cvt_f32_f16_e32 v54, v7
	v_lshrrev_b32_e32 v7, 16, v7
	s_delay_alu instid0(VALU_DEP_1) | instskip(NEXT) | instid1(VALU_DEP_1)
	v_cvt_f32_f16_e32 v7, v7
	v_add_f32_e32 v7, v54, v7
	s_delay_alu instid0(VALU_DEP_1) | instskip(SKIP_1) | instid1(VALU_DEP_1)
	v_fmac_f32_e32 v8, v7, v43
	v_pk_fma_f16 v7, v63, v69, 0
	v_pk_fma_f16 v7, v64, v70, v7
	s_delay_alu instid0(VALU_DEP_1) | instskip(NEXT) | instid1(VALU_DEP_1)
	v_pk_fma_f16 v7, v65, v67, v7
	v_pk_fma_f16 v7, v66, v68, v7
	s_delay_alu instid0(VALU_DEP_1) | instskip(SKIP_1) | instid1(VALU_DEP_1)
	v_cvt_f32_f16_e32 v54, v7
	v_lshrrev_b32_e32 v7, 16, v7
	v_cvt_f32_f16_e32 v7, v7
	s_delay_alu instid0(VALU_DEP_1)
	v_add_f32_e32 v7, v54, v7
	global_load_b128 v[54:57], v[4:5], off
	v_add_co_u32 v4, vcc_lo, v4, s2
	v_add_co_ci_u32_e32 v5, vcc_lo, s3, v5, vcc_lo
	v_fmac_f32_e32 v11, v7, v45
	v_add_co_u32 v2, vcc_lo, v2, s0
	v_add_co_ci_u32_e32 v3, vcc_lo, s1, v3, vcc_lo
	s_waitcnt vmcnt(0)
	v_and_or_b32 v7, v54, s5, 0x64006400
	v_and_or_b32 v58, v54, s17, 0x64006400
	v_lshrrev_b32_e32 v54, 8, v54
	v_and_or_b32 v61, v55, s17, 0x64006400
	s_delay_alu instid0(VALU_DEP_4) | instskip(NEXT) | instid1(VALU_DEP_4)
	v_pk_add_f16 v7, v46, v7
	v_pk_fma_f16 v58, 0x2c00, v58, v50 op_sel_hi:[0,1,1]
	s_delay_alu instid0(VALU_DEP_4) | instskip(SKIP_2) | instid1(VALU_DEP_3)
	v_and_or_b32 v59, v54, s5, 0x64006400
	v_and_or_b32 v54, v54, s17, 0x64006400
	v_pk_fma_f16 v61, 0x2c00, v61, v53 op_sel_hi:[0,1,1]
	v_pk_add_f16 v59, v46, v59
	s_delay_alu instid0(VALU_DEP_3) | instskip(SKIP_2) | instid1(VALU_DEP_2)
	v_pk_fma_f16 v60, 0x2c00, v54, v50 op_sel_hi:[0,1,1]
	v_and_or_b32 v54, v55, s5, 0x64006400
	v_lshrrev_b32_e32 v55, 8, v55
	v_pk_add_f16 v63, v49, v54
	s_delay_alu instid0(VALU_DEP_2) | instskip(SKIP_2) | instid1(VALU_DEP_3)
	v_and_or_b32 v62, v55, s5, 0x64006400
	v_and_or_b32 v55, v55, s17, 0x64006400
	v_and_or_b32 v54, v56, s5, 0x64006400
	v_pk_add_f16 v62, v49, v62
	s_delay_alu instid0(VALU_DEP_3) | instskip(SKIP_1) | instid1(VALU_DEP_4)
	v_pk_fma_f16 v64, 0x2c00, v55, v53 op_sel_hi:[0,1,1]
	v_and_or_b32 v55, v56, s17, 0x64006400
	v_pk_add_f16 v66, v47, v54
	v_and_or_b32 v54, v57, s5, 0x64006400
	v_lshrrev_b32_e32 v56, 8, v56
	s_delay_alu instid0(VALU_DEP_4) | instskip(SKIP_1) | instid1(VALU_DEP_4)
	v_pk_fma_f16 v67, 0x2c00, v55, v52 op_sel_hi:[0,1,1]
	v_and_or_b32 v55, v57, s17, 0x64006400
	v_pk_add_f16 v69, v48, v54
	s_delay_alu instid0(VALU_DEP_4) | instskip(SKIP_1) | instid1(VALU_DEP_4)
	v_and_or_b32 v65, v56, s5, 0x64006400
	v_and_or_b32 v56, v56, s17, 0x64006400
	v_pk_fma_f16 v70, 0x2c00, v55, v51 op_sel_hi:[0,1,1]
	ds_load_2addr_b32 v[54:55], v6 offset0:8 offset1:9
	v_pk_add_f16 v65, v47, v65
	v_pk_fma_f16 v68, 0x2c00, v56, v52 op_sel_hi:[0,1,1]
	v_lshrrev_b32_e32 v56, 8, v57
	s_delay_alu instid0(VALU_DEP_1) | instskip(SKIP_1) | instid1(VALU_DEP_2)
	v_and_or_b32 v57, v56, s5, 0x64006400
	v_and_or_b32 v56, v56, s17, 0x64006400
	v_pk_add_f16 v71, v48, v57
	s_delay_alu instid0(VALU_DEP_2) | instskip(SKIP_2) | instid1(VALU_DEP_1)
	v_pk_fma_f16 v72, 0x2c00, v56, v51 op_sel_hi:[0,1,1]
	s_waitcnt lgkmcnt(0)
	v_pk_fma_f16 v56, v7, v54, 0
	v_pk_fma_f16 v73, v58, v55, v56
	ds_load_2addr_b32 v[56:57], v6 offset0:10 offset1:11
	s_waitcnt lgkmcnt(0)
	v_pk_fma_f16 v73, v59, v56, v73
	s_delay_alu instid0(VALU_DEP_1) | instskip(NEXT) | instid1(VALU_DEP_1)
	v_pk_fma_f16 v73, v60, v57, v73
	v_cvt_f32_f16_e32 v74, v73
	v_lshrrev_b32_e32 v73, 16, v73
	s_delay_alu instid0(VALU_DEP_1) | instskip(NEXT) | instid1(VALU_DEP_1)
	v_cvt_f32_f16_e32 v73, v73
	v_add_f32_e32 v73, v74, v73
	s_delay_alu instid0(VALU_DEP_1) | instskip(SKIP_1) | instid1(VALU_DEP_1)
	v_fmac_f32_e32 v38, v73, v42
	v_pk_fma_f16 v73, v63, v54, 0
	v_pk_fma_f16 v73, v61, v55, v73
	s_delay_alu instid0(VALU_DEP_1) | instskip(NEXT) | instid1(VALU_DEP_1)
	v_pk_fma_f16 v73, v62, v56, v73
	v_pk_fma_f16 v73, v64, v57, v73
	s_delay_alu instid0(VALU_DEP_1) | instskip(SKIP_1) | instid1(VALU_DEP_1)
	v_cvt_f32_f16_e32 v74, v73
	v_lshrrev_b32_e32 v73, 16, v73
	v_cvt_f32_f16_e32 v73, v73
	s_delay_alu instid0(VALU_DEP_1) | instskip(NEXT) | instid1(VALU_DEP_1)
	v_add_f32_e32 v73, v74, v73
	v_fmac_f32_e32 v39, v73, v44
	v_pk_fma_f16 v73, v66, v54, 0
	v_pk_fma_f16 v54, v69, v54, 0
	s_delay_alu instid0(VALU_DEP_2) | instskip(NEXT) | instid1(VALU_DEP_2)
	v_pk_fma_f16 v73, v67, v55, v73
	v_pk_fma_f16 v54, v70, v55, v54
	s_delay_alu instid0(VALU_DEP_2) | instskip(NEXT) | instid1(VALU_DEP_2)
	v_pk_fma_f16 v73, v65, v56, v73
	v_pk_fma_f16 v54, v71, v56, v54
	s_delay_alu instid0(VALU_DEP_2) | instskip(NEXT) | instid1(VALU_DEP_2)
	v_pk_fma_f16 v73, v68, v57, v73
	v_pk_fma_f16 v54, v72, v57, v54
	s_delay_alu instid0(VALU_DEP_2) | instskip(NEXT) | instid1(VALU_DEP_2)
	v_cvt_f32_f16_e32 v74, v73
	v_cvt_f32_f16_e32 v55, v54
	v_lshrrev_b32_e32 v54, 16, v54
	v_lshrrev_b32_e32 v73, 16, v73
	s_delay_alu instid0(VALU_DEP_2) | instskip(NEXT) | instid1(VALU_DEP_2)
	v_cvt_f32_f16_e32 v54, v54
	v_cvt_f32_f16_e32 v73, v73
	s_delay_alu instid0(VALU_DEP_1) | instskip(NEXT) | instid1(VALU_DEP_1)
	v_dual_add_f32 v54, v55, v54 :: v_dual_add_f32 v73, v74, v73
	v_fmac_f32_e32 v36, v54, v45
	ds_load_2addr_b32 v[54:55], v6 offset0:72 offset1:73
	v_fmac_f32_e32 v37, v73, v43
	s_waitcnt lgkmcnt(0)
	v_pk_fma_f16 v56, v7, v54, 0
	s_delay_alu instid0(VALU_DEP_1) | instskip(SKIP_3) | instid1(VALU_DEP_1)
	v_pk_fma_f16 v73, v58, v55, v56
	ds_load_2addr_b32 v[56:57], v6 offset0:74 offset1:75
	s_waitcnt lgkmcnt(0)
	v_pk_fma_f16 v73, v59, v56, v73
	v_pk_fma_f16 v73, v60, v57, v73
	s_delay_alu instid0(VALU_DEP_1) | instskip(SKIP_1) | instid1(VALU_DEP_1)
	v_cvt_f32_f16_e32 v74, v73
	v_lshrrev_b32_e32 v73, 16, v73
	v_cvt_f32_f16_e32 v73, v73
	s_delay_alu instid0(VALU_DEP_1) | instskip(NEXT) | instid1(VALU_DEP_1)
	v_add_f32_e32 v73, v74, v73
	v_fmac_f32_e32 v35, v73, v42
	v_pk_fma_f16 v73, v63, v54, 0
	s_delay_alu instid0(VALU_DEP_1) | instskip(NEXT) | instid1(VALU_DEP_1)
	v_pk_fma_f16 v73, v61, v55, v73
	v_pk_fma_f16 v73, v62, v56, v73
	s_delay_alu instid0(VALU_DEP_1) | instskip(NEXT) | instid1(VALU_DEP_1)
	v_pk_fma_f16 v73, v64, v57, v73
	v_cvt_f32_f16_e32 v74, v73
	v_lshrrev_b32_e32 v73, 16, v73
	s_delay_alu instid0(VALU_DEP_1) | instskip(NEXT) | instid1(VALU_DEP_1)
	v_cvt_f32_f16_e32 v73, v73
	v_add_f32_e32 v73, v74, v73
	s_delay_alu instid0(VALU_DEP_1) | instskip(SKIP_2) | instid1(VALU_DEP_2)
	v_fmac_f32_e32 v34, v73, v44
	v_pk_fma_f16 v73, v66, v54, 0
	v_pk_fma_f16 v54, v69, v54, 0
	v_pk_fma_f16 v73, v67, v55, v73
	s_delay_alu instid0(VALU_DEP_2) | instskip(NEXT) | instid1(VALU_DEP_2)
	v_pk_fma_f16 v54, v70, v55, v54
	v_pk_fma_f16 v73, v65, v56, v73
	s_delay_alu instid0(VALU_DEP_2) | instskip(NEXT) | instid1(VALU_DEP_2)
	v_pk_fma_f16 v54, v71, v56, v54
	v_pk_fma_f16 v73, v68, v57, v73
	s_delay_alu instid0(VALU_DEP_2) | instskip(NEXT) | instid1(VALU_DEP_2)
	v_pk_fma_f16 v54, v72, v57, v54
	v_cvt_f32_f16_e32 v74, v73
	s_delay_alu instid0(VALU_DEP_2) | instskip(SKIP_2) | instid1(VALU_DEP_2)
	v_cvt_f32_f16_e32 v55, v54
	v_lshrrev_b32_e32 v54, 16, v54
	v_lshrrev_b32_e32 v73, 16, v73
	v_cvt_f32_f16_e32 v54, v54
	s_delay_alu instid0(VALU_DEP_2) | instskip(NEXT) | instid1(VALU_DEP_1)
	v_cvt_f32_f16_e32 v73, v73
	v_dual_add_f32 v54, v55, v54 :: v_dual_add_f32 v73, v74, v73
	s_delay_alu instid0(VALU_DEP_1) | instskip(SKIP_4) | instid1(VALU_DEP_1)
	v_fmac_f32_e32 v32, v54, v45
	ds_load_2addr_b32 v[54:55], v6 offset0:136 offset1:137
	v_fmac_f32_e32 v33, v73, v43
	s_waitcnt lgkmcnt(0)
	v_pk_fma_f16 v56, v7, v54, 0
	v_pk_fma_f16 v73, v58, v55, v56
	ds_load_2addr_b32 v[56:57], v6 offset0:138 offset1:139
	s_waitcnt lgkmcnt(0)
	v_pk_fma_f16 v73, v59, v56, v73
	s_delay_alu instid0(VALU_DEP_1) | instskip(NEXT) | instid1(VALU_DEP_1)
	v_pk_fma_f16 v73, v60, v57, v73
	v_cvt_f32_f16_e32 v74, v73
	v_lshrrev_b32_e32 v73, 16, v73
	s_delay_alu instid0(VALU_DEP_1) | instskip(NEXT) | instid1(VALU_DEP_1)
	v_cvt_f32_f16_e32 v73, v73
	v_add_f32_e32 v73, v74, v73
	s_delay_alu instid0(VALU_DEP_1) | instskip(SKIP_1) | instid1(VALU_DEP_1)
	v_fmac_f32_e32 v31, v73, v42
	v_pk_fma_f16 v73, v63, v54, 0
	v_pk_fma_f16 v73, v61, v55, v73
	s_delay_alu instid0(VALU_DEP_1) | instskip(NEXT) | instid1(VALU_DEP_1)
	v_pk_fma_f16 v73, v62, v56, v73
	v_pk_fma_f16 v73, v64, v57, v73
	s_delay_alu instid0(VALU_DEP_1) | instskip(SKIP_1) | instid1(VALU_DEP_1)
	v_cvt_f32_f16_e32 v74, v73
	v_lshrrev_b32_e32 v73, 16, v73
	v_cvt_f32_f16_e32 v73, v73
	s_delay_alu instid0(VALU_DEP_1) | instskip(NEXT) | instid1(VALU_DEP_1)
	v_add_f32_e32 v73, v74, v73
	v_fmac_f32_e32 v30, v73, v44
	v_pk_fma_f16 v73, v66, v54, 0
	v_pk_fma_f16 v54, v69, v54, 0
	s_delay_alu instid0(VALU_DEP_2) | instskip(NEXT) | instid1(VALU_DEP_2)
	v_pk_fma_f16 v73, v67, v55, v73
	v_pk_fma_f16 v54, v70, v55, v54
	s_delay_alu instid0(VALU_DEP_2) | instskip(NEXT) | instid1(VALU_DEP_2)
	;; [unrolled: 3-line block ×4, first 2 shown]
	v_cvt_f32_f16_e32 v74, v73
	v_cvt_f32_f16_e32 v55, v54
	v_lshrrev_b32_e32 v54, 16, v54
	v_lshrrev_b32_e32 v73, 16, v73
	s_delay_alu instid0(VALU_DEP_2) | instskip(NEXT) | instid1(VALU_DEP_2)
	v_cvt_f32_f16_e32 v54, v54
	v_cvt_f32_f16_e32 v73, v73
	s_delay_alu instid0(VALU_DEP_1) | instskip(NEXT) | instid1(VALU_DEP_1)
	v_dual_add_f32 v54, v55, v54 :: v_dual_add_f32 v73, v74, v73
	v_fmac_f32_e32 v28, v54, v45
	ds_load_2addr_b32 v[54:55], v6 offset0:200 offset1:201
	v_fmac_f32_e32 v29, v73, v43
	s_waitcnt lgkmcnt(0)
	v_pk_fma_f16 v56, v7, v54, 0
	s_delay_alu instid0(VALU_DEP_1) | instskip(SKIP_3) | instid1(VALU_DEP_1)
	v_pk_fma_f16 v73, v58, v55, v56
	ds_load_2addr_b32 v[56:57], v6 offset0:202 offset1:203
	s_waitcnt lgkmcnt(0)
	v_pk_fma_f16 v73, v59, v56, v73
	v_pk_fma_f16 v73, v60, v57, v73
	s_delay_alu instid0(VALU_DEP_1) | instskip(SKIP_1) | instid1(VALU_DEP_1)
	v_cvt_f32_f16_e32 v74, v73
	v_lshrrev_b32_e32 v73, 16, v73
	v_cvt_f32_f16_e32 v73, v73
	s_delay_alu instid0(VALU_DEP_1) | instskip(NEXT) | instid1(VALU_DEP_1)
	v_add_f32_e32 v73, v74, v73
	v_fmac_f32_e32 v27, v73, v42
	v_pk_fma_f16 v73, v63, v54, 0
	s_delay_alu instid0(VALU_DEP_1) | instskip(NEXT) | instid1(VALU_DEP_1)
	v_pk_fma_f16 v73, v61, v55, v73
	v_pk_fma_f16 v73, v62, v56, v73
	s_delay_alu instid0(VALU_DEP_1) | instskip(NEXT) | instid1(VALU_DEP_1)
	v_pk_fma_f16 v73, v64, v57, v73
	v_cvt_f32_f16_e32 v74, v73
	v_lshrrev_b32_e32 v73, 16, v73
	s_delay_alu instid0(VALU_DEP_1) | instskip(NEXT) | instid1(VALU_DEP_1)
	v_cvt_f32_f16_e32 v73, v73
	v_add_f32_e32 v73, v74, v73
	s_delay_alu instid0(VALU_DEP_1) | instskip(SKIP_2) | instid1(VALU_DEP_2)
	v_fmac_f32_e32 v26, v73, v44
	v_pk_fma_f16 v73, v66, v54, 0
	v_pk_fma_f16 v54, v69, v54, 0
	;; [unrolled: 1-line block ×3, first 2 shown]
	s_delay_alu instid0(VALU_DEP_2) | instskip(NEXT) | instid1(VALU_DEP_2)
	v_pk_fma_f16 v54, v70, v55, v54
	v_pk_fma_f16 v73, v65, v56, v73
	s_delay_alu instid0(VALU_DEP_2) | instskip(NEXT) | instid1(VALU_DEP_2)
	v_pk_fma_f16 v54, v71, v56, v54
	v_pk_fma_f16 v73, v68, v57, v73
	s_delay_alu instid0(VALU_DEP_2) | instskip(NEXT) | instid1(VALU_DEP_2)
	v_pk_fma_f16 v54, v72, v57, v54
	v_cvt_f32_f16_e32 v74, v73
	s_delay_alu instid0(VALU_DEP_2) | instskip(SKIP_2) | instid1(VALU_DEP_2)
	v_cvt_f32_f16_e32 v55, v54
	v_lshrrev_b32_e32 v54, 16, v54
	v_lshrrev_b32_e32 v73, 16, v73
	v_cvt_f32_f16_e32 v54, v54
	s_delay_alu instid0(VALU_DEP_2) | instskip(NEXT) | instid1(VALU_DEP_1)
	v_cvt_f32_f16_e32 v73, v73
	v_dual_add_f32 v54, v55, v54 :: v_dual_add_f32 v73, v74, v73
	s_delay_alu instid0(VALU_DEP_1) | instskip(SKIP_2) | instid1(VALU_DEP_3)
	v_fmac_f32_e32 v24, v54, v45
	v_mov_b32_e32 v54, s19
	s_add_i32 s19, s13, 0x428
	v_fmac_f32_e32 v25, v73, v43
	ds_load_2addr_b32 v[54:55], v54 offset1:1
	s_waitcnt lgkmcnt(0)
	v_pk_fma_f16 v56, v7, v54, 0
	s_delay_alu instid0(VALU_DEP_1)
	v_pk_fma_f16 v73, v58, v55, v56
	v_mov_b32_e32 v56, s19
	s_add_i32 s19, s13, 0x520
	ds_load_2addr_b32 v[56:57], v56 offset1:1
	s_waitcnt lgkmcnt(0)
	v_pk_fma_f16 v73, v59, v56, v73
	s_delay_alu instid0(VALU_DEP_1) | instskip(NEXT) | instid1(VALU_DEP_1)
	v_pk_fma_f16 v73, v60, v57, v73
	v_cvt_f32_f16_e32 v74, v73
	v_lshrrev_b32_e32 v73, 16, v73
	s_delay_alu instid0(VALU_DEP_1) | instskip(NEXT) | instid1(VALU_DEP_1)
	v_cvt_f32_f16_e32 v73, v73
	v_add_f32_e32 v73, v74, v73
	s_delay_alu instid0(VALU_DEP_1) | instskip(SKIP_1) | instid1(VALU_DEP_1)
	v_fmac_f32_e32 v23, v73, v42
	v_pk_fma_f16 v73, v63, v54, 0
	v_pk_fma_f16 v73, v61, v55, v73
	s_delay_alu instid0(VALU_DEP_1) | instskip(NEXT) | instid1(VALU_DEP_1)
	v_pk_fma_f16 v73, v62, v56, v73
	v_pk_fma_f16 v73, v64, v57, v73
	s_delay_alu instid0(VALU_DEP_1) | instskip(SKIP_1) | instid1(VALU_DEP_1)
	v_cvt_f32_f16_e32 v74, v73
	v_lshrrev_b32_e32 v73, 16, v73
	v_cvt_f32_f16_e32 v73, v73
	s_delay_alu instid0(VALU_DEP_1) | instskip(NEXT) | instid1(VALU_DEP_1)
	v_add_f32_e32 v73, v74, v73
	v_fmac_f32_e32 v22, v73, v44
	v_pk_fma_f16 v73, v66, v54, 0
	v_pk_fma_f16 v54, v69, v54, 0
	s_delay_alu instid0(VALU_DEP_2) | instskip(NEXT) | instid1(VALU_DEP_2)
	v_pk_fma_f16 v73, v67, v55, v73
	v_pk_fma_f16 v54, v70, v55, v54
	s_delay_alu instid0(VALU_DEP_2) | instskip(NEXT) | instid1(VALU_DEP_2)
	;; [unrolled: 3-line block ×4, first 2 shown]
	v_cvt_f32_f16_e32 v74, v73
	v_cvt_f32_f16_e32 v55, v54
	v_lshrrev_b32_e32 v54, 16, v54
	v_lshrrev_b32_e32 v73, 16, v73
	s_delay_alu instid0(VALU_DEP_2) | instskip(NEXT) | instid1(VALU_DEP_2)
	v_cvt_f32_f16_e32 v54, v54
	v_cvt_f32_f16_e32 v73, v73
	s_delay_alu instid0(VALU_DEP_1) | instskip(NEXT) | instid1(VALU_DEP_1)
	v_dual_add_f32 v54, v55, v54 :: v_dual_add_f32 v73, v74, v73
	v_fmac_f32_e32 v20, v54, v45
	v_mov_b32_e32 v54, s19
	s_add_i32 s19, s13, 0x528
	s_delay_alu instid0(VALU_DEP_3) | instskip(SKIP_3) | instid1(VALU_DEP_1)
	v_fmac_f32_e32 v21, v73, v43
	ds_load_2addr_b32 v[54:55], v54 offset1:1
	s_waitcnt lgkmcnt(0)
	v_pk_fma_f16 v56, v7, v54, 0
	v_pk_fma_f16 v73, v58, v55, v56
	v_mov_b32_e32 v56, s19
	s_add_i32 s19, s13, 0x620
	ds_load_2addr_b32 v[56:57], v56 offset1:1
	s_waitcnt lgkmcnt(0)
	v_pk_fma_f16 v73, v59, v56, v73
	s_delay_alu instid0(VALU_DEP_1) | instskip(NEXT) | instid1(VALU_DEP_1)
	v_pk_fma_f16 v73, v60, v57, v73
	v_cvt_f32_f16_e32 v74, v73
	v_lshrrev_b32_e32 v73, 16, v73
	s_delay_alu instid0(VALU_DEP_1) | instskip(NEXT) | instid1(VALU_DEP_1)
	v_cvt_f32_f16_e32 v73, v73
	v_add_f32_e32 v73, v74, v73
	s_delay_alu instid0(VALU_DEP_1) | instskip(SKIP_1) | instid1(VALU_DEP_1)
	v_fmac_f32_e32 v19, v73, v42
	v_pk_fma_f16 v73, v63, v54, 0
	v_pk_fma_f16 v73, v61, v55, v73
	s_delay_alu instid0(VALU_DEP_1) | instskip(NEXT) | instid1(VALU_DEP_1)
	v_pk_fma_f16 v73, v62, v56, v73
	v_pk_fma_f16 v73, v64, v57, v73
	s_delay_alu instid0(VALU_DEP_1) | instskip(SKIP_1) | instid1(VALU_DEP_1)
	v_cvt_f32_f16_e32 v74, v73
	v_lshrrev_b32_e32 v73, 16, v73
	v_cvt_f32_f16_e32 v73, v73
	s_delay_alu instid0(VALU_DEP_1) | instskip(NEXT) | instid1(VALU_DEP_1)
	v_add_f32_e32 v73, v74, v73
	v_fmac_f32_e32 v18, v73, v44
	v_pk_fma_f16 v73, v66, v54, 0
	v_pk_fma_f16 v54, v69, v54, 0
	s_delay_alu instid0(VALU_DEP_2) | instskip(NEXT) | instid1(VALU_DEP_2)
	v_pk_fma_f16 v73, v67, v55, v73
	v_pk_fma_f16 v54, v70, v55, v54
	s_delay_alu instid0(VALU_DEP_2) | instskip(NEXT) | instid1(VALU_DEP_2)
	v_pk_fma_f16 v73, v65, v56, v73
	v_pk_fma_f16 v54, v71, v56, v54
	s_delay_alu instid0(VALU_DEP_2) | instskip(NEXT) | instid1(VALU_DEP_2)
	v_pk_fma_f16 v73, v68, v57, v73
	v_pk_fma_f16 v54, v72, v57, v54
	s_delay_alu instid0(VALU_DEP_2) | instskip(NEXT) | instid1(VALU_DEP_2)
	v_cvt_f32_f16_e32 v74, v73
	v_cvt_f32_f16_e32 v55, v54
	v_lshrrev_b32_e32 v54, 16, v54
	v_lshrrev_b32_e32 v73, 16, v73
	s_delay_alu instid0(VALU_DEP_2) | instskip(NEXT) | instid1(VALU_DEP_2)
	v_cvt_f32_f16_e32 v54, v54
	v_cvt_f32_f16_e32 v73, v73
	s_delay_alu instid0(VALU_DEP_1) | instskip(NEXT) | instid1(VALU_DEP_1)
	v_dual_add_f32 v54, v55, v54 :: v_dual_add_f32 v73, v74, v73
	v_fmac_f32_e32 v16, v54, v45
	v_mov_b32_e32 v54, s19
	s_add_i32 s19, s13, 0x628
	s_delay_alu instid0(VALU_DEP_3) | instskip(SKIP_3) | instid1(VALU_DEP_1)
	v_fmac_f32_e32 v17, v73, v43
	ds_load_2addr_b32 v[54:55], v54 offset1:1
	s_waitcnt lgkmcnt(0)
	v_pk_fma_f16 v56, v7, v54, 0
	v_pk_fma_f16 v73, v58, v55, v56
	v_mov_b32_e32 v56, s19
	s_add_i32 s19, s13, 0x720
	ds_load_2addr_b32 v[56:57], v56 offset1:1
	s_waitcnt lgkmcnt(0)
	v_pk_fma_f16 v73, v59, v56, v73
	s_delay_alu instid0(VALU_DEP_1) | instskip(NEXT) | instid1(VALU_DEP_1)
	v_pk_fma_f16 v73, v60, v57, v73
	v_cvt_f32_f16_e32 v74, v73
	v_lshrrev_b32_e32 v73, 16, v73
	s_delay_alu instid0(VALU_DEP_1) | instskip(NEXT) | instid1(VALU_DEP_1)
	v_cvt_f32_f16_e32 v73, v73
	v_add_f32_e32 v73, v74, v73
	s_delay_alu instid0(VALU_DEP_1) | instskip(SKIP_1) | instid1(VALU_DEP_1)
	v_fmac_f32_e32 v15, v73, v42
	v_pk_fma_f16 v73, v63, v54, 0
	v_pk_fma_f16 v73, v61, v55, v73
	s_delay_alu instid0(VALU_DEP_1) | instskip(NEXT) | instid1(VALU_DEP_1)
	v_pk_fma_f16 v73, v62, v56, v73
	v_pk_fma_f16 v73, v64, v57, v73
	s_delay_alu instid0(VALU_DEP_1) | instskip(SKIP_1) | instid1(VALU_DEP_1)
	v_cvt_f32_f16_e32 v74, v73
	v_lshrrev_b32_e32 v73, 16, v73
	v_cvt_f32_f16_e32 v73, v73
	s_delay_alu instid0(VALU_DEP_1) | instskip(NEXT) | instid1(VALU_DEP_1)
	v_add_f32_e32 v73, v74, v73
	v_fmac_f32_e32 v14, v73, v44
	v_pk_fma_f16 v73, v66, v54, 0
	v_pk_fma_f16 v54, v69, v54, 0
	s_delay_alu instid0(VALU_DEP_2) | instskip(NEXT) | instid1(VALU_DEP_2)
	v_pk_fma_f16 v73, v67, v55, v73
	v_pk_fma_f16 v54, v70, v55, v54
	s_delay_alu instid0(VALU_DEP_2) | instskip(NEXT) | instid1(VALU_DEP_2)
	;; [unrolled: 3-line block ×4, first 2 shown]
	v_cvt_f32_f16_e32 v74, v73
	v_cvt_f32_f16_e32 v55, v54
	v_lshrrev_b32_e32 v54, 16, v54
	v_lshrrev_b32_e32 v73, 16, v73
	s_delay_alu instid0(VALU_DEP_2) | instskip(NEXT) | instid1(VALU_DEP_2)
	v_cvt_f32_f16_e32 v54, v54
	v_cvt_f32_f16_e32 v73, v73
	s_delay_alu instid0(VALU_DEP_2) | instskip(NEXT) | instid1(VALU_DEP_1)
	v_add_f32_e32 v54, v55, v54
	v_fmac_f32_e32 v12, v54, v45
	v_mov_b32_e32 v54, s19
	s_add_i32 s19, s13, 0x728
	s_delay_alu instid0(SALU_CYCLE_1)
	v_mov_b32_e32 v56, s19
	s_add_i32 s19, s13, 0x430
	ds_load_2addr_b32 v[54:55], v54 offset1:1
	ds_load_2addr_b32 v[56:57], v56 offset1:1
	s_waitcnt lgkmcnt(1)
	v_pk_fma_f16 v7, v7, v54, 0
	s_delay_alu instid0(VALU_DEP_1) | instskip(SKIP_1) | instid1(VALU_DEP_1)
	v_pk_fma_f16 v7, v58, v55, v7
	s_waitcnt lgkmcnt(0)
	v_pk_fma_f16 v7, v59, v56, v7
	s_delay_alu instid0(VALU_DEP_1) | instskip(NEXT) | instid1(VALU_DEP_1)
	v_pk_fma_f16 v7, v60, v57, v7
	v_cvt_f32_f16_e32 v58, v7
	v_lshrrev_b32_e32 v7, 16, v7
	s_delay_alu instid0(VALU_DEP_1) | instskip(NEXT) | instid1(VALU_DEP_1)
	v_cvt_f32_f16_e32 v7, v7
	v_add_f32_e32 v7, v58, v7
	s_delay_alu instid0(VALU_DEP_1) | instskip(SKIP_1) | instid1(VALU_DEP_1)
	v_fmac_f32_e32 v10, v7, v42
	v_pk_fma_f16 v7, v63, v54, 0
	v_pk_fma_f16 v7, v61, v55, v7
	s_delay_alu instid0(VALU_DEP_1) | instskip(NEXT) | instid1(VALU_DEP_1)
	v_pk_fma_f16 v7, v62, v56, v7
	v_pk_fma_f16 v7, v64, v57, v7
	s_delay_alu instid0(VALU_DEP_1) | instskip(SKIP_1) | instid1(VALU_DEP_1)
	v_cvt_f32_f16_e32 v58, v7
	v_lshrrev_b32_e32 v7, 16, v7
	v_cvt_f32_f16_e32 v7, v7
	s_delay_alu instid0(VALU_DEP_1) | instskip(NEXT) | instid1(VALU_DEP_1)
	v_add_f32_e32 v7, v58, v7
	v_fmac_f32_e32 v9, v7, v44
	v_pk_fma_f16 v7, v66, v54, 0
	s_delay_alu instid0(VALU_DEP_1) | instskip(NEXT) | instid1(VALU_DEP_1)
	v_pk_fma_f16 v7, v67, v55, v7
	v_pk_fma_f16 v7, v65, v56, v7
	s_delay_alu instid0(VALU_DEP_1) | instskip(NEXT) | instid1(VALU_DEP_1)
	v_pk_fma_f16 v7, v68, v57, v7
	v_cvt_f32_f16_e32 v58, v7
	v_lshrrev_b32_e32 v7, 16, v7
	s_delay_alu instid0(VALU_DEP_1) | instskip(NEXT) | instid1(VALU_DEP_1)
	v_cvt_f32_f16_e32 v7, v7
	v_add_f32_e32 v7, v58, v7
	s_delay_alu instid0(VALU_DEP_1) | instskip(SKIP_1) | instid1(VALU_DEP_1)
	v_fmac_f32_e32 v8, v7, v43
	v_pk_fma_f16 v7, v69, v54, 0
	v_pk_fma_f16 v7, v70, v55, v7
	s_delay_alu instid0(VALU_DEP_1) | instskip(SKIP_2) | instid1(VALU_DEP_1)
	v_pk_fma_f16 v7, v71, v56, v7
	ds_load_2addr_b32 v[70:71], v6 offset0:14 offset1:15
	v_pk_fma_f16 v7, v72, v57, v7
	v_cvt_f32_f16_e32 v54, v7
	v_lshrrev_b32_e32 v7, 16, v7
	s_delay_alu instid0(VALU_DEP_1) | instskip(NEXT) | instid1(VALU_DEP_1)
	v_cvt_f32_f16_e32 v7, v7
	v_add_f32_e32 v7, v54, v7
	global_load_b128 v[54:57], v[4:5], off
	v_fmac_f32_e32 v11, v7, v45
	s_waitcnt vmcnt(0)
	v_lshrrev_b32_e32 v7, 8, v54
	v_and_or_b32 v4, v54, s5, 0x64006400
	v_and_or_b32 v5, v54, s17, 0x64006400
	s_delay_alu instid0(VALU_DEP_3) | instskip(SKIP_1) | instid1(VALU_DEP_4)
	v_and_or_b32 v54, v7, s5, 0x64006400
	v_and_or_b32 v7, v7, s17, 0x64006400
	v_pk_add_f16 v69, v46, v4
	s_delay_alu instid0(VALU_DEP_4)
	v_pk_fma_f16 v68, 0x2c00, v5, v50 op_sel_hi:[0,1,1]
	v_and_or_b32 v4, v55, s5, 0x64006400
	v_pk_add_f16 v66, v46, v54
	v_pk_fma_f16 v67, 0x2c00, v7, v50 op_sel_hi:[0,1,1]
	v_lshrrev_b32_e32 v7, 8, v55
	v_and_or_b32 v5, v55, s17, 0x64006400
	v_pk_add_f16 v62, v49, v4
	v_and_or_b32 v4, v56, s5, 0x64006400
	s_delay_alu instid0(VALU_DEP_4)
	v_and_or_b32 v54, v7, s5, 0x64006400
	v_and_or_b32 v7, v7, s17, 0x64006400
	v_pk_fma_f16 v63, 0x2c00, v5, v53 op_sel_hi:[0,1,1]
	v_and_or_b32 v5, v56, s17, 0x64006400
	v_pk_add_f16 v58, v47, v4
	v_pk_add_f16 v64, v49, v54
	v_pk_fma_f16 v65, 0x2c00, v7, v53 op_sel_hi:[0,1,1]
	v_lshrrev_b32_e32 v7, 8, v56
	v_pk_fma_f16 v59, 0x2c00, v5, v52 op_sel_hi:[0,1,1]
	v_and_or_b32 v4, v57, s5, 0x64006400
	v_and_or_b32 v5, v57, s17, 0x64006400
	s_delay_alu instid0(VALU_DEP_4) | instskip(SKIP_1) | instid1(VALU_DEP_3)
	v_and_or_b32 v54, v7, s5, 0x64006400
	v_and_or_b32 v7, v7, s17, 0x64006400
	v_pk_fma_f16 v56, 0x2c00, v5, v51 op_sel_hi:[0,1,1]
	s_delay_alu instid0(VALU_DEP_3) | instskip(NEXT) | instid1(VALU_DEP_3)
	v_pk_add_f16 v60, v47, v54
	v_pk_fma_f16 v61, 0x2c00, v7, v52 op_sel_hi:[0,1,1]
	v_lshrrev_b32_e32 v7, 8, v57
	v_pk_add_f16 v57, v48, v4
	ds_load_2addr_b32 v[4:5], v6 offset0:12 offset1:13
	v_and_or_b32 v54, v7, s5, 0x64006400
	v_and_or_b32 v7, v7, s17, 0x64006400
	s_delay_alu instid0(VALU_DEP_2) | instskip(NEXT) | instid1(VALU_DEP_2)
	v_pk_add_f16 v55, v48, v54
	v_pk_fma_f16 v54, 0x2c00, v7, v51 op_sel_hi:[0,1,1]
	s_waitcnt lgkmcnt(0)
	v_pk_fma_f16 v7, v69, v4, 0
	s_delay_alu instid0(VALU_DEP_1) | instskip(NEXT) | instid1(VALU_DEP_1)
	v_pk_fma_f16 v7, v68, v5, v7
	v_pk_fma_f16 v7, v66, v70, v7
	s_delay_alu instid0(VALU_DEP_1) | instskip(NEXT) | instid1(VALU_DEP_1)
	v_pk_fma_f16 v7, v67, v71, v7
	v_cvt_f32_f16_e32 v72, v7
	v_lshrrev_b32_e32 v7, 16, v7
	s_delay_alu instid0(VALU_DEP_1) | instskip(NEXT) | instid1(VALU_DEP_1)
	v_cvt_f32_f16_e32 v7, v7
	v_add_f32_e32 v7, v72, v7
	s_delay_alu instid0(VALU_DEP_1) | instskip(SKIP_1) | instid1(VALU_DEP_1)
	v_fmac_f32_e32 v38, v7, v42
	v_pk_fma_f16 v7, v62, v4, 0
	v_pk_fma_f16 v7, v63, v5, v7
	s_delay_alu instid0(VALU_DEP_1) | instskip(NEXT) | instid1(VALU_DEP_1)
	v_pk_fma_f16 v7, v64, v70, v7
	v_pk_fma_f16 v7, v65, v71, v7
	s_delay_alu instid0(VALU_DEP_1) | instskip(SKIP_1) | instid1(VALU_DEP_1)
	v_cvt_f32_f16_e32 v72, v7
	v_lshrrev_b32_e32 v7, 16, v7
	v_cvt_f32_f16_e32 v7, v7
	s_delay_alu instid0(VALU_DEP_1) | instskip(NEXT) | instid1(VALU_DEP_1)
	v_add_f32_e32 v7, v72, v7
	v_fmac_f32_e32 v39, v7, v44
	v_pk_fma_f16 v7, v58, v4, 0
	v_pk_fma_f16 v4, v57, v4, 0
	s_delay_alu instid0(VALU_DEP_2) | instskip(NEXT) | instid1(VALU_DEP_2)
	v_pk_fma_f16 v7, v59, v5, v7
	v_pk_fma_f16 v4, v56, v5, v4
	s_delay_alu instid0(VALU_DEP_2) | instskip(NEXT) | instid1(VALU_DEP_2)
	;; [unrolled: 3-line block ×3, first 2 shown]
	v_pk_fma_f16 v7, v61, v71, v7
	v_pk_fma_f16 v4, v54, v71, v4
	ds_load_2addr_b32 v[70:71], v6 offset0:78 offset1:79
	v_cvt_f32_f16_e32 v72, v7
	v_cvt_f32_f16_e32 v5, v4
	v_lshrrev_b32_e32 v4, 16, v4
	v_lshrrev_b32_e32 v7, 16, v7
	s_delay_alu instid0(VALU_DEP_2) | instskip(NEXT) | instid1(VALU_DEP_2)
	v_cvt_f32_f16_e32 v4, v4
	v_cvt_f32_f16_e32 v7, v7
	s_delay_alu instid0(VALU_DEP_1) | instskip(NEXT) | instid1(VALU_DEP_1)
	v_dual_add_f32 v4, v5, v4 :: v_dual_add_f32 v7, v72, v7
	v_fmac_f32_e32 v36, v4, v45
	ds_load_2addr_b32 v[4:5], v6 offset0:76 offset1:77
	v_fmac_f32_e32 v37, v7, v43
	s_waitcnt lgkmcnt(0)
	v_pk_fma_f16 v7, v69, v4, 0
	s_delay_alu instid0(VALU_DEP_1) | instskip(NEXT) | instid1(VALU_DEP_1)
	v_pk_fma_f16 v7, v68, v5, v7
	v_pk_fma_f16 v7, v66, v70, v7
	s_delay_alu instid0(VALU_DEP_1) | instskip(NEXT) | instid1(VALU_DEP_1)
	v_pk_fma_f16 v7, v67, v71, v7
	v_cvt_f32_f16_e32 v72, v7
	v_lshrrev_b32_e32 v7, 16, v7
	s_delay_alu instid0(VALU_DEP_1) | instskip(NEXT) | instid1(VALU_DEP_1)
	v_cvt_f32_f16_e32 v7, v7
	v_add_f32_e32 v7, v72, v7
	s_delay_alu instid0(VALU_DEP_1) | instskip(SKIP_1) | instid1(VALU_DEP_1)
	v_fmac_f32_e32 v35, v7, v42
	v_pk_fma_f16 v7, v62, v4, 0
	v_pk_fma_f16 v7, v63, v5, v7
	s_delay_alu instid0(VALU_DEP_1) | instskip(NEXT) | instid1(VALU_DEP_1)
	v_pk_fma_f16 v7, v64, v70, v7
	v_pk_fma_f16 v7, v65, v71, v7
	s_delay_alu instid0(VALU_DEP_1) | instskip(SKIP_1) | instid1(VALU_DEP_1)
	v_cvt_f32_f16_e32 v72, v7
	v_lshrrev_b32_e32 v7, 16, v7
	v_cvt_f32_f16_e32 v7, v7
	s_delay_alu instid0(VALU_DEP_1) | instskip(NEXT) | instid1(VALU_DEP_1)
	v_add_f32_e32 v7, v72, v7
	v_fmac_f32_e32 v34, v7, v44
	v_pk_fma_f16 v7, v58, v4, 0
	v_pk_fma_f16 v4, v57, v4, 0
	s_delay_alu instid0(VALU_DEP_2) | instskip(NEXT) | instid1(VALU_DEP_2)
	v_pk_fma_f16 v7, v59, v5, v7
	v_pk_fma_f16 v4, v56, v5, v4
	s_delay_alu instid0(VALU_DEP_2) | instskip(NEXT) | instid1(VALU_DEP_2)
	;; [unrolled: 3-line block ×3, first 2 shown]
	v_pk_fma_f16 v7, v61, v71, v7
	v_pk_fma_f16 v4, v54, v71, v4
	ds_load_2addr_b32 v[70:71], v6 offset0:142 offset1:143
	v_cvt_f32_f16_e32 v72, v7
	v_cvt_f32_f16_e32 v5, v4
	v_lshrrev_b32_e32 v4, 16, v4
	v_lshrrev_b32_e32 v7, 16, v7
	s_delay_alu instid0(VALU_DEP_2) | instskip(NEXT) | instid1(VALU_DEP_2)
	v_cvt_f32_f16_e32 v4, v4
	v_cvt_f32_f16_e32 v7, v7
	s_delay_alu instid0(VALU_DEP_1) | instskip(NEXT) | instid1(VALU_DEP_1)
	v_dual_add_f32 v4, v5, v4 :: v_dual_add_f32 v7, v72, v7
	v_fmac_f32_e32 v32, v4, v45
	ds_load_2addr_b32 v[4:5], v6 offset0:140 offset1:141
	v_fmac_f32_e32 v33, v7, v43
	s_waitcnt lgkmcnt(0)
	v_pk_fma_f16 v7, v69, v4, 0
	s_delay_alu instid0(VALU_DEP_1) | instskip(NEXT) | instid1(VALU_DEP_1)
	v_pk_fma_f16 v7, v68, v5, v7
	v_pk_fma_f16 v7, v66, v70, v7
	s_delay_alu instid0(VALU_DEP_1) | instskip(NEXT) | instid1(VALU_DEP_1)
	v_pk_fma_f16 v7, v67, v71, v7
	v_cvt_f32_f16_e32 v72, v7
	v_lshrrev_b32_e32 v7, 16, v7
	s_delay_alu instid0(VALU_DEP_1) | instskip(NEXT) | instid1(VALU_DEP_1)
	v_cvt_f32_f16_e32 v7, v7
	v_add_f32_e32 v7, v72, v7
	s_delay_alu instid0(VALU_DEP_1) | instskip(SKIP_1) | instid1(VALU_DEP_1)
	v_fmac_f32_e32 v31, v7, v42
	v_pk_fma_f16 v7, v62, v4, 0
	v_pk_fma_f16 v7, v63, v5, v7
	s_delay_alu instid0(VALU_DEP_1) | instskip(NEXT) | instid1(VALU_DEP_1)
	v_pk_fma_f16 v7, v64, v70, v7
	v_pk_fma_f16 v7, v65, v71, v7
	s_delay_alu instid0(VALU_DEP_1) | instskip(SKIP_1) | instid1(VALU_DEP_1)
	v_cvt_f32_f16_e32 v72, v7
	v_lshrrev_b32_e32 v7, 16, v7
	v_cvt_f32_f16_e32 v7, v7
	s_delay_alu instid0(VALU_DEP_1) | instskip(NEXT) | instid1(VALU_DEP_1)
	v_add_f32_e32 v7, v72, v7
	v_fmac_f32_e32 v30, v7, v44
	v_pk_fma_f16 v7, v58, v4, 0
	v_pk_fma_f16 v4, v57, v4, 0
	s_delay_alu instid0(VALU_DEP_2) | instskip(NEXT) | instid1(VALU_DEP_2)
	v_pk_fma_f16 v7, v59, v5, v7
	v_pk_fma_f16 v4, v56, v5, v4
	s_delay_alu instid0(VALU_DEP_2) | instskip(NEXT) | instid1(VALU_DEP_2)
	;; [unrolled: 3-line block ×4, first 2 shown]
	v_cvt_f32_f16_e32 v72, v7
	v_cvt_f32_f16_e32 v5, v4
	v_lshrrev_b32_e32 v4, 16, v4
	v_lshrrev_b32_e32 v7, 16, v7
	s_delay_alu instid0(VALU_DEP_2) | instskip(NEXT) | instid1(VALU_DEP_2)
	v_cvt_f32_f16_e32 v4, v4
	v_cvt_f32_f16_e32 v7, v7
	s_delay_alu instid0(VALU_DEP_1) | instskip(NEXT) | instid1(VALU_DEP_1)
	v_dual_add_f32 v4, v5, v4 :: v_dual_add_f32 v7, v72, v7
	v_fmac_f32_e32 v28, v4, v45
	ds_load_2addr_b32 v[4:5], v6 offset0:204 offset1:205
	v_fmac_f32_e32 v29, v7, v43
	s_waitcnt lgkmcnt(0)
	v_pk_fma_f16 v7, v69, v4, 0
	s_delay_alu instid0(VALU_DEP_1) | instskip(SKIP_3) | instid1(VALU_DEP_1)
	v_pk_fma_f16 v70, v68, v5, v7
	ds_load_2addr_b32 v[6:7], v6 offset0:206 offset1:207
	s_waitcnt lgkmcnt(0)
	v_pk_fma_f16 v70, v66, v6, v70
	v_pk_fma_f16 v70, v67, v7, v70
	s_delay_alu instid0(VALU_DEP_1) | instskip(SKIP_1) | instid1(VALU_DEP_1)
	v_cvt_f32_f16_e32 v71, v70
	v_lshrrev_b32_e32 v70, 16, v70
	v_cvt_f32_f16_e32 v70, v70
	s_delay_alu instid0(VALU_DEP_1) | instskip(NEXT) | instid1(VALU_DEP_1)
	v_add_f32_e32 v70, v71, v70
	v_fmac_f32_e32 v27, v70, v42
	v_pk_fma_f16 v70, v62, v4, 0
	s_delay_alu instid0(VALU_DEP_1) | instskip(NEXT) | instid1(VALU_DEP_1)
	v_pk_fma_f16 v70, v63, v5, v70
	v_pk_fma_f16 v70, v64, v6, v70
	s_delay_alu instid0(VALU_DEP_1) | instskip(NEXT) | instid1(VALU_DEP_1)
	v_pk_fma_f16 v70, v65, v7, v70
	v_cvt_f32_f16_e32 v71, v70
	v_lshrrev_b32_e32 v70, 16, v70
	s_delay_alu instid0(VALU_DEP_1) | instskip(NEXT) | instid1(VALU_DEP_1)
	v_cvt_f32_f16_e32 v70, v70
	v_add_f32_e32 v70, v71, v70
	s_delay_alu instid0(VALU_DEP_1) | instskip(SKIP_2) | instid1(VALU_DEP_2)
	v_fmac_f32_e32 v26, v70, v44
	v_pk_fma_f16 v70, v58, v4, 0
	v_pk_fma_f16 v4, v57, v4, 0
	;; [unrolled: 1-line block ×3, first 2 shown]
	s_delay_alu instid0(VALU_DEP_2) | instskip(NEXT) | instid1(VALU_DEP_2)
	v_pk_fma_f16 v4, v56, v5, v4
	v_pk_fma_f16 v70, v60, v6, v70
	s_delay_alu instid0(VALU_DEP_2) | instskip(NEXT) | instid1(VALU_DEP_2)
	v_pk_fma_f16 v4, v55, v6, v4
	v_pk_fma_f16 v70, v61, v7, v70
	s_delay_alu instid0(VALU_DEP_2) | instskip(NEXT) | instid1(VALU_DEP_2)
	v_pk_fma_f16 v4, v54, v7, v4
	v_cvt_f32_f16_e32 v71, v70
	s_delay_alu instid0(VALU_DEP_2) | instskip(SKIP_2) | instid1(VALU_DEP_2)
	v_cvt_f32_f16_e32 v5, v4
	v_lshrrev_b32_e32 v4, 16, v4
	v_lshrrev_b32_e32 v70, 16, v70
	v_cvt_f32_f16_e32 v4, v4
	s_delay_alu instid0(VALU_DEP_2) | instskip(NEXT) | instid1(VALU_DEP_2)
	v_cvt_f32_f16_e32 v70, v70
	v_add_f32_e32 v4, v5, v4
	s_delay_alu instid0(VALU_DEP_2) | instskip(NEXT) | instid1(VALU_DEP_2)
	v_add_f32_e32 v70, v71, v70
	v_fmac_f32_e32 v24, v4, v45
	v_mov_b32_e32 v4, s19
	s_add_i32 s19, s13, 0x438
	s_delay_alu instid0(VALU_DEP_3) | instskip(SKIP_3) | instid1(VALU_DEP_1)
	v_fmac_f32_e32 v25, v70, v43
	ds_load_2addr_b32 v[4:5], v4 offset1:1
	s_waitcnt lgkmcnt(0)
	v_pk_fma_f16 v6, v69, v4, 0
	v_pk_fma_f16 v70, v68, v5, v6
	v_mov_b32_e32 v6, s19
	s_add_i32 s19, s13, 0x530
	ds_load_2addr_b32 v[6:7], v6 offset1:1
	s_waitcnt lgkmcnt(0)
	v_pk_fma_f16 v70, v66, v6, v70
	s_delay_alu instid0(VALU_DEP_1) | instskip(NEXT) | instid1(VALU_DEP_1)
	v_pk_fma_f16 v70, v67, v7, v70
	v_cvt_f32_f16_e32 v71, v70
	v_lshrrev_b32_e32 v70, 16, v70
	s_delay_alu instid0(VALU_DEP_1) | instskip(NEXT) | instid1(VALU_DEP_1)
	v_cvt_f32_f16_e32 v70, v70
	v_add_f32_e32 v70, v71, v70
	s_delay_alu instid0(VALU_DEP_1) | instskip(SKIP_1) | instid1(VALU_DEP_1)
	v_fmac_f32_e32 v23, v70, v42
	v_pk_fma_f16 v70, v62, v4, 0
	v_pk_fma_f16 v70, v63, v5, v70
	s_delay_alu instid0(VALU_DEP_1) | instskip(NEXT) | instid1(VALU_DEP_1)
	v_pk_fma_f16 v70, v64, v6, v70
	v_pk_fma_f16 v70, v65, v7, v70
	s_delay_alu instid0(VALU_DEP_1) | instskip(SKIP_1) | instid1(VALU_DEP_1)
	v_cvt_f32_f16_e32 v71, v70
	v_lshrrev_b32_e32 v70, 16, v70
	v_cvt_f32_f16_e32 v70, v70
	s_delay_alu instid0(VALU_DEP_1) | instskip(NEXT) | instid1(VALU_DEP_1)
	v_add_f32_e32 v70, v71, v70
	v_fmac_f32_e32 v22, v70, v44
	v_pk_fma_f16 v70, v58, v4, 0
	v_pk_fma_f16 v4, v57, v4, 0
	s_delay_alu instid0(VALU_DEP_2) | instskip(NEXT) | instid1(VALU_DEP_2)
	v_pk_fma_f16 v70, v59, v5, v70
	v_pk_fma_f16 v4, v56, v5, v4
	s_delay_alu instid0(VALU_DEP_2) | instskip(NEXT) | instid1(VALU_DEP_2)
	;; [unrolled: 3-line block ×4, first 2 shown]
	v_cvt_f32_f16_e32 v71, v70
	v_cvt_f32_f16_e32 v5, v4
	v_lshrrev_b32_e32 v4, 16, v4
	v_lshrrev_b32_e32 v70, 16, v70
	s_delay_alu instid0(VALU_DEP_2) | instskip(NEXT) | instid1(VALU_DEP_2)
	v_cvt_f32_f16_e32 v4, v4
	v_cvt_f32_f16_e32 v70, v70
	s_delay_alu instid0(VALU_DEP_2) | instskip(NEXT) | instid1(VALU_DEP_2)
	v_add_f32_e32 v4, v5, v4
	v_add_f32_e32 v70, v71, v70
	s_delay_alu instid0(VALU_DEP_2) | instskip(SKIP_2) | instid1(VALU_DEP_3)
	v_fmac_f32_e32 v20, v4, v45
	v_mov_b32_e32 v4, s19
	s_add_i32 s19, s13, 0x538
	v_fmac_f32_e32 v21, v70, v43
	ds_load_2addr_b32 v[4:5], v4 offset1:1
	s_waitcnt lgkmcnt(0)
	v_pk_fma_f16 v6, v69, v4, 0
	s_delay_alu instid0(VALU_DEP_1)
	v_pk_fma_f16 v70, v68, v5, v6
	v_mov_b32_e32 v6, s19
	s_add_i32 s19, s13, 0x630
	ds_load_2addr_b32 v[6:7], v6 offset1:1
	s_waitcnt lgkmcnt(0)
	v_pk_fma_f16 v70, v66, v6, v70
	s_delay_alu instid0(VALU_DEP_1) | instskip(NEXT) | instid1(VALU_DEP_1)
	v_pk_fma_f16 v70, v67, v7, v70
	v_cvt_f32_f16_e32 v71, v70
	v_lshrrev_b32_e32 v70, 16, v70
	s_delay_alu instid0(VALU_DEP_1) | instskip(NEXT) | instid1(VALU_DEP_1)
	v_cvt_f32_f16_e32 v70, v70
	v_add_f32_e32 v70, v71, v70
	s_delay_alu instid0(VALU_DEP_1) | instskip(SKIP_1) | instid1(VALU_DEP_1)
	v_fmac_f32_e32 v19, v70, v42
	v_pk_fma_f16 v70, v62, v4, 0
	v_pk_fma_f16 v70, v63, v5, v70
	s_delay_alu instid0(VALU_DEP_1) | instskip(NEXT) | instid1(VALU_DEP_1)
	v_pk_fma_f16 v70, v64, v6, v70
	v_pk_fma_f16 v70, v65, v7, v70
	s_delay_alu instid0(VALU_DEP_1) | instskip(SKIP_1) | instid1(VALU_DEP_1)
	v_cvt_f32_f16_e32 v71, v70
	v_lshrrev_b32_e32 v70, 16, v70
	v_cvt_f32_f16_e32 v70, v70
	s_delay_alu instid0(VALU_DEP_1) | instskip(NEXT) | instid1(VALU_DEP_1)
	v_add_f32_e32 v70, v71, v70
	v_fmac_f32_e32 v18, v70, v44
	v_pk_fma_f16 v70, v58, v4, 0
	v_pk_fma_f16 v4, v57, v4, 0
	s_delay_alu instid0(VALU_DEP_2) | instskip(NEXT) | instid1(VALU_DEP_2)
	v_pk_fma_f16 v70, v59, v5, v70
	v_pk_fma_f16 v4, v56, v5, v4
	s_delay_alu instid0(VALU_DEP_2) | instskip(NEXT) | instid1(VALU_DEP_2)
	;; [unrolled: 3-line block ×4, first 2 shown]
	v_cvt_f32_f16_e32 v71, v70
	v_cvt_f32_f16_e32 v5, v4
	v_lshrrev_b32_e32 v4, 16, v4
	v_lshrrev_b32_e32 v70, 16, v70
	s_delay_alu instid0(VALU_DEP_2) | instskip(NEXT) | instid1(VALU_DEP_2)
	v_cvt_f32_f16_e32 v4, v4
	v_cvt_f32_f16_e32 v70, v70
	s_delay_alu instid0(VALU_DEP_2) | instskip(NEXT) | instid1(VALU_DEP_2)
	v_add_f32_e32 v4, v5, v4
	v_add_f32_e32 v70, v71, v70
	s_delay_alu instid0(VALU_DEP_2) | instskip(SKIP_2) | instid1(VALU_DEP_3)
	v_fmac_f32_e32 v16, v4, v45
	v_mov_b32_e32 v4, s19
	s_add_i32 s19, s13, 0x638
	v_fmac_f32_e32 v17, v70, v43
	ds_load_2addr_b32 v[4:5], v4 offset1:1
	s_waitcnt lgkmcnt(0)
	v_pk_fma_f16 v6, v69, v4, 0
	s_delay_alu instid0(VALU_DEP_1)
	v_pk_fma_f16 v70, v68, v5, v6
	v_mov_b32_e32 v6, s19
	s_add_i32 s19, s13, 0x730
	ds_load_2addr_b32 v[6:7], v6 offset1:1
	s_waitcnt lgkmcnt(0)
	v_pk_fma_f16 v70, v66, v6, v70
	s_delay_alu instid0(VALU_DEP_1) | instskip(NEXT) | instid1(VALU_DEP_1)
	v_pk_fma_f16 v70, v67, v7, v70
	v_cvt_f32_f16_e32 v71, v70
	v_lshrrev_b32_e32 v70, 16, v70
	s_delay_alu instid0(VALU_DEP_1) | instskip(NEXT) | instid1(VALU_DEP_1)
	v_cvt_f32_f16_e32 v70, v70
	v_add_f32_e32 v70, v71, v70
	s_delay_alu instid0(VALU_DEP_1) | instskip(SKIP_1) | instid1(VALU_DEP_1)
	v_fmac_f32_e32 v15, v70, v42
	v_pk_fma_f16 v70, v62, v4, 0
	v_pk_fma_f16 v70, v63, v5, v70
	s_delay_alu instid0(VALU_DEP_1) | instskip(NEXT) | instid1(VALU_DEP_1)
	v_pk_fma_f16 v70, v64, v6, v70
	v_pk_fma_f16 v70, v65, v7, v70
	s_delay_alu instid0(VALU_DEP_1) | instskip(SKIP_1) | instid1(VALU_DEP_1)
	v_cvt_f32_f16_e32 v71, v70
	v_lshrrev_b32_e32 v70, 16, v70
	v_cvt_f32_f16_e32 v70, v70
	s_delay_alu instid0(VALU_DEP_1) | instskip(NEXT) | instid1(VALU_DEP_1)
	v_add_f32_e32 v70, v71, v70
	v_fmac_f32_e32 v14, v70, v44
	v_pk_fma_f16 v70, v58, v4, 0
	v_pk_fma_f16 v4, v57, v4, 0
	s_delay_alu instid0(VALU_DEP_2) | instskip(NEXT) | instid1(VALU_DEP_2)
	v_pk_fma_f16 v70, v59, v5, v70
	v_pk_fma_f16 v4, v56, v5, v4
	s_delay_alu instid0(VALU_DEP_2) | instskip(NEXT) | instid1(VALU_DEP_2)
	;; [unrolled: 3-line block ×4, first 2 shown]
	v_cvt_f32_f16_e32 v71, v70
	v_cvt_f32_f16_e32 v5, v4
	v_lshrrev_b32_e32 v4, 16, v4
	v_lshrrev_b32_e32 v70, 16, v70
	s_delay_alu instid0(VALU_DEP_2) | instskip(NEXT) | instid1(VALU_DEP_2)
	v_cvt_f32_f16_e32 v4, v4
	v_cvt_f32_f16_e32 v70, v70
	s_delay_alu instid0(VALU_DEP_2) | instskip(NEXT) | instid1(VALU_DEP_2)
	v_add_f32_e32 v4, v5, v4
	v_add_f32_e32 v70, v71, v70
	s_delay_alu instid0(VALU_DEP_2)
	v_fmac_f32_e32 v12, v4, v45
	v_mov_b32_e32 v4, s19
	s_add_i32 s19, s13, 0x738
	s_add_i32 s13, s13, 64
	s_cmp_ge_i32 s15, s20
	ds_load_2addr_b32 v[4:5], v4 offset1:1
	s_waitcnt lgkmcnt(0)
	v_pk_fma_f16 v6, v69, v4, 0
	v_pk_fma_f16 v62, v62, v4, 0
	;; [unrolled: 1-line block ×4, first 2 shown]
	s_delay_alu instid0(VALU_DEP_4)
	v_pk_fma_f16 v68, v68, v5, v6
	v_mov_b32_e32 v6, s19
	v_pk_fma_f16 v62, v63, v5, v62
	v_pk_fma_f16 v58, v59, v5, v58
	;; [unrolled: 1-line block ×3, first 2 shown]
	ds_load_2addr_b32 v[6:7], v6 offset1:1
	s_waitcnt lgkmcnt(0)
	v_pk_fma_f16 v66, v66, v6, v68
	v_pk_fma_f16 v62, v64, v6, v62
	;; [unrolled: 1-line block ×4, first 2 shown]
	s_delay_alu instid0(VALU_DEP_4) | instskip(NEXT) | instid1(VALU_DEP_4)
	v_pk_fma_f16 v66, v67, v7, v66
	v_pk_fma_f16 v62, v65, v7, v62
	s_delay_alu instid0(VALU_DEP_4) | instskip(NEXT) | instid1(VALU_DEP_4)
	v_pk_fma_f16 v58, v61, v7, v58
	v_pk_fma_f16 v4, v54, v7, v4
	s_delay_alu instid0(VALU_DEP_4)
	v_cvt_f32_f16_e32 v67, v66
	v_lshrrev_b32_e32 v66, 16, v66
	v_cvt_f32_f16_e32 v63, v62
	v_lshrrev_b32_e32 v62, 16, v62
	;; [unrolled: 2-line block ×4, first 2 shown]
	v_cvt_f32_f16_e32 v66, v66
	v_cvt_f32_f16_e32 v62, v62
	v_add_f32_e32 v73, v74, v73
	v_cvt_f32_f16_e32 v58, v58
	v_cvt_f32_f16_e32 v4, v4
	v_add_f32_e32 v66, v67, v66
	s_delay_alu instid0(VALU_DEP_4) | instskip(NEXT) | instid1(VALU_DEP_4)
	v_dual_add_f32 v62, v63, v62 :: v_dual_fmac_f32 v13, v73, v43
	v_add_f32_e32 v58, v59, v58
	s_delay_alu instid0(VALU_DEP_4) | instskip(NEXT) | instid1(VALU_DEP_4)
	v_add_f32_e32 v4, v5, v4
	v_fmac_f32_e32 v10, v66, v42
	s_delay_alu instid0(VALU_DEP_4) | instskip(SKIP_1) | instid1(VALU_DEP_4)
	v_fmac_f32_e32 v9, v62, v44
	v_fmac_f32_e32 v13, v70, v43
	v_dual_fmac_f32 v8, v58, v43 :: v_dual_fmac_f32 v11, v4, v45
	s_cbranch_scc1 .LBB45_24
.LBB45_22:                              ; =>This Inner Loop Header: Depth=1
	s_cmp_lg_u32 s15, s4
	s_cbranch_scc1 .LBB45_21
; %bb.23:                               ;   in Loop: Header=BB45_22 Depth=1
	s_add_i32 s18, s18, 1
	s_add_i32 s4, s4, s14
	s_mul_i32 s19, s18, s16
	s_delay_alu instid0(SALU_CYCLE_1) | instskip(SKIP_2) | instid1(SALU_CYCLE_1)
	s_ashr_i32 s21, s19, 31
	v_add_nc_u32_e32 v4, s19, v1
	s_lshr_b32 s21, s21, 29
	s_add_i32 s19, s19, s21
	s_delay_alu instid0(VALU_DEP_1) | instskip(SKIP_1) | instid1(SALU_CYCLE_1)
	v_ashrrev_i32_e32 v5, 31, v4
	s_ashr_i32 s19, s19, 3
	v_add_nc_u32_e32 v6, s19, v40
	s_delay_alu instid0(VALU_DEP_2) | instskip(NEXT) | instid1(VALU_DEP_2)
	v_lshlrev_b64 v[4:5], 1, v[4:5]
	v_ashrrev_i32_e32 v7, 31, v6
	s_delay_alu instid0(VALU_DEP_2) | instskip(NEXT) | instid1(VALU_DEP_2)
	v_add_co_u32 v4, vcc_lo, s8, v4
	v_lshlrev_b64 v[6:7], 2, v[6:7]
	s_delay_alu instid0(VALU_DEP_4) | instskip(NEXT) | instid1(VALU_DEP_2)
	v_add_co_ci_u32_e32 v5, vcc_lo, s9, v5, vcc_lo
	v_add_co_u32 v6, vcc_lo, s6, v6
	s_delay_alu instid0(VALU_DEP_3)
	v_add_co_ci_u32_e32 v7, vcc_lo, s7, v7, vcc_lo
	global_load_b64 v[4:5], v[4:5], off
	global_load_b32 v6, v[6:7], off
	s_waitcnt vmcnt(1)
	v_cvt_f32_f16_e32 v42, v4
	v_lshrrev_b32_e32 v4, 16, v4
	s_waitcnt vmcnt(0)
	v_bfe_u32 v7, v6, v0, 4
	v_lshrrev_b32_e32 v6, v0, v6
	v_lshrrev_b32_e32 v45, 16, v5
	v_cvt_f32_f16_e32 v43, v5
	v_cvt_f32_f16_e32 v44, v4
	v_add_nc_u32_e32 v4, v7, v41
	v_bfe_u32 v5, v6, 4, 4
	v_bfe_u32 v7, v6, 8, 4
	;; [unrolled: 1-line block ×3, first 2 shown]
	v_cvt_f32_f16_e32 v45, v45
	v_cvt_f32_ubyte0_e32 v46, v4
	v_or_b32_e32 v4, 0xffffe400, v4
	v_add_nc_u32_e32 v5, v5, v41
	v_add_nc_u32_e32 v7, v7, v41
	;; [unrolled: 1-line block ×3, first 2 shown]
	v_cvt_f16_f32_e32 v47, v46
	v_perm_b32 v46, v4, v4, 0x5040100
	v_or_b32_e32 v4, 0xffffe400, v5
	v_cvt_f32_ubyte0_e32 v5, v5
	v_or_b32_e32 v48, 0xffffe400, v7
	v_cvt_f32_ubyte0_e32 v7, v7
	v_cvt_f32_ubyte0_e32 v49, v6
	v_or_b32_e32 v6, 0xffffe400, v6
	v_cvt_f16_f32_e32 v5, v5
	v_sub_f16_e32 v50, 0xd400, v47
	v_cvt_f16_f32_e32 v7, v7
	v_cvt_f16_f32_e32 v51, v49
	v_perm_b32 v49, v4, v4, 0x5040100
	v_sub_f16_e32 v4, 0xd400, v5
	v_perm_b32 v47, v48, v48, 0x5040100
	v_sub_f16_e32 v5, 0xd400, v7
	v_sub_f16_e32 v7, 0xd400, v51
	v_perm_b32 v48, v6, v6, 0x5040100
	v_pack_b32_f16 v50, v50, v50
	v_pack_b32_f16 v53, v4, v4
	;; [unrolled: 1-line block ×4, first 2 shown]
	s_branch .LBB45_21
.LBB45_24:
	v_mad_u64_u32 v[2:3], null, s12, s16, v[1:2]
	v_cvt_f16_f32_e32 v5, v39
	s_mov_b32 s0, 0
	s_delay_alu instid0(VALU_DEP_2) | instskip(NEXT) | instid1(VALU_DEP_1)
	v_ashrrev_i32_e32 v3, 31, v2
	v_lshlrev_b64 v[0:1], 1, v[2:3]
	v_cvt_f16_f32_e32 v3, v38
	s_delay_alu instid0(VALU_DEP_1) | instskip(NEXT) | instid1(VALU_DEP_3)
	v_pack_b32_f16 v5, v3, v5
	v_add_co_u32 v0, vcc_lo, s10, v0
	s_delay_alu instid0(VALU_DEP_4)
	v_add_co_ci_u32_e32 v1, vcc_lo, s11, v1, vcc_lo
	global_load_b32 v4, v[0:1], off
.LBB45_25:                              ; =>This Inner Loop Header: Depth=1
	s_waitcnt vmcnt(0)
	v_pk_add_f16 v3, v5, v4
	global_atomic_cmpswap_b32 v3, v[0:1], v[3:4], off glc
	s_waitcnt vmcnt(0)
	v_cmp_eq_u32_e32 vcc_lo, v4, v3
	v_mov_b32_e32 v4, v3
	s_or_b32 s0, vcc_lo, s0
	s_delay_alu instid0(SALU_CYCLE_1)
	s_and_not1_b32 exec_lo, exec_lo, s0
	s_cbranch_execnz .LBB45_25
; %bb.26:
	s_or_b32 exec_lo, exec_lo, s0
	global_load_b32 v4, v[0:1], off offset:4
	v_cvt_f16_f32_e32 v3, v37
	v_cvt_f16_f32_e32 v5, v36
	s_mov_b32 s0, 0
	s_delay_alu instid0(VALU_DEP_1)
	v_pack_b32_f16 v5, v3, v5
.LBB45_27:                              ; =>This Inner Loop Header: Depth=1
	s_waitcnt vmcnt(0)
	s_delay_alu instid0(VALU_DEP_1)
	v_pk_add_f16 v3, v5, v4
	global_atomic_cmpswap_b32 v3, v[0:1], v[3:4], off offset:4 glc
	s_waitcnt vmcnt(0)
	v_cmp_eq_u32_e32 vcc_lo, v4, v3
	v_mov_b32_e32 v4, v3
	s_or_b32 s0, vcc_lo, s0
	s_delay_alu instid0(SALU_CYCLE_1)
	s_and_not1_b32 exec_lo, exec_lo, s0
	s_cbranch_execnz .LBB45_27
; %bb.28:
	s_or_b32 exec_lo, exec_lo, s0
	v_add_nc_u32_e32 v0, s16, v2
	v_cvt_f16_f32_e32 v3, v35
	v_cvt_f16_f32_e32 v5, v34
	s_mov_b32 s0, 0
	s_delay_alu instid0(VALU_DEP_3) | instskip(NEXT) | instid1(VALU_DEP_2)
	v_ashrrev_i32_e32 v1, 31, v0
	v_pack_b32_f16 v5, v3, v5
	s_delay_alu instid0(VALU_DEP_2) | instskip(NEXT) | instid1(VALU_DEP_1)
	v_lshlrev_b64 v[1:2], 1, v[0:1]
	v_add_co_u32 v1, vcc_lo, s10, v1
	s_delay_alu instid0(VALU_DEP_2)
	v_add_co_ci_u32_e32 v2, vcc_lo, s11, v2, vcc_lo
	global_load_b32 v4, v[1:2], off
.LBB45_29:                              ; =>This Inner Loop Header: Depth=1
	s_waitcnt vmcnt(0)
	v_pk_add_f16 v3, v5, v4
	global_atomic_cmpswap_b32 v3, v[1:2], v[3:4], off glc
	s_waitcnt vmcnt(0)
	v_cmp_eq_u32_e32 vcc_lo, v4, v3
	v_mov_b32_e32 v4, v3
	s_or_b32 s0, vcc_lo, s0
	s_delay_alu instid0(SALU_CYCLE_1)
	s_and_not1_b32 exec_lo, exec_lo, s0
	s_cbranch_execnz .LBB45_29
; %bb.30:
	s_or_b32 exec_lo, exec_lo, s0
	global_load_b32 v4, v[1:2], off offset:4
	v_cvt_f16_f32_e32 v3, v33
	v_cvt_f16_f32_e32 v5, v32
	s_mov_b32 s0, 0
	s_delay_alu instid0(VALU_DEP_1)
	v_pack_b32_f16 v5, v3, v5
.LBB45_31:                              ; =>This Inner Loop Header: Depth=1
	s_waitcnt vmcnt(0)
	s_delay_alu instid0(VALU_DEP_1)
	v_pk_add_f16 v3, v5, v4
	global_atomic_cmpswap_b32 v3, v[1:2], v[3:4], off offset:4 glc
	s_waitcnt vmcnt(0)
	v_cmp_eq_u32_e32 vcc_lo, v4, v3
	v_mov_b32_e32 v4, v3
	s_or_b32 s0, vcc_lo, s0
	s_delay_alu instid0(SALU_CYCLE_1)
	s_and_not1_b32 exec_lo, exec_lo, s0
	s_cbranch_execnz .LBB45_31
; %bb.32:
	s_or_b32 exec_lo, exec_lo, s0
	v_add_nc_u32_e32 v0, s16, v0
	v_cvt_f16_f32_e32 v3, v31
	v_cvt_f16_f32_e32 v5, v30
	s_mov_b32 s0, 0
	s_delay_alu instid0(VALU_DEP_3) | instskip(NEXT) | instid1(VALU_DEP_2)
	v_ashrrev_i32_e32 v1, 31, v0
	v_pack_b32_f16 v5, v3, v5
	s_delay_alu instid0(VALU_DEP_2) | instskip(NEXT) | instid1(VALU_DEP_1)
	v_lshlrev_b64 v[1:2], 1, v[0:1]
	v_add_co_u32 v1, vcc_lo, s10, v1
	s_delay_alu instid0(VALU_DEP_2)
	;; [unrolled: 46-line block ×7, first 2 shown]
	v_add_co_ci_u32_e32 v1, vcc_lo, s11, v1, vcc_lo
	global_load_b32 v3, v[0:1], off
.LBB45_53:                              ; =>This Inner Loop Header: Depth=1
	s_waitcnt vmcnt(0)
	v_pk_add_f16 v2, v4, v3
	global_atomic_cmpswap_b32 v2, v[0:1], v[2:3], off glc
	s_waitcnt vmcnt(0)
	v_cmp_eq_u32_e32 vcc_lo, v3, v2
	v_mov_b32_e32 v3, v2
	s_or_b32 s0, vcc_lo, s0
	s_delay_alu instid0(SALU_CYCLE_1)
	s_and_not1_b32 exec_lo, exec_lo, s0
	s_cbranch_execnz .LBB45_53
; %bb.54:
	s_or_b32 exec_lo, exec_lo, s0
	global_load_b32 v3, v[0:1], off offset:4
	v_cvt_f16_f32_e32 v2, v8
	v_cvt_f16_f32_e32 v4, v11
	s_mov_b32 s0, 0
	s_delay_alu instid0(VALU_DEP_1)
	v_pack_b32_f16 v4, v2, v4
.LBB45_55:                              ; =>This Inner Loop Header: Depth=1
	s_waitcnt vmcnt(0)
	s_delay_alu instid0(VALU_DEP_1)
	v_pk_add_f16 v2, v4, v3
	global_atomic_cmpswap_b32 v2, v[0:1], v[2:3], off offset:4 glc
	s_waitcnt vmcnt(0)
	v_cmp_eq_u32_e32 vcc_lo, v3, v2
	v_mov_b32_e32 v3, v2
	s_or_b32 s0, vcc_lo, s0
	s_delay_alu instid0(SALU_CYCLE_1)
	s_and_not1_b32 exec_lo, exec_lo, s0
	s_cbranch_execnz .LBB45_55
.LBB45_56:
	s_endpgm
	.section	.rodata,"a",@progbits
	.p2align	6, 0x0
	.amdhsa_kernel _ZN4vllm4gptq33gemm_half_q_half_gptq_4bit_kernelILb1ELi8EEEvPK6__halfPKjS6_S4_PS2_iiiibPKi
		.amdhsa_group_segment_fixed_size 2048
		.amdhsa_private_segment_fixed_size 0
		.amdhsa_kernarg_size 72
		.amdhsa_user_sgpr_count 13
		.amdhsa_user_sgpr_dispatch_ptr 0
		.amdhsa_user_sgpr_queue_ptr 0
		.amdhsa_user_sgpr_kernarg_segment_ptr 1
		.amdhsa_user_sgpr_dispatch_id 0
		.amdhsa_user_sgpr_private_segment_size 0
		.amdhsa_wavefront_size32 1
		.amdhsa_uses_dynamic_stack 0
		.amdhsa_enable_private_segment 0
		.amdhsa_system_sgpr_workgroup_id_x 1
		.amdhsa_system_sgpr_workgroup_id_y 1
		.amdhsa_system_sgpr_workgroup_id_z 1
		.amdhsa_system_sgpr_workgroup_info 0
		.amdhsa_system_vgpr_workitem_id 0
		.amdhsa_next_free_vgpr 75
		.amdhsa_next_free_sgpr 24
		.amdhsa_reserve_vcc 1
		.amdhsa_float_round_mode_32 0
		.amdhsa_float_round_mode_16_64 0
		.amdhsa_float_denorm_mode_32 3
		.amdhsa_float_denorm_mode_16_64 3
		.amdhsa_dx10_clamp 1
		.amdhsa_ieee_mode 1
		.amdhsa_fp16_overflow 0
		.amdhsa_workgroup_processor_mode 1
		.amdhsa_memory_ordered 1
		.amdhsa_forward_progress 0
		.amdhsa_shared_vgpr_count 0
		.amdhsa_exception_fp_ieee_invalid_op 0
		.amdhsa_exception_fp_denorm_src 0
		.amdhsa_exception_fp_ieee_div_zero 0
		.amdhsa_exception_fp_ieee_overflow 0
		.amdhsa_exception_fp_ieee_underflow 0
		.amdhsa_exception_fp_ieee_inexact 0
		.amdhsa_exception_int_div_zero 0
	.end_amdhsa_kernel
	.section	.text._ZN4vllm4gptq33gemm_half_q_half_gptq_4bit_kernelILb1ELi8EEEvPK6__halfPKjS6_S4_PS2_iiiibPKi,"axG",@progbits,_ZN4vllm4gptq33gemm_half_q_half_gptq_4bit_kernelILb1ELi8EEEvPK6__halfPKjS6_S4_PS2_iiiibPKi,comdat
.Lfunc_end45:
	.size	_ZN4vllm4gptq33gemm_half_q_half_gptq_4bit_kernelILb1ELi8EEEvPK6__halfPKjS6_S4_PS2_iiiibPKi, .Lfunc_end45-_ZN4vllm4gptq33gemm_half_q_half_gptq_4bit_kernelILb1ELi8EEEvPK6__halfPKjS6_S4_PS2_iiiibPKi
                                        ; -- End function
	.section	.AMDGPU.csdata,"",@progbits
; Kernel info:
; codeLenInByte = 15204
; NumSgprs: 26
; NumVgprs: 75
; ScratchSize: 0
; MemoryBound: 0
; FloatMode: 240
; IeeeMode: 1
; LDSByteSize: 2048 bytes/workgroup (compile time only)
; SGPRBlocks: 3
; VGPRBlocks: 9
; NumSGPRsForWavesPerEU: 26
; NumVGPRsForWavesPerEU: 75
; Occupancy: 16
; WaveLimiterHint : 0
; COMPUTE_PGM_RSRC2:SCRATCH_EN: 0
; COMPUTE_PGM_RSRC2:USER_SGPR: 13
; COMPUTE_PGM_RSRC2:TRAP_HANDLER: 0
; COMPUTE_PGM_RSRC2:TGID_X_EN: 1
; COMPUTE_PGM_RSRC2:TGID_Y_EN: 1
; COMPUTE_PGM_RSRC2:TGID_Z_EN: 1
; COMPUTE_PGM_RSRC2:TIDIG_COMP_CNT: 0
	.section	.text._ZN4vllm4gptq33gemm_half_q_half_gptq_8bit_kernelILb1ELi8EEEvPK6__halfPKjS6_S4_PS2_iiiibPKi,"axG",@progbits,_ZN4vllm4gptq33gemm_half_q_half_gptq_8bit_kernelILb1ELi8EEEvPK6__halfPKjS6_S4_PS2_iiiibPKi,comdat
	.protected	_ZN4vllm4gptq33gemm_half_q_half_gptq_8bit_kernelILb1ELi8EEEvPK6__halfPKjS6_S4_PS2_iiiibPKi ; -- Begin function _ZN4vllm4gptq33gemm_half_q_half_gptq_8bit_kernelILb1ELi8EEEvPK6__halfPKjS6_S4_PS2_iiiibPKi
	.globl	_ZN4vllm4gptq33gemm_half_q_half_gptq_8bit_kernelILb1ELi8EEEvPK6__halfPKjS6_S4_PS2_iiiibPKi
	.p2align	8
	.type	_ZN4vllm4gptq33gemm_half_q_half_gptq_8bit_kernelILb1ELi8EEEvPK6__halfPKjS6_S4_PS2_iiiibPKi,@function
_ZN4vllm4gptq33gemm_half_q_half_gptq_8bit_kernelILb1ELi8EEEvPK6__halfPKjS6_S4_PS2_iiiibPKi: ; @_ZN4vllm4gptq33gemm_half_q_half_gptq_8bit_kernelILb1ELi8EEEvPK6__halfPKjS6_S4_PS2_iiiibPKi
; %bb.0:
	s_load_b128 s[16:19], s[0:1], 0x2c
	s_lshl_b32 s15, s15, 7
	s_load_b256 s[4:11], s[0:1], 0x8
	s_add_i32 s2, s15, 0x80
	s_lshl_b32 s12, s14, 3
	v_cvt_f64_u32_e32 v[1:2], s2
	s_mov_b32 s14, exec_lo
	s_waitcnt lgkmcnt(0)
	v_cvt_f64_i32_e32 v[3:4], s17
	s_delay_alu instid0(VALU_DEP_1) | instskip(NEXT) | instid1(VALU_DEP_1)
	v_min_f64 v[1:2], v[1:2], v[3:4]
	v_cvt_i32_f64_e32 v2, v[1:2]
	v_add_nc_u32_e32 v1, s15, v0
	s_delay_alu instid0(VALU_DEP_2) | instskip(NEXT) | instid1(VALU_DEP_2)
	v_readfirstlane_b32 s20, v2
	v_cmpx_lt_u32_e64 v1, v2
	s_cbranch_execz .LBB46_18
; %bb.1:
	s_clause 0x1
	s_load_b64 s[2:3], s[0:1], 0x40
	s_load_b64 s[0:1], s[0:1], 0x0
	v_mov_b32_e32 v2, 0
	s_delay_alu instid0(VALU_DEP_1) | instskip(SKIP_2) | instid1(VALU_DEP_2)
	v_lshlrev_b64 v[3:4], 2, v[1:2]
	v_dual_mov_b32 v6, v2 :: v_dual_mov_b32 v5, v1
	s_waitcnt lgkmcnt(0)
	v_add_co_u32 v3, vcc_lo, s2, v3
	s_delay_alu instid0(VALU_DEP_3)
	v_add_co_ci_u32_e32 v4, vcc_lo, s3, v4, vcc_lo
	s_cmp_lg_u64 s[2:3], 0
	s_cselect_b32 s21, -1, 0
	s_cmp_eq_u64 s[2:3], 0
	s_cbranch_scc1 .LBB46_3
; %bb.2:
	global_load_b32 v5, v[3:4], off
	s_waitcnt vmcnt(0)
	v_ashrrev_i32_e32 v6, 31, v5
.LBB46_3:
	s_mul_i32 s2, s12, s17
	s_delay_alu instid0(VALU_DEP_1)
	v_lshlrev_b64 v[5:6], 1, v[5:6]
	s_ashr_i32 s3, s2, 31
	v_lshlrev_b32_e32 v7, 1, v0
	s_lshl_b64 s[22:23], s[2:3], 1
	v_cndmask_b32_e64 v8, 0, 1, s21
	s_add_u32 s3, s0, s22
	s_addc_u32 s22, s1, s23
	v_add_co_u32 v5, vcc_lo, s3, v5
	v_add_co_ci_u32_e32 v6, vcc_lo, s22, v6, vcc_lo
	s_and_not1_b32 vcc_lo, exec_lo, s21
	global_load_u16 v9, v[5:6], off
	v_dual_mov_b32 v6, v2 :: v_dual_mov_b32 v5, v1
	s_waitcnt vmcnt(0)
	ds_store_b16 v7, v9
	s_cbranch_vccnz .LBB46_5
; %bb.4:
	global_load_b32 v5, v[3:4], off
	s_waitcnt vmcnt(0)
	v_ashrrev_i32_e32 v6, 31, v5
.LBB46_5:
	s_add_i32 s2, s2, s17
	s_delay_alu instid0(VALU_DEP_1) | instskip(SKIP_1) | instid1(SALU_CYCLE_1)
	v_lshlrev_b64 v[5:6], 1, v[5:6]
	s_ashr_i32 s3, s2, 31
	s_lshl_b64 s[22:23], s[2:3], 1
	s_delay_alu instid0(SALU_CYCLE_1) | instskip(SKIP_1) | instid1(VALU_DEP_1)
	s_add_u32 s3, s0, s22
	s_addc_u32 s21, s1, s23
	v_add_co_u32 v5, vcc_lo, s3, v5
	v_add_co_ci_u32_e32 v6, vcc_lo, s21, v6, vcc_lo
	v_cmp_ne_u32_e32 vcc_lo, 1, v8
	global_load_u16 v9, v[5:6], off
	v_dual_mov_b32 v6, v2 :: v_dual_mov_b32 v5, v1
	s_waitcnt vmcnt(0)
	ds_store_b16 v7, v9 offset:256
	s_cbranch_vccnz .LBB46_7
; %bb.6:
	global_load_b32 v5, v[3:4], off
	s_waitcnt vmcnt(0)
	v_ashrrev_i32_e32 v6, 31, v5
.LBB46_7:
	s_add_i32 s2, s2, s17
	s_delay_alu instid0(VALU_DEP_1) | instskip(SKIP_1) | instid1(SALU_CYCLE_1)
	v_lshlrev_b64 v[5:6], 1, v[5:6]
	s_ashr_i32 s3, s2, 31
	s_lshl_b64 s[22:23], s[2:3], 1
	s_delay_alu instid0(SALU_CYCLE_1) | instskip(SKIP_1) | instid1(VALU_DEP_1)
	s_add_u32 s3, s0, s22
	s_addc_u32 s21, s1, s23
	v_add_co_u32 v5, vcc_lo, s3, v5
	v_add_co_ci_u32_e32 v6, vcc_lo, s21, v6, vcc_lo
	v_cmp_ne_u32_e32 vcc_lo, 1, v8
	global_load_u16 v9, v[5:6], off
	v_dual_mov_b32 v6, v2 :: v_dual_mov_b32 v5, v1
	s_waitcnt vmcnt(0)
	ds_store_b16 v7, v9 offset:512
	;; [unrolled: 21-line block ×5, first 2 shown]
	s_cbranch_vccnz .LBB46_15
; %bb.14:
	global_load_b32 v5, v[3:4], off
	s_waitcnt vmcnt(0)
	v_ashrrev_i32_e32 v6, 31, v5
.LBB46_15:
	s_add_i32 s2, s2, s17
	s_delay_alu instid0(VALU_DEP_1) | instskip(SKIP_1) | instid1(SALU_CYCLE_1)
	v_lshlrev_b64 v[5:6], 1, v[5:6]
	s_ashr_i32 s3, s2, 31
	s_lshl_b64 s[22:23], s[2:3], 1
	s_delay_alu instid0(SALU_CYCLE_1) | instskip(SKIP_1) | instid1(VALU_DEP_1)
	s_add_u32 s3, s0, s22
	s_addc_u32 s21, s1, s23
	v_add_co_u32 v5, vcc_lo, s3, v5
	v_add_co_ci_u32_e32 v6, vcc_lo, s21, v6, vcc_lo
	v_cmp_ne_u32_e32 vcc_lo, 1, v8
	global_load_u16 v5, v[5:6], off
	s_waitcnt vmcnt(0)
	ds_store_b16 v7, v5 offset:1536
	s_cbranch_vccnz .LBB46_17
; %bb.16:
	global_load_b32 v1, v[3:4], off
	s_waitcnt vmcnt(0)
	v_ashrrev_i32_e32 v2, 31, v1
.LBB46_17:
	s_add_i32 s2, s2, s17
	s_delay_alu instid0(VALU_DEP_1) | instskip(SKIP_1) | instid1(SALU_CYCLE_1)
	v_lshlrev_b64 v[1:2], 1, v[1:2]
	s_ashr_i32 s3, s2, 31
	s_lshl_b64 s[2:3], s[2:3], 1
	s_delay_alu instid0(SALU_CYCLE_1) | instskip(SKIP_1) | instid1(VALU_DEP_1)
	s_add_u32 s0, s0, s2
	s_addc_u32 s1, s1, s3
	v_add_co_u32 v1, vcc_lo, s0, v1
	v_add_co_ci_u32_e32 v2, vcc_lo, s1, v2, vcc_lo
	global_load_u16 v1, v[1:2], off
	s_waitcnt vmcnt(0)
	ds_store_b16 v7, v1 offset:1792
.LBB46_18:
	s_or_b32 exec_lo, exec_lo, s14
	v_lshlrev_b32_e32 v0, 2, v0
	s_mov_b32 s0, exec_lo
	s_delay_alu instid0(VALU_DEP_1) | instskip(NEXT) | instid1(VALU_DEP_1)
	v_lshl_add_u32 v16, s13, 9, v0
	v_cmpx_gt_i32_e64 s16, v16
	s_cbranch_execz .LBB46_56
; %bb.19:
	s_abs_i32 s0, s18
	v_dual_mov_b32 v50, 0 :: v_dual_mov_b32 v51, 0
	v_cvt_f32_u32_e32 v0, s0
	v_dual_mov_b32 v52, 0 :: v_dual_mov_b32 v79, 0
	v_dual_mov_b32 v54, 0 :: v_dual_mov_b32 v81, 0
	s_delay_alu instid0(VALU_DEP_3)
	v_rcp_iflag_f32_e32 v0, v0
	v_dual_mov_b32 v80, 0 :: v_dual_mov_b32 v75, 0
	v_dual_mov_b32 v82, 0 :: v_dual_mov_b32 v77, 0
	;; [unrolled: 1-line block ×4, first 2 shown]
	s_waitcnt_depctr 0xfff
	v_dual_mov_b32 v45, 0 :: v_dual_mul_f32 v0, 0x4f7ffffe, v0
	v_dual_mov_b32 v46, 0 :: v_dual_mov_b32 v43, 0
	v_dual_mov_b32 v48, 0 :: v_dual_mov_b32 v39, 0
	s_delay_alu instid0(VALU_DEP_3) | instskip(SKIP_3) | instid1(VALU_DEP_4)
	v_cvt_u32_f32_e32 v0, v0
	v_dual_mov_b32 v42, 0 :: v_dual_mov_b32 v41, 0
	v_dual_mov_b32 v44, 0 :: v_dual_mov_b32 v35, 0
	;; [unrolled: 1-line block ×3, first 2 shown]
	v_readfirstlane_b32 s1, v0
	v_dual_mov_b32 v40, 0 :: v_dual_mov_b32 v15, 0
	v_dual_mov_b32 v34, 0 :: v_dual_mov_b32 v21, 0
	v_mov_b32_e32 v36, 0
	v_mov_b32_e32 v14, 0
	;; [unrolled: 1-line block ×3, first 2 shown]
	s_cmp_ge_i32 s15, s20
	s_mov_b32 s2, 0
	s_waitcnt lgkmcnt(0)
	s_barrier
	buffer_gl0_inv
	s_cbranch_scc1 .LBB46_24
; %bb.20:
	s_sub_i32 s3, 0, s0
	s_abs_i32 s13, s17
	s_mul_i32 s3, s3, s1
	s_ashr_i32 s14, s18, 31
	s_mul_hi_u32 s3, s1, s3
	v_ashrrev_i32_e32 v22, 2, v16
	s_add_i32 s1, s1, s3
	s_ashr_i32 s3, s17, 31
	s_mul_hi_u32 s1, s13, s1
	s_xor_b32 s3, s3, s14
	s_mul_i32 s17, s1, s0
	s_add_i32 s14, s1, 1
	s_sub_i32 s13, s13, s17
	v_ashrrev_i32_e32 v17, 31, v16
	s_sub_i32 s17, s13, s0
	s_cmp_ge_u32 s13, s0
	v_dual_mov_b32 v20, 0 :: v_dual_mov_b32 v35, 0
	s_cselect_b32 s1, s14, s1
	s_cselect_b32 s13, s17, s13
	s_add_i32 s14, s1, 1
	s_cmp_ge_u32 s13, s0
	v_dual_mov_b32 v14, 0 :: v_dual_mov_b32 v41, 0
	s_cselect_b32 s0, s14, s1
	v_dual_mov_b32 v36, 0 :: v_dual_mov_b32 v39, 0
	s_xor_b32 s0, s0, s3
	v_dual_mov_b32 v34, 0 :: v_dual_mov_b32 v45, 0
	s_sub_i32 s3, s0, s3
	s_bitcmp1_b32 s19, 0
	v_cvt_f32_u32_e32 v0, s3
	s_cselect_b32 s1, -1, 0
	s_sub_i32 s13, 0, s3
	s_xor_b32 s14, s1, -1
	v_dual_mov_b32 v40, 0 :: v_dual_mov_b32 v43, 0
	v_rcp_iflag_f32_e32 v0, v0
	v_dual_mov_b32 v38, 0 :: v_dual_mov_b32 v49, 0
	v_dual_mov_b32 v44, 0 :: v_dual_mov_b32 v47, 0
	;; [unrolled: 1-line block ×4, first 2 shown]
	s_waitcnt_depctr 0xfff
	v_dual_mov_b32 v75, 0 :: v_dual_mul_f32 v0, 0x4f7ffffe, v0
	v_dual_mov_b32 v46, 0 :: v_dual_mov_b32 v81, 0
	v_dual_mov_b32 v78, 0 :: v_dual_mov_b32 v79, 0
	s_delay_alu instid0(VALU_DEP_3) | instskip(SKIP_3) | instid1(VALU_DEP_4)
	v_cvt_u32_f32_e32 v0, v0
	v_dual_mov_b32 v76, 0 :: v_dual_mov_b32 v51, 0
	v_mov_b32_e32 v82, 0
	v_mov_b32_e32 v80, 0
	v_readfirstlane_b32 s0, v0
	v_mov_b32_e32 v54, 0
	v_mov_b32_e32 v52, 0
	v_dual_mov_b32 v50, 0 :: v_dual_mov_b32 v15, 0
	s_delay_alu instid0(VALU_DEP_4) | instskip(SKIP_2) | instid1(SALU_CYCLE_1)
	s_mul_i32 s13, s13, s0
	v_mov_b32_e32 v37, 0
	s_mul_hi_u32 s13, s0, s13
	s_add_i32 s0, s0, s13
	s_delay_alu instid0(SALU_CYCLE_1) | instskip(NEXT) | instid1(SALU_CYCLE_1)
	s_mul_hi_u32 s0, s15, s0
	s_mul_i32 s13, s0, s3
	s_delay_alu instid0(SALU_CYCLE_1)
	s_sub_i32 s1, s15, s13
	s_add_i32 s13, s0, 1
	s_sub_i32 s17, s1, s3
	s_cmp_ge_u32 s1, s3
	s_cselect_b32 s0, s13, s0
	s_cselect_b32 s1, s17, s1
	s_add_i32 s13, s0, 1
	s_cmp_ge_u32 s1, s3
	s_cselect_b32 s13, s13, s0
	s_delay_alu instid0(SALU_CYCLE_1) | instskip(NEXT) | instid1(SALU_CYCLE_1)
	s_mul_i32 s0, s13, s16
	s_ashr_i32 s1, s0, 31
	v_add_nc_u32_e32 v0, s0, v16
	s_lshr_b32 s1, s1, 30
	s_delay_alu instid0(SALU_CYCLE_1) | instskip(NEXT) | instid1(SALU_CYCLE_1)
	s_add_i32 s0, s0, s1
	s_ashr_i32 s0, s0, 2
	s_delay_alu instid0(VALU_DEP_1) | instskip(SKIP_2) | instid1(SALU_CYCLE_1)
	v_ashrrev_i32_e32 v1, 31, v0
	v_add_nc_u32_e32 v2, s0, v22
	s_lshr_b32 s0, s15, 2
	s_mul_i32 s0, s0, s16
	s_delay_alu instid0(VALU_DEP_2) | instskip(NEXT) | instid1(VALU_DEP_2)
	v_lshlrev_b64 v[0:1], 1, v[0:1]
	v_ashrrev_i32_e32 v3, 31, v2
	s_ashr_i32 s1, s0, 31
	s_delay_alu instid0(SALU_CYCLE_1) | instskip(NEXT) | instid1(VALU_DEP_1)
	s_lshl_b64 s[0:1], s[0:1], 2
	v_lshlrev_b64 v[2:3], 2, v[2:3]
	s_delay_alu instid0(VALU_DEP_3) | instskip(SKIP_2) | instid1(VALU_DEP_3)
	v_add_co_u32 v0, vcc_lo, s8, v0
	v_add_co_ci_u32_e32 v1, vcc_lo, s9, v1, vcc_lo
	s_add_u32 s0, s4, s0
	v_add_co_u32 v2, vcc_lo, s6, v2
	s_delay_alu instid0(VALU_DEP_4)
	v_add_co_ci_u32_e32 v3, vcc_lo, s7, v3, vcc_lo
	global_load_b64 v[18:19], v[0:1], off
	global_load_b32 v2, v[2:3], off
	v_lshlrev_b64 v[0:1], 2, v[16:17]
	s_addc_u32 s1, s5, s1
	v_cndmask_b32_e64 v17, 0, 1, s14
	s_ashr_i32 s17, s16, 31
	s_add_i32 s4, s3, s15
	s_delay_alu instid0(VALU_DEP_2)
	v_add_co_u32 v0, vcc_lo, s0, v0
	v_add_co_ci_u32_e32 v1, vcc_lo, s1, v1, vcc_lo
	s_lshl_b64 s[0:1], s[16:17], 2
	s_waitcnt vmcnt(1)
	v_lshrrev_b32_e32 v26, 16, v19
	v_lshrrev_b32_e32 v23, 16, v18
	s_waitcnt vmcnt(0)
	v_and_b32_e32 v24, 0xff, v2
	v_bfe_u32 v25, v2, 8, 8
	v_bfe_u32 v27, v2, 16, 8
	v_lshrrev_b32_e32 v28, 24, v2
	s_branch .LBB46_22
.LBB46_21:                              ;   in Loop: Header=BB46_22 Depth=1
	global_load_b128 v[2:5], v[0:1], off
	v_add_co_u32 v12, vcc_lo, v0, s0
	v_add_co_ci_u32_e32 v13, vcc_lo, s1, v1, vcc_lo
	v_add_nc_u32_e32 v33, v24, v17
	v_dual_mov_b32 v29, s2 :: v_dual_add_nc_u32 v32, v25, v17
	global_load_b128 v[6:9], v[12:13], off
	v_add_nc_u32_e32 v31, v27, v17
	v_add_nc_u32_e32 v30, v28, v17
	v_add_co_u32 v12, vcc_lo, v12, s0
	v_add_co_ci_u32_e32 v13, vcc_lo, s1, v13, vcc_lo
	s_add_i32 s15, s15, 32
	s_add_i32 s2, s2, 64
	s_cmp_ge_i32 s15, s20
	s_waitcnt vmcnt(1)
	v_and_b32_e32 v0, 0xff, v2
	s_delay_alu instid0(VALU_DEP_1) | instskip(NEXT) | instid1(VALU_DEP_1)
	v_sub_nc_u32_e32 v0, v0, v33
	v_cvt_f32_i32_e32 v0, v0
	s_delay_alu instid0(VALU_DEP_1) | instskip(SKIP_1) | instid1(VALU_DEP_1)
	v_cvt_f16_f32_e32 v53, v0
	v_bfe_u32 v0, v2, 8, 8
	v_sub_nc_u32_e32 v0, v0, v33
	s_delay_alu instid0(VALU_DEP_1) | instskip(NEXT) | instid1(VALU_DEP_1)
	v_cvt_f32_i32_e32 v0, v0
	v_cvt_f16_f32_e32 v55, v0
	v_bfe_u32 v0, v2, 16, 8
	s_delay_alu instid0(VALU_DEP_1) | instskip(NEXT) | instid1(VALU_DEP_1)
	v_sub_nc_u32_e32 v0, v0, v33
	v_cvt_f32_i32_e32 v0, v0
	s_delay_alu instid0(VALU_DEP_1) | instskip(SKIP_1) | instid1(VALU_DEP_1)
	v_cvt_f16_f32_e32 v56, v0
	v_lshrrev_b32_e32 v0, 24, v2
	v_sub_nc_u32_e32 v0, v0, v33
	s_delay_alu instid0(VALU_DEP_1) | instskip(NEXT) | instid1(VALU_DEP_1)
	v_cvt_f32_i32_e32 v0, v0
	v_cvt_f16_f32_e32 v57, v0
	s_waitcnt vmcnt(0)
	v_and_b32_e32 v0, 0xff, v6
	s_delay_alu instid0(VALU_DEP_1) | instskip(NEXT) | instid1(VALU_DEP_1)
	v_sub_nc_u32_e32 v0, v0, v33
	v_cvt_f32_i32_e32 v0, v0
	s_delay_alu instid0(VALU_DEP_1) | instskip(SKIP_1) | instid1(VALU_DEP_1)
	v_cvt_f16_f32_e32 v58, v0
	v_bfe_u32 v0, v6, 8, 8
	v_sub_nc_u32_e32 v0, v0, v33
	s_delay_alu instid0(VALU_DEP_1) | instskip(NEXT) | instid1(VALU_DEP_1)
	v_cvt_f32_i32_e32 v0, v0
	v_cvt_f16_f32_e32 v59, v0
	v_bfe_u32 v0, v6, 16, 8
	s_delay_alu instid0(VALU_DEP_1) | instskip(NEXT) | instid1(VALU_DEP_1)
	v_sub_nc_u32_e32 v0, v0, v33
	v_cvt_f32_i32_e32 v0, v0
	s_delay_alu instid0(VALU_DEP_1) | instskip(SKIP_1) | instid1(VALU_DEP_1)
	v_cvt_f16_f32_e32 v60, v0
	v_lshrrev_b32_e32 v0, 24, v6
	v_sub_nc_u32_e32 v0, v0, v33
	s_delay_alu instid0(VALU_DEP_1) | instskip(NEXT) | instid1(VALU_DEP_1)
	v_cvt_f32_i32_e32 v0, v0
	v_cvt_f16_f32_e32 v61, v0
	v_and_b32_e32 v0, 0xff, v3
	s_delay_alu instid0(VALU_DEP_1) | instskip(NEXT) | instid1(VALU_DEP_1)
	v_sub_nc_u32_e32 v0, v0, v32
	v_cvt_f32_i32_e32 v0, v0
	s_delay_alu instid0(VALU_DEP_1) | instskip(SKIP_1) | instid1(VALU_DEP_1)
	v_cvt_f16_f32_e32 v62, v0
	v_bfe_u32 v0, v3, 8, 8
	v_sub_nc_u32_e32 v0, v0, v32
	s_delay_alu instid0(VALU_DEP_1) | instskip(NEXT) | instid1(VALU_DEP_1)
	v_cvt_f32_i32_e32 v0, v0
	v_cvt_f16_f32_e32 v63, v0
	v_bfe_u32 v0, v3, 16, 8
	s_delay_alu instid0(VALU_DEP_1) | instskip(NEXT) | instid1(VALU_DEP_1)
	v_sub_nc_u32_e32 v0, v0, v32
	v_cvt_f32_i32_e32 v0, v0
	s_delay_alu instid0(VALU_DEP_1) | instskip(SKIP_1) | instid1(VALU_DEP_1)
	v_cvt_f16_f32_e32 v64, v0
	v_lshrrev_b32_e32 v0, 24, v3
	v_sub_nc_u32_e32 v0, v0, v32
	s_delay_alu instid0(VALU_DEP_1) | instskip(NEXT) | instid1(VALU_DEP_1)
	v_cvt_f32_i32_e32 v0, v0
	v_cvt_f16_f32_e32 v65, v0
	;; [unrolled: 22-line block ×7, first 2 shown]
	ds_load_b128 v[70:73], v29
	ds_load_b128 v[8:11], v29 offset:16
	ds_load_b128 v[4:7], v29 offset:32
	;; [unrolled: 1-line block ×4, first 2 shown]
	s_waitcnt lgkmcnt(4)
	v_fma_mix_f32 v74, v53, v70, 0 op_sel_hi:[1,1,0]
	s_delay_alu instid0(VALU_DEP_1) | instskip(NEXT) | instid1(VALU_DEP_1)
	v_fma_mix_f32 v74, v55, v70, v74 op_sel:[0,1,0] op_sel_hi:[1,1,0]
	v_fma_mix_f32 v74, v56, v71, v74 op_sel_hi:[1,1,0]
	s_delay_alu instid0(VALU_DEP_1) | instskip(NEXT) | instid1(VALU_DEP_1)
	v_fma_mix_f32 v74, v57, v71, v74 op_sel:[0,1,0] op_sel_hi:[1,1,0]
	;; [unrolled: 3-line block ×4, first 2 shown]
	v_fma_mixlo_f16 v74, v74, v18, 0 op_sel_hi:[0,1,0]
	s_delay_alu instid0(VALU_DEP_1) | instskip(SKIP_1) | instid1(VALU_DEP_1)
	v_add_f16_e32 v117, v21, v74
	v_fma_mix_f32 v21, v62, v70, 0 op_sel_hi:[1,1,0]
	v_fma_mix_f32 v21, v63, v70, v21 op_sel:[0,1,0] op_sel_hi:[1,1,0]
	s_delay_alu instid0(VALU_DEP_1) | instskip(NEXT) | instid1(VALU_DEP_1)
	v_fma_mix_f32 v21, v64, v71, v21 op_sel_hi:[1,1,0]
	v_fma_mix_f32 v21, v65, v71, v21 op_sel:[0,1,0] op_sel_hi:[1,1,0]
	s_delay_alu instid0(VALU_DEP_1) | instskip(NEXT) | instid1(VALU_DEP_1)
	;; [unrolled: 3-line block ×4, first 2 shown]
	v_fma_mixlo_f16 v21, v21, v23, 0 op_sel_hi:[0,1,0]
	v_add_f16_e32 v118, v20, v21
	v_fma_mix_f32 v20, v101, v70, 0 op_sel_hi:[1,1,0]
	s_delay_alu instid0(VALU_DEP_1) | instskip(NEXT) | instid1(VALU_DEP_1)
	v_fma_mix_f32 v20, v102, v70, v20 op_sel:[0,1,0] op_sel_hi:[1,1,0]
	v_fma_mix_f32 v20, v103, v71, v20 op_sel_hi:[1,1,0]
	s_delay_alu instid0(VALU_DEP_1) | instskip(NEXT) | instid1(VALU_DEP_1)
	v_fma_mix_f32 v20, v104, v71, v20 op_sel:[0,1,0] op_sel_hi:[1,1,0]
	;; [unrolled: 3-line block ×4, first 2 shown]
	v_fma_mixlo_f16 v20, v20, v19, 0 op_sel_hi:[0,1,0]
	s_delay_alu instid0(VALU_DEP_1) | instskip(SKIP_1) | instid1(VALU_DEP_1)
	v_add_f16_e32 v119, v15, v20
	v_fma_mix_f32 v15, v109, v70, 0 op_sel_hi:[1,1,0]
	v_fma_mix_f32 v15, v110, v70, v15 op_sel:[0,1,0] op_sel_hi:[1,1,0]
	s_delay_alu instid0(VALU_DEP_1) | instskip(NEXT) | instid1(VALU_DEP_1)
	v_fma_mix_f32 v15, v111, v71, v15 op_sel_hi:[1,1,0]
	v_fma_mix_f32 v15, v112, v71, v15 op_sel:[0,1,0] op_sel_hi:[1,1,0]
	s_delay_alu instid0(VALU_DEP_1) | instskip(NEXT) | instid1(VALU_DEP_1)
	;; [unrolled: 3-line block ×4, first 2 shown]
	v_fma_mixlo_f16 v15, v15, v26, 0 op_sel_hi:[0,1,0]
	v_add_f16_e32 v120, v14, v15
	s_waitcnt lgkmcnt(0)
	v_fma_mix_f32 v14, v53, v83, 0 op_sel_hi:[1,1,0]
	s_delay_alu instid0(VALU_DEP_1) | instskip(NEXT) | instid1(VALU_DEP_1)
	v_fma_mix_f32 v14, v55, v83, v14 op_sel:[0,1,0] op_sel_hi:[1,1,0]
	v_fma_mix_f32 v14, v56, v84, v14 op_sel_hi:[1,1,0]
	s_delay_alu instid0(VALU_DEP_1) | instskip(NEXT) | instid1(VALU_DEP_1)
	v_fma_mix_f32 v14, v57, v84, v14 op_sel:[0,1,0] op_sel_hi:[1,1,0]
	;; [unrolled: 3-line block ×4, first 2 shown]
	v_fma_mixlo_f16 v14, v14, v18, 0 op_sel_hi:[0,1,0]
	s_delay_alu instid0(VALU_DEP_1) | instskip(SKIP_1) | instid1(VALU_DEP_1)
	v_add_f16_e32 v70, v37, v14
	v_fma_mix_f32 v14, v62, v83, 0 op_sel_hi:[1,1,0]
	v_fma_mix_f32 v14, v63, v83, v14 op_sel:[0,1,0] op_sel_hi:[1,1,0]
	s_delay_alu instid0(VALU_DEP_1) | instskip(NEXT) | instid1(VALU_DEP_1)
	v_fma_mix_f32 v14, v64, v84, v14 op_sel_hi:[1,1,0]
	v_fma_mix_f32 v14, v65, v84, v14 op_sel:[0,1,0] op_sel_hi:[1,1,0]
	s_delay_alu instid0(VALU_DEP_1) | instskip(NEXT) | instid1(VALU_DEP_1)
	;; [unrolled: 3-line block ×4, first 2 shown]
	v_fma_mixlo_f16 v14, v14, v23, 0 op_sel_hi:[0,1,0]
	v_add_f16_e32 v71, v36, v14
	v_fma_mix_f32 v14, v101, v83, 0 op_sel_hi:[1,1,0]
	s_delay_alu instid0(VALU_DEP_1) | instskip(NEXT) | instid1(VALU_DEP_1)
	v_fma_mix_f32 v14, v102, v83, v14 op_sel:[0,1,0] op_sel_hi:[1,1,0]
	v_fma_mix_f32 v14, v103, v84, v14 op_sel_hi:[1,1,0]
	s_delay_alu instid0(VALU_DEP_1) | instskip(NEXT) | instid1(VALU_DEP_1)
	v_fma_mix_f32 v14, v104, v84, v14 op_sel:[0,1,0] op_sel_hi:[1,1,0]
	;; [unrolled: 3-line block ×4, first 2 shown]
	v_fma_mixlo_f16 v14, v14, v19, 0 op_sel_hi:[0,1,0]
	s_delay_alu instid0(VALU_DEP_1) | instskip(SKIP_1) | instid1(VALU_DEP_1)
	v_add_f16_e32 v72, v35, v14
	v_fma_mix_f32 v14, v109, v83, 0 op_sel_hi:[1,1,0]
	v_fma_mix_f32 v14, v110, v83, v14 op_sel:[0,1,0] op_sel_hi:[1,1,0]
	s_delay_alu instid0(VALU_DEP_1) | instskip(NEXT) | instid1(VALU_DEP_1)
	v_fma_mix_f32 v14, v111, v84, v14 op_sel_hi:[1,1,0]
	v_fma_mix_f32 v14, v112, v84, v14 op_sel:[0,1,0] op_sel_hi:[1,1,0]
	s_delay_alu instid0(VALU_DEP_1) | instskip(NEXT) | instid1(VALU_DEP_1)
	;; [unrolled: 3-line block ×4, first 2 shown]
	v_fma_mixlo_f16 v14, v14, v26, 0 op_sel_hi:[0,1,0]
	v_add_f16_e32 v73, v34, v14
	ds_load_b128 v[34:37], v29 offset:512
	s_waitcnt lgkmcnt(0)
	v_fma_mix_f32 v14, v53, v34, 0 op_sel_hi:[1,1,0]
	s_delay_alu instid0(VALU_DEP_1) | instskip(NEXT) | instid1(VALU_DEP_1)
	v_fma_mix_f32 v14, v55, v34, v14 op_sel:[0,1,0] op_sel_hi:[1,1,0]
	v_fma_mix_f32 v14, v56, v35, v14 op_sel_hi:[1,1,0]
	s_delay_alu instid0(VALU_DEP_1) | instskip(NEXT) | instid1(VALU_DEP_1)
	v_fma_mix_f32 v14, v57, v35, v14 op_sel:[0,1,0] op_sel_hi:[1,1,0]
	;; [unrolled: 3-line block ×4, first 2 shown]
	v_fma_mixlo_f16 v14, v14, v18, 0 op_sel_hi:[0,1,0]
	s_delay_alu instid0(VALU_DEP_1) | instskip(SKIP_1) | instid1(VALU_DEP_1)
	v_add_f16_e32 v74, v41, v14
	v_fma_mix_f32 v14, v62, v34, 0 op_sel_hi:[1,1,0]
	v_fma_mix_f32 v14, v63, v34, v14 op_sel:[0,1,0] op_sel_hi:[1,1,0]
	s_delay_alu instid0(VALU_DEP_1) | instskip(NEXT) | instid1(VALU_DEP_1)
	v_fma_mix_f32 v14, v64, v35, v14 op_sel_hi:[1,1,0]
	v_fma_mix_f32 v14, v65, v35, v14 op_sel:[0,1,0] op_sel_hi:[1,1,0]
	s_delay_alu instid0(VALU_DEP_1) | instskip(NEXT) | instid1(VALU_DEP_1)
	;; [unrolled: 3-line block ×4, first 2 shown]
	v_fma_mixlo_f16 v14, v14, v23, 0 op_sel_hi:[0,1,0]
	v_add_f16_e32 v98, v40, v14
	v_fma_mix_f32 v14, v101, v34, 0 op_sel_hi:[1,1,0]
	s_delay_alu instid0(VALU_DEP_1) | instskip(NEXT) | instid1(VALU_DEP_1)
	v_fma_mix_f32 v14, v102, v34, v14 op_sel:[0,1,0] op_sel_hi:[1,1,0]
	v_fma_mix_f32 v14, v103, v35, v14 op_sel_hi:[1,1,0]
	s_delay_alu instid0(VALU_DEP_1) | instskip(NEXT) | instid1(VALU_DEP_1)
	v_fma_mix_f32 v14, v104, v35, v14 op_sel:[0,1,0] op_sel_hi:[1,1,0]
	;; [unrolled: 3-line block ×4, first 2 shown]
	v_fma_mixlo_f16 v14, v14, v19, 0 op_sel_hi:[0,1,0]
	s_delay_alu instid0(VALU_DEP_1) | instskip(SKIP_1) | instid1(VALU_DEP_1)
	v_add_f16_e32 v99, v39, v14
	v_fma_mix_f32 v14, v109, v34, 0 op_sel_hi:[1,1,0]
	v_fma_mix_f32 v14, v110, v34, v14 op_sel:[0,1,0] op_sel_hi:[1,1,0]
	s_delay_alu instid0(VALU_DEP_1) | instskip(NEXT) | instid1(VALU_DEP_1)
	v_fma_mix_f32 v14, v111, v35, v14 op_sel_hi:[1,1,0]
	v_fma_mix_f32 v14, v112, v35, v14 op_sel:[0,1,0] op_sel_hi:[1,1,0]
	s_delay_alu instid0(VALU_DEP_1) | instskip(NEXT) | instid1(VALU_DEP_1)
	;; [unrolled: 3-line block ×3, first 2 shown]
	v_fma_mix_f32 v14, v115, v37, v14 op_sel_hi:[1,1,0]
	v_fma_mix_f32 v14, v116, v37, v14 op_sel:[0,1,0] op_sel_hi:[1,1,0]
	ds_load_b128 v[34:37], v29 offset:768
	v_fma_mixlo_f16 v14, v14, v26, 0 op_sel_hi:[0,1,0]
	s_delay_alu instid0(VALU_DEP_1) | instskip(SKIP_2) | instid1(VALU_DEP_1)
	v_add_f16_e32 v100, v38, v14
	s_waitcnt lgkmcnt(0)
	v_fma_mix_f32 v14, v53, v34, 0 op_sel_hi:[1,1,0]
	v_fma_mix_f32 v14, v55, v34, v14 op_sel:[0,1,0] op_sel_hi:[1,1,0]
	s_delay_alu instid0(VALU_DEP_1) | instskip(NEXT) | instid1(VALU_DEP_1)
	v_fma_mix_f32 v14, v56, v35, v14 op_sel_hi:[1,1,0]
	v_fma_mix_f32 v14, v57, v35, v14 op_sel:[0,1,0] op_sel_hi:[1,1,0]
	s_delay_alu instid0(VALU_DEP_1) | instskip(NEXT) | instid1(VALU_DEP_1)
	;; [unrolled: 3-line block ×4, first 2 shown]
	v_fma_mixlo_f16 v14, v14, v18, 0 op_sel_hi:[0,1,0]
	v_add_f16_e32 v94, v45, v14
	v_fma_mix_f32 v14, v62, v34, 0 op_sel_hi:[1,1,0]
	s_delay_alu instid0(VALU_DEP_1) | instskip(NEXT) | instid1(VALU_DEP_1)
	v_fma_mix_f32 v14, v63, v34, v14 op_sel:[0,1,0] op_sel_hi:[1,1,0]
	v_fma_mix_f32 v14, v64, v35, v14 op_sel_hi:[1,1,0]
	s_delay_alu instid0(VALU_DEP_1) | instskip(NEXT) | instid1(VALU_DEP_1)
	v_fma_mix_f32 v14, v65, v35, v14 op_sel:[0,1,0] op_sel_hi:[1,1,0]
	;; [unrolled: 3-line block ×4, first 2 shown]
	v_fma_mixlo_f16 v14, v14, v23, 0 op_sel_hi:[0,1,0]
	s_delay_alu instid0(VALU_DEP_1) | instskip(SKIP_1) | instid1(VALU_DEP_1)
	v_add_f16_e32 v95, v44, v14
	v_fma_mix_f32 v14, v101, v34, 0 op_sel_hi:[1,1,0]
	v_fma_mix_f32 v14, v102, v34, v14 op_sel:[0,1,0] op_sel_hi:[1,1,0]
	s_delay_alu instid0(VALU_DEP_1) | instskip(NEXT) | instid1(VALU_DEP_1)
	v_fma_mix_f32 v14, v103, v35, v14 op_sel_hi:[1,1,0]
	v_fma_mix_f32 v14, v104, v35, v14 op_sel:[0,1,0] op_sel_hi:[1,1,0]
	s_delay_alu instid0(VALU_DEP_1) | instskip(NEXT) | instid1(VALU_DEP_1)
	;; [unrolled: 3-line block ×4, first 2 shown]
	v_fma_mixlo_f16 v14, v14, v19, 0 op_sel_hi:[0,1,0]
	v_add_f16_e32 v96, v43, v14
	v_fma_mix_f32 v14, v109, v34, 0 op_sel_hi:[1,1,0]
	s_delay_alu instid0(VALU_DEP_1) | instskip(NEXT) | instid1(VALU_DEP_1)
	v_fma_mix_f32 v14, v110, v34, v14 op_sel:[0,1,0] op_sel_hi:[1,1,0]
	v_fma_mix_f32 v14, v111, v35, v14 op_sel_hi:[1,1,0]
	s_delay_alu instid0(VALU_DEP_1) | instskip(NEXT) | instid1(VALU_DEP_1)
	v_fma_mix_f32 v14, v112, v35, v14 op_sel:[0,1,0] op_sel_hi:[1,1,0]
	;; [unrolled: 3-line block ×3, first 2 shown]
	v_fma_mix_f32 v14, v115, v37, v14 op_sel_hi:[1,1,0]
	s_delay_alu instid0(VALU_DEP_1) | instskip(SKIP_2) | instid1(VALU_DEP_1)
	v_fma_mix_f32 v14, v116, v37, v14 op_sel:[0,1,0] op_sel_hi:[1,1,0]
	ds_load_b128 v[34:37], v29 offset:1024
	v_fma_mixlo_f16 v14, v14, v26, 0 op_sel_hi:[0,1,0]
	v_add_f16_e32 v97, v42, v14
	s_waitcnt lgkmcnt(0)
	v_fma_mix_f32 v14, v53, v34, 0 op_sel_hi:[1,1,0]
	s_delay_alu instid0(VALU_DEP_1) | instskip(NEXT) | instid1(VALU_DEP_1)
	v_fma_mix_f32 v14, v55, v34, v14 op_sel:[0,1,0] op_sel_hi:[1,1,0]
	v_fma_mix_f32 v14, v56, v35, v14 op_sel_hi:[1,1,0]
	s_delay_alu instid0(VALU_DEP_1) | instskip(NEXT) | instid1(VALU_DEP_1)
	v_fma_mix_f32 v14, v57, v35, v14 op_sel:[0,1,0] op_sel_hi:[1,1,0]
	;; [unrolled: 3-line block ×4, first 2 shown]
	v_fma_mixlo_f16 v14, v14, v18, 0 op_sel_hi:[0,1,0]
	s_delay_alu instid0(VALU_DEP_1) | instskip(SKIP_1) | instid1(VALU_DEP_1)
	v_add_f16_e32 v86, v49, v14
	v_fma_mix_f32 v14, v62, v34, 0 op_sel_hi:[1,1,0]
	v_fma_mix_f32 v14, v63, v34, v14 op_sel:[0,1,0] op_sel_hi:[1,1,0]
	s_delay_alu instid0(VALU_DEP_1) | instskip(NEXT) | instid1(VALU_DEP_1)
	v_fma_mix_f32 v14, v64, v35, v14 op_sel_hi:[1,1,0]
	v_fma_mix_f32 v14, v65, v35, v14 op_sel:[0,1,0] op_sel_hi:[1,1,0]
	s_delay_alu instid0(VALU_DEP_1) | instskip(NEXT) | instid1(VALU_DEP_1)
	;; [unrolled: 3-line block ×4, first 2 shown]
	v_fma_mixlo_f16 v14, v14, v23, 0 op_sel_hi:[0,1,0]
	v_add_f16_e32 v87, v48, v14
	v_fma_mix_f32 v14, v101, v34, 0 op_sel_hi:[1,1,0]
	s_delay_alu instid0(VALU_DEP_1) | instskip(NEXT) | instid1(VALU_DEP_1)
	v_fma_mix_f32 v14, v102, v34, v14 op_sel:[0,1,0] op_sel_hi:[1,1,0]
	v_fma_mix_f32 v14, v103, v35, v14 op_sel_hi:[1,1,0]
	s_delay_alu instid0(VALU_DEP_1) | instskip(NEXT) | instid1(VALU_DEP_1)
	v_fma_mix_f32 v14, v104, v35, v14 op_sel:[0,1,0] op_sel_hi:[1,1,0]
	v_fma_mix_f32 v14, v105, v36, v14 op_sel_hi:[1,1,0]
	s_delay_alu instid0(VALU_DEP_1) | instskip(NEXT) | instid1(VALU_DEP_1)
	v_fma_mix_f32 v14, v106, v36, v14 op_sel:[0,1,0] op_sel_hi:[1,1,0]
	v_fma_mix_f32 v14, v107, v37, v14 op_sel_hi:[1,1,0]
	s_delay_alu instid0(VALU_DEP_1) | instskip(NEXT) | instid1(VALU_DEP_1)
	v_fma_mix_f32 v14, v108, v37, v14 op_sel:[0,1,0] op_sel_hi:[1,1,0]
	v_fma_mixlo_f16 v14, v14, v19, 0 op_sel_hi:[0,1,0]
	s_delay_alu instid0(VALU_DEP_1) | instskip(SKIP_1) | instid1(VALU_DEP_1)
	v_add_f16_e32 v88, v47, v14
	v_fma_mix_f32 v14, v109, v34, 0 op_sel_hi:[1,1,0]
	v_fma_mix_f32 v14, v110, v34, v14 op_sel:[0,1,0] op_sel_hi:[1,1,0]
	s_delay_alu instid0(VALU_DEP_1) | instskip(NEXT) | instid1(VALU_DEP_1)
	v_fma_mix_f32 v14, v111, v35, v14 op_sel_hi:[1,1,0]
	v_fma_mix_f32 v14, v112, v35, v14 op_sel:[0,1,0] op_sel_hi:[1,1,0]
	s_delay_alu instid0(VALU_DEP_1) | instskip(NEXT) | instid1(VALU_DEP_1)
	v_fma_mix_f32 v14, v113, v36, v14 op_sel_hi:[1,1,0]
	v_fma_mix_f32 v14, v114, v36, v14 op_sel:[0,1,0] op_sel_hi:[1,1,0]
	s_delay_alu instid0(VALU_DEP_1) | instskip(NEXT) | instid1(VALU_DEP_1)
	v_fma_mix_f32 v14, v115, v37, v14 op_sel_hi:[1,1,0]
	v_fma_mix_f32 v14, v116, v37, v14 op_sel:[0,1,0] op_sel_hi:[1,1,0]
	ds_load_b128 v[34:37], v29 offset:1280
	v_fma_mixlo_f16 v14, v14, v26, 0 op_sel_hi:[0,1,0]
	s_delay_alu instid0(VALU_DEP_1) | instskip(SKIP_2) | instid1(VALU_DEP_1)
	v_add_f16_e32 v89, v46, v14
	s_waitcnt lgkmcnt(0)
	v_fma_mix_f32 v14, v53, v34, 0 op_sel_hi:[1,1,0]
	v_fma_mix_f32 v14, v55, v34, v14 op_sel:[0,1,0] op_sel_hi:[1,1,0]
	s_delay_alu instid0(VALU_DEP_1) | instskip(NEXT) | instid1(VALU_DEP_1)
	v_fma_mix_f32 v14, v56, v35, v14 op_sel_hi:[1,1,0]
	v_fma_mix_f32 v14, v57, v35, v14 op_sel:[0,1,0] op_sel_hi:[1,1,0]
	s_delay_alu instid0(VALU_DEP_1) | instskip(NEXT) | instid1(VALU_DEP_1)
	;; [unrolled: 3-line block ×4, first 2 shown]
	v_fma_mixlo_f16 v14, v14, v18, 0 op_sel_hi:[0,1,0]
	v_add_f16_e32 v90, v78, v14
	v_fma_mix_f32 v14, v62, v34, 0 op_sel_hi:[1,1,0]
	s_delay_alu instid0(VALU_DEP_1) | instskip(NEXT) | instid1(VALU_DEP_1)
	v_fma_mix_f32 v14, v63, v34, v14 op_sel:[0,1,0] op_sel_hi:[1,1,0]
	v_fma_mix_f32 v14, v64, v35, v14 op_sel_hi:[1,1,0]
	s_delay_alu instid0(VALU_DEP_1) | instskip(NEXT) | instid1(VALU_DEP_1)
	v_fma_mix_f32 v14, v65, v35, v14 op_sel:[0,1,0] op_sel_hi:[1,1,0]
	;; [unrolled: 3-line block ×4, first 2 shown]
	v_fma_mixlo_f16 v14, v14, v23, 0 op_sel_hi:[0,1,0]
	s_delay_alu instid0(VALU_DEP_1) | instskip(SKIP_1) | instid1(VALU_DEP_1)
	v_add_f16_e32 v91, v77, v14
	v_fma_mix_f32 v14, v101, v34, 0 op_sel_hi:[1,1,0]
	v_fma_mix_f32 v14, v102, v34, v14 op_sel:[0,1,0] op_sel_hi:[1,1,0]
	s_delay_alu instid0(VALU_DEP_1) | instskip(NEXT) | instid1(VALU_DEP_1)
	v_fma_mix_f32 v14, v103, v35, v14 op_sel_hi:[1,1,0]
	v_fma_mix_f32 v14, v104, v35, v14 op_sel:[0,1,0] op_sel_hi:[1,1,0]
	s_delay_alu instid0(VALU_DEP_1) | instskip(NEXT) | instid1(VALU_DEP_1)
	;; [unrolled: 3-line block ×4, first 2 shown]
	v_fma_mixlo_f16 v14, v14, v19, 0 op_sel_hi:[0,1,0]
	v_add_f16_e32 v92, v76, v14
	v_fma_mix_f32 v14, v109, v34, 0 op_sel_hi:[1,1,0]
	s_delay_alu instid0(VALU_DEP_1) | instskip(NEXT) | instid1(VALU_DEP_1)
	v_fma_mix_f32 v14, v110, v34, v14 op_sel:[0,1,0] op_sel_hi:[1,1,0]
	v_fma_mix_f32 v14, v111, v35, v14 op_sel_hi:[1,1,0]
	s_delay_alu instid0(VALU_DEP_1) | instskip(NEXT) | instid1(VALU_DEP_1)
	v_fma_mix_f32 v14, v112, v35, v14 op_sel:[0,1,0] op_sel_hi:[1,1,0]
	;; [unrolled: 3-line block ×3, first 2 shown]
	v_fma_mix_f32 v14, v115, v37, v14 op_sel_hi:[1,1,0]
	s_delay_alu instid0(VALU_DEP_1) | instskip(SKIP_2) | instid1(VALU_DEP_1)
	v_fma_mix_f32 v14, v116, v37, v14 op_sel:[0,1,0] op_sel_hi:[1,1,0]
	ds_load_b128 v[34:37], v29 offset:1536
	v_fma_mixlo_f16 v14, v14, v26, 0 op_sel_hi:[0,1,0]
	v_add_f16_e32 v93, v75, v14
	s_waitcnt lgkmcnt(0)
	v_fma_mix_f32 v14, v53, v34, 0 op_sel_hi:[1,1,0]
	s_delay_alu instid0(VALU_DEP_1) | instskip(NEXT) | instid1(VALU_DEP_1)
	v_fma_mix_f32 v14, v55, v34, v14 op_sel:[0,1,0] op_sel_hi:[1,1,0]
	v_fma_mix_f32 v14, v56, v35, v14 op_sel_hi:[1,1,0]
	s_delay_alu instid0(VALU_DEP_1) | instskip(NEXT) | instid1(VALU_DEP_1)
	v_fma_mix_f32 v14, v57, v35, v14 op_sel:[0,1,0] op_sel_hi:[1,1,0]
	;; [unrolled: 3-line block ×4, first 2 shown]
	v_fma_mixlo_f16 v14, v14, v18, 0 op_sel_hi:[0,1,0]
	s_delay_alu instid0(VALU_DEP_1) | instskip(SKIP_1) | instid1(VALU_DEP_1)
	v_add_f16_e32 v82, v82, v14
	v_fma_mix_f32 v14, v62, v34, 0 op_sel_hi:[1,1,0]
	v_fma_mix_f32 v14, v63, v34, v14 op_sel:[0,1,0] op_sel_hi:[1,1,0]
	s_delay_alu instid0(VALU_DEP_1) | instskip(NEXT) | instid1(VALU_DEP_1)
	v_fma_mix_f32 v14, v64, v35, v14 op_sel_hi:[1,1,0]
	v_fma_mix_f32 v14, v65, v35, v14 op_sel:[0,1,0] op_sel_hi:[1,1,0]
	s_delay_alu instid0(VALU_DEP_1) | instskip(NEXT) | instid1(VALU_DEP_1)
	;; [unrolled: 3-line block ×4, first 2 shown]
	v_fma_mixlo_f16 v14, v14, v23, 0 op_sel_hi:[0,1,0]
	v_add_f16_e32 v83, v81, v14
	v_fma_mix_f32 v14, v101, v34, 0 op_sel_hi:[1,1,0]
	s_delay_alu instid0(VALU_DEP_1) | instskip(NEXT) | instid1(VALU_DEP_1)
	v_fma_mix_f32 v14, v102, v34, v14 op_sel:[0,1,0] op_sel_hi:[1,1,0]
	v_fma_mix_f32 v14, v103, v35, v14 op_sel_hi:[1,1,0]
	s_delay_alu instid0(VALU_DEP_1) | instskip(NEXT) | instid1(VALU_DEP_1)
	v_fma_mix_f32 v14, v104, v35, v14 op_sel:[0,1,0] op_sel_hi:[1,1,0]
	;; [unrolled: 3-line block ×4, first 2 shown]
	v_fma_mixlo_f16 v14, v14, v19, 0 op_sel_hi:[0,1,0]
	s_delay_alu instid0(VALU_DEP_1) | instskip(SKIP_1) | instid1(VALU_DEP_1)
	v_add_f16_e32 v84, v80, v14
	v_fma_mix_f32 v14, v109, v34, 0 op_sel_hi:[1,1,0]
	v_fma_mix_f32 v14, v110, v34, v14 op_sel:[0,1,0] op_sel_hi:[1,1,0]
	s_delay_alu instid0(VALU_DEP_1) | instskip(NEXT) | instid1(VALU_DEP_1)
	v_fma_mix_f32 v14, v111, v35, v14 op_sel_hi:[1,1,0]
	v_fma_mix_f32 v14, v112, v35, v14 op_sel:[0,1,0] op_sel_hi:[1,1,0]
	s_delay_alu instid0(VALU_DEP_1) | instskip(NEXT) | instid1(VALU_DEP_1)
	v_fma_mix_f32 v14, v113, v36, v14 op_sel_hi:[1,1,0]
	v_fma_mix_f32 v14, v114, v36, v14 op_sel:[0,1,0] op_sel_hi:[1,1,0]
	s_delay_alu instid0(VALU_DEP_1) | instskip(NEXT) | instid1(VALU_DEP_1)
	v_fma_mix_f32 v14, v115, v37, v14 op_sel_hi:[1,1,0]
	v_fma_mix_f32 v14, v116, v37, v14 op_sel:[0,1,0] op_sel_hi:[1,1,0]
	ds_load_b128 v[34:37], v29 offset:1792
	v_fma_mixlo_f16 v14, v14, v26, 0 op_sel_hi:[0,1,0]
	s_delay_alu instid0(VALU_DEP_1) | instskip(SKIP_2) | instid1(VALU_DEP_1)
	v_add_f16_e32 v85, v79, v14
	s_waitcnt lgkmcnt(0)
	v_fma_mix_f32 v14, v53, v34, 0 op_sel_hi:[1,1,0]
	v_fma_mix_f32 v14, v55, v34, v14 op_sel:[0,1,0] op_sel_hi:[1,1,0]
	s_delay_alu instid0(VALU_DEP_1) | instskip(NEXT) | instid1(VALU_DEP_1)
	v_fma_mix_f32 v14, v56, v35, v14 op_sel_hi:[1,1,0]
	v_fma_mix_f32 v14, v57, v35, v14 op_sel:[0,1,0] op_sel_hi:[1,1,0]
	s_delay_alu instid0(VALU_DEP_1) | instskip(NEXT) | instid1(VALU_DEP_1)
	v_fma_mix_f32 v14, v58, v36, v14 op_sel_hi:[1,1,0]
	v_fma_mix_f32 v14, v59, v36, v14 op_sel:[0,1,0] op_sel_hi:[1,1,0]
	s_delay_alu instid0(VALU_DEP_1) | instskip(NEXT) | instid1(VALU_DEP_1)
	v_fma_mix_f32 v14, v60, v37, v14 op_sel_hi:[1,1,0]
	v_fma_mix_f32 v14, v61, v37, v14 op_sel:[0,1,0] op_sel_hi:[1,1,0]
	s_delay_alu instid0(VALU_DEP_1) | instskip(NEXT) | instid1(VALU_DEP_1)
	v_fma_mixlo_f16 v14, v14, v18, 0 op_sel_hi:[0,1,0]
	v_add_f16_e32 v21, v54, v14
	v_fma_mix_f32 v14, v62, v34, 0 op_sel_hi:[1,1,0]
	s_delay_alu instid0(VALU_DEP_1) | instskip(NEXT) | instid1(VALU_DEP_1)
	v_fma_mix_f32 v14, v63, v34, v14 op_sel:[0,1,0] op_sel_hi:[1,1,0]
	v_fma_mix_f32 v14, v64, v35, v14 op_sel_hi:[1,1,0]
	s_delay_alu instid0(VALU_DEP_1) | instskip(NEXT) | instid1(VALU_DEP_1)
	v_fma_mix_f32 v14, v65, v35, v14 op_sel:[0,1,0] op_sel_hi:[1,1,0]
	;; [unrolled: 3-line block ×4, first 2 shown]
	v_fma_mixlo_f16 v14, v14, v23, 0 op_sel_hi:[0,1,0]
	s_delay_alu instid0(VALU_DEP_1) | instskip(SKIP_1) | instid1(VALU_DEP_1)
	v_add_f16_e32 v20, v52, v14
	v_fma_mix_f32 v14, v101, v34, 0 op_sel_hi:[1,1,0]
	v_fma_mix_f32 v14, v102, v34, v14 op_sel:[0,1,0] op_sel_hi:[1,1,0]
	s_delay_alu instid0(VALU_DEP_1) | instskip(NEXT) | instid1(VALU_DEP_1)
	v_fma_mix_f32 v14, v103, v35, v14 op_sel_hi:[1,1,0]
	v_fma_mix_f32 v14, v104, v35, v14 op_sel:[0,1,0] op_sel_hi:[1,1,0]
	s_delay_alu instid0(VALU_DEP_1) | instskip(NEXT) | instid1(VALU_DEP_1)
	;; [unrolled: 3-line block ×4, first 2 shown]
	v_fma_mixlo_f16 v14, v14, v19, 0 op_sel_hi:[0,1,0]
	v_add_f16_e32 v15, v51, v14
	v_fma_mix_f32 v14, v109, v34, 0 op_sel_hi:[1,1,0]
	s_delay_alu instid0(VALU_DEP_1) | instskip(NEXT) | instid1(VALU_DEP_1)
	v_fma_mix_f32 v14, v110, v34, v14 op_sel:[0,1,0] op_sel_hi:[1,1,0]
	v_fma_mix_f32 v14, v111, v35, v14 op_sel_hi:[1,1,0]
	s_delay_alu instid0(VALU_DEP_1) | instskip(NEXT) | instid1(VALU_DEP_1)
	v_fma_mix_f32 v14, v112, v35, v14 op_sel:[0,1,0] op_sel_hi:[1,1,0]
	v_fma_mix_f32 v14, v113, v36, v14 op_sel_hi:[1,1,0]
	s_delay_alu instid0(VALU_DEP_1) | instskip(NEXT) | instid1(VALU_DEP_1)
	v_fma_mix_f32 v14, v114, v36, v14 op_sel:[0,1,0] op_sel_hi:[1,1,0]
	v_fma_mix_f32 v14, v115, v37, v14 op_sel_hi:[1,1,0]
	s_delay_alu instid0(VALU_DEP_1)
	v_fma_mix_f32 v14, v116, v37, v14 op_sel:[0,1,0] op_sel_hi:[1,1,0]
	global_load_b128 v[34:37], v[12:13], off
	v_add_co_u32 v12, vcc_lo, v12, s0
	v_add_co_ci_u32_e32 v13, vcc_lo, s1, v13, vcc_lo
	v_fma_mixlo_f16 v14, v14, v26, 0 op_sel_hi:[0,1,0]
	global_load_b128 v[75:78], v[12:13], off
	v_add_f16_e32 v14, v50, v14
	s_waitcnt vmcnt(1)
	v_and_b32_e32 v38, 0xff, v34
	s_delay_alu instid0(VALU_DEP_1) | instskip(NEXT) | instid1(VALU_DEP_1)
	v_sub_nc_u32_e32 v38, v38, v33
	v_cvt_f32_i32_e32 v38, v38
	s_delay_alu instid0(VALU_DEP_1) | instskip(SKIP_1) | instid1(VALU_DEP_1)
	v_cvt_f16_f32_e32 v49, v38
	v_bfe_u32 v38, v34, 8, 8
	v_sub_nc_u32_e32 v38, v38, v33
	s_delay_alu instid0(VALU_DEP_1) | instskip(NEXT) | instid1(VALU_DEP_1)
	v_cvt_f32_i32_e32 v38, v38
	v_cvt_f16_f32_e32 v52, v38
	v_bfe_u32 v38, v34, 16, 8
	v_lshrrev_b32_e32 v34, 24, v34
	s_delay_alu instid0(VALU_DEP_2) | instskip(NEXT) | instid1(VALU_DEP_2)
	v_sub_nc_u32_e32 v38, v38, v33
	v_sub_nc_u32_e32 v34, v34, v33
	s_delay_alu instid0(VALU_DEP_2) | instskip(NEXT) | instid1(VALU_DEP_2)
	v_cvt_f32_i32_e32 v38, v38
	v_cvt_f32_i32_e32 v34, v34
	s_delay_alu instid0(VALU_DEP_2) | instskip(NEXT) | instid1(VALU_DEP_2)
	v_cvt_f16_f32_e32 v55, v38
	v_cvt_f16_f32_e32 v58, v34
	s_waitcnt vmcnt(0)
	v_and_b32_e32 v34, 0xff, v75
	s_delay_alu instid0(VALU_DEP_1) | instskip(NEXT) | instid1(VALU_DEP_1)
	v_sub_nc_u32_e32 v34, v34, v33
	v_cvt_f32_i32_e32 v34, v34
	s_delay_alu instid0(VALU_DEP_1) | instskip(SKIP_1) | instid1(VALU_DEP_1)
	v_cvt_f16_f32_e32 v61, v34
	v_bfe_u32 v34, v75, 8, 8
	v_sub_nc_u32_e32 v34, v34, v33
	s_delay_alu instid0(VALU_DEP_1) | instskip(NEXT) | instid1(VALU_DEP_1)
	v_cvt_f32_i32_e32 v34, v34
	v_cvt_f16_f32_e32 v64, v34
	v_bfe_u32 v34, v75, 16, 8
	s_delay_alu instid0(VALU_DEP_1) | instskip(NEXT) | instid1(VALU_DEP_1)
	v_sub_nc_u32_e32 v34, v34, v33
	v_cvt_f32_i32_e32 v34, v34
	s_delay_alu instid0(VALU_DEP_1) | instskip(SKIP_1) | instid1(VALU_DEP_1)
	v_cvt_f16_f32_e32 v67, v34
	v_lshrrev_b32_e32 v34, 24, v75
	v_sub_nc_u32_e32 v34, v34, v33
	s_delay_alu instid0(VALU_DEP_1) | instskip(NEXT) | instid1(VALU_DEP_1)
	v_cvt_f32_i32_e32 v34, v34
	v_cvt_f16_f32_e32 v69, v34
	v_and_b32_e32 v34, 0xff, v35
	s_delay_alu instid0(VALU_DEP_1) | instskip(NEXT) | instid1(VALU_DEP_1)
	v_sub_nc_u32_e32 v34, v34, v32
	v_cvt_f32_i32_e32 v34, v34
	s_delay_alu instid0(VALU_DEP_1) | instskip(SKIP_1) | instid1(VALU_DEP_1)
	v_cvt_f16_f32_e32 v47, v34
	v_bfe_u32 v34, v35, 8, 8
	v_sub_nc_u32_e32 v34, v34, v32
	s_delay_alu instid0(VALU_DEP_1) | instskip(NEXT) | instid1(VALU_DEP_1)
	v_cvt_f32_i32_e32 v34, v34
	v_cvt_f16_f32_e32 v50, v34
	v_bfe_u32 v34, v35, 16, 8
	s_delay_alu instid0(VALU_DEP_1) | instskip(NEXT) | instid1(VALU_DEP_1)
	v_sub_nc_u32_e32 v34, v34, v32
	v_cvt_f32_i32_e32 v34, v34
	s_delay_alu instid0(VALU_DEP_1) | instskip(SKIP_1) | instid1(VALU_DEP_1)
	v_cvt_f16_f32_e32 v53, v34
	v_lshrrev_b32_e32 v34, 24, v35
	v_sub_nc_u32_e32 v34, v34, v32
	s_delay_alu instid0(VALU_DEP_1) | instskip(NEXT) | instid1(VALU_DEP_1)
	v_cvt_f32_i32_e32 v34, v34
	v_cvt_f16_f32_e32 v56, v34
	;; [unrolled: 22-line block ×7, first 2 shown]
	v_fma_mix_f32 v34, v49, v8, 0 op_sel_hi:[1,1,0]
	s_delay_alu instid0(VALU_DEP_1) | instskip(NEXT) | instid1(VALU_DEP_1)
	v_fma_mix_f32 v34, v52, v8, v34 op_sel:[0,1,0] op_sel_hi:[1,1,0]
	v_fma_mix_f32 v34, v55, v9, v34 op_sel_hi:[1,1,0]
	s_delay_alu instid0(VALU_DEP_1) | instskip(NEXT) | instid1(VALU_DEP_1)
	v_fma_mix_f32 v34, v58, v9, v34 op_sel:[0,1,0] op_sel_hi:[1,1,0]
	;; [unrolled: 3-line block ×4, first 2 shown]
	v_fma_mixlo_f16 v34, v34, v18, 0 op_sel_hi:[0,1,0]
	s_delay_alu instid0(VALU_DEP_1) | instskip(SKIP_1) | instid1(VALU_DEP_1)
	v_add_f16_e32 v37, v117, v34
	v_fma_mix_f32 v34, v47, v8, 0 op_sel_hi:[1,1,0]
	v_fma_mix_f32 v34, v50, v8, v34 op_sel:[0,1,0] op_sel_hi:[1,1,0]
	s_delay_alu instid0(VALU_DEP_1) | instskip(NEXT) | instid1(VALU_DEP_1)
	v_fma_mix_f32 v34, v53, v9, v34 op_sel_hi:[1,1,0]
	v_fma_mix_f32 v34, v56, v9, v34 op_sel:[0,1,0] op_sel_hi:[1,1,0]
	s_delay_alu instid0(VALU_DEP_1) | instskip(NEXT) | instid1(VALU_DEP_1)
	;; [unrolled: 3-line block ×4, first 2 shown]
	v_fma_mixlo_f16 v34, v34, v23, 0 op_sel_hi:[0,1,0]
	v_add_f16_e32 v36, v118, v34
	v_fma_mix_f32 v34, v45, v8, 0 op_sel_hi:[1,1,0]
	s_delay_alu instid0(VALU_DEP_1) | instskip(NEXT) | instid1(VALU_DEP_1)
	v_fma_mix_f32 v34, v48, v8, v34 op_sel:[0,1,0] op_sel_hi:[1,1,0]
	v_fma_mix_f32 v34, v51, v9, v34 op_sel_hi:[1,1,0]
	s_delay_alu instid0(VALU_DEP_1) | instskip(NEXT) | instid1(VALU_DEP_1)
	v_fma_mix_f32 v34, v54, v9, v34 op_sel:[0,1,0] op_sel_hi:[1,1,0]
	;; [unrolled: 3-line block ×4, first 2 shown]
	v_fma_mixlo_f16 v34, v34, v19, 0 op_sel_hi:[0,1,0]
	s_delay_alu instid0(VALU_DEP_1) | instskip(SKIP_1) | instid1(VALU_DEP_1)
	v_add_f16_e32 v35, v119, v34
	v_fma_mix_f32 v34, v44, v8, 0 op_sel_hi:[1,1,0]
	v_fma_mix_f32 v8, v46, v8, v34 op_sel:[0,1,0] op_sel_hi:[1,1,0]
	s_delay_alu instid0(VALU_DEP_1) | instskip(NEXT) | instid1(VALU_DEP_1)
	v_fma_mix_f32 v8, v43, v9, v8 op_sel_hi:[1,1,0]
	v_fma_mix_f32 v8, v42, v9, v8 op_sel:[0,1,0] op_sel_hi:[1,1,0]
	s_delay_alu instid0(VALU_DEP_1) | instskip(NEXT) | instid1(VALU_DEP_1)
	;; [unrolled: 3-line block ×4, first 2 shown]
	v_fma_mixlo_f16 v8, v8, v26, 0 op_sel_hi:[0,1,0]
	v_add_f16_e32 v34, v120, v8
	ds_load_b128 v[8:11], v29 offset:272
	s_waitcnt lgkmcnt(0)
	v_fma_mix_f32 v75, v49, v8, 0 op_sel_hi:[1,1,0]
	s_delay_alu instid0(VALU_DEP_1) | instskip(NEXT) | instid1(VALU_DEP_1)
	v_fma_mix_f32 v75, v52, v8, v75 op_sel:[0,1,0] op_sel_hi:[1,1,0]
	v_fma_mix_f32 v75, v55, v9, v75 op_sel_hi:[1,1,0]
	s_delay_alu instid0(VALU_DEP_1) | instskip(NEXT) | instid1(VALU_DEP_1)
	v_fma_mix_f32 v75, v58, v9, v75 op_sel:[0,1,0] op_sel_hi:[1,1,0]
	;; [unrolled: 3-line block ×4, first 2 shown]
	v_fma_mixlo_f16 v75, v75, v18, 0 op_sel_hi:[0,1,0]
	s_delay_alu instid0(VALU_DEP_1) | instskip(SKIP_1) | instid1(VALU_DEP_1)
	v_add_f16_e32 v70, v70, v75
	v_fma_mix_f32 v75, v47, v8, 0 op_sel_hi:[1,1,0]
	v_fma_mix_f32 v75, v50, v8, v75 op_sel:[0,1,0] op_sel_hi:[1,1,0]
	s_delay_alu instid0(VALU_DEP_1) | instskip(NEXT) | instid1(VALU_DEP_1)
	v_fma_mix_f32 v75, v53, v9, v75 op_sel_hi:[1,1,0]
	v_fma_mix_f32 v75, v56, v9, v75 op_sel:[0,1,0] op_sel_hi:[1,1,0]
	s_delay_alu instid0(VALU_DEP_1) | instskip(NEXT) | instid1(VALU_DEP_1)
	;; [unrolled: 3-line block ×4, first 2 shown]
	v_fma_mixlo_f16 v75, v75, v23, 0 op_sel_hi:[0,1,0]
	v_add_f16_e32 v71, v71, v75
	v_fma_mix_f32 v75, v45, v8, 0 op_sel_hi:[1,1,0]
	s_delay_alu instid0(VALU_DEP_1) | instskip(NEXT) | instid1(VALU_DEP_1)
	v_fma_mix_f32 v75, v48, v8, v75 op_sel:[0,1,0] op_sel_hi:[1,1,0]
	v_fma_mix_f32 v75, v51, v9, v75 op_sel_hi:[1,1,0]
	s_delay_alu instid0(VALU_DEP_1) | instskip(NEXT) | instid1(VALU_DEP_1)
	v_fma_mix_f32 v75, v54, v9, v75 op_sel:[0,1,0] op_sel_hi:[1,1,0]
	;; [unrolled: 3-line block ×4, first 2 shown]
	v_fma_mixlo_f16 v75, v75, v19, 0 op_sel_hi:[0,1,0]
	s_delay_alu instid0(VALU_DEP_1) | instskip(SKIP_1) | instid1(VALU_DEP_1)
	v_add_f16_e32 v72, v72, v75
	v_fma_mix_f32 v75, v44, v8, 0 op_sel_hi:[1,1,0]
	v_fma_mix_f32 v8, v46, v8, v75 op_sel:[0,1,0] op_sel_hi:[1,1,0]
	s_delay_alu instid0(VALU_DEP_1) | instskip(NEXT) | instid1(VALU_DEP_1)
	v_fma_mix_f32 v8, v43, v9, v8 op_sel_hi:[1,1,0]
	v_fma_mix_f32 v8, v42, v9, v8 op_sel:[0,1,0] op_sel_hi:[1,1,0]
	s_delay_alu instid0(VALU_DEP_1) | instskip(NEXT) | instid1(VALU_DEP_1)
	;; [unrolled: 3-line block ×4, first 2 shown]
	v_fma_mixlo_f16 v8, v8, v26, 0 op_sel_hi:[0,1,0]
	v_add_f16_e32 v73, v73, v8
	ds_load_b128 v[8:11], v29 offset:528
	s_waitcnt lgkmcnt(0)
	v_fma_mix_f32 v75, v49, v8, 0 op_sel_hi:[1,1,0]
	v_fma_mix_f32 v76, v45, v8, 0 op_sel_hi:[1,1,0]
	;; [unrolled: 1-line block ×3, first 2 shown]
	s_delay_alu instid0(VALU_DEP_3) | instskip(NEXT) | instid1(VALU_DEP_3)
	v_fma_mix_f32 v75, v52, v8, v75 op_sel:[0,1,0] op_sel_hi:[1,1,0]
	v_fma_mix_f32 v76, v48, v8, v76 op_sel:[0,1,0] op_sel_hi:[1,1,0]
	s_delay_alu instid0(VALU_DEP_2) | instskip(NEXT) | instid1(VALU_DEP_2)
	v_fma_mix_f32 v75, v55, v9, v75 op_sel_hi:[1,1,0]
	v_fma_mix_f32 v76, v51, v9, v76 op_sel_hi:[1,1,0]
	s_delay_alu instid0(VALU_DEP_2) | instskip(NEXT) | instid1(VALU_DEP_2)
	v_fma_mix_f32 v75, v58, v9, v75 op_sel:[0,1,0] op_sel_hi:[1,1,0]
	v_fma_mix_f32 v76, v54, v9, v76 op_sel:[0,1,0] op_sel_hi:[1,1,0]
	s_delay_alu instid0(VALU_DEP_2) | instskip(NEXT) | instid1(VALU_DEP_2)
	v_fma_mix_f32 v75, v61, v10, v75 op_sel_hi:[1,1,0]
	v_fma_mix_f32 v76, v57, v10, v76 op_sel_hi:[1,1,0]
	s_delay_alu instid0(VALU_DEP_2) | instskip(NEXT) | instid1(VALU_DEP_2)
	;; [unrolled: 6-line block ×3, first 2 shown]
	v_fma_mix_f32 v75, v69, v11, v75 op_sel:[0,1,0] op_sel_hi:[1,1,0]
	v_fma_mix_f32 v76, v66, v11, v76 op_sel:[0,1,0] op_sel_hi:[1,1,0]
	s_delay_alu instid0(VALU_DEP_2) | instskip(NEXT) | instid1(VALU_DEP_2)
	v_fma_mixlo_f16 v75, v75, v18, 0 op_sel_hi:[0,1,0]
	v_fma_mixlo_f16 v76, v76, v19, 0 op_sel_hi:[0,1,0]
	s_delay_alu instid0(VALU_DEP_2) | instskip(SKIP_1) | instid1(VALU_DEP_3)
	v_add_f16_e32 v74, v74, v75
	v_fma_mix_f32 v75, v47, v8, 0 op_sel_hi:[1,1,0]
	v_add_f16_e32 v76, v99, v76
	s_delay_alu instid0(VALU_DEP_2) | instskip(SKIP_1) | instid1(VALU_DEP_2)
	v_fma_mix_f32 v75, v50, v8, v75 op_sel:[0,1,0] op_sel_hi:[1,1,0]
	v_fma_mix_f32 v8, v46, v8, v77 op_sel:[0,1,0] op_sel_hi:[1,1,0]
	v_fma_mix_f32 v75, v53, v9, v75 op_sel_hi:[1,1,0]
	s_delay_alu instid0(VALU_DEP_2) | instskip(NEXT) | instid1(VALU_DEP_2)
	v_fma_mix_f32 v8, v43, v9, v8 op_sel_hi:[1,1,0]
	v_fma_mix_f32 v75, v56, v9, v75 op_sel:[0,1,0] op_sel_hi:[1,1,0]
	s_delay_alu instid0(VALU_DEP_2) | instskip(NEXT) | instid1(VALU_DEP_2)
	v_fma_mix_f32 v8, v42, v9, v8 op_sel:[0,1,0] op_sel_hi:[1,1,0]
	v_fma_mix_f32 v75, v59, v10, v75 op_sel_hi:[1,1,0]
	s_delay_alu instid0(VALU_DEP_2) | instskip(NEXT) | instid1(VALU_DEP_2)
	v_fma_mix_f32 v8, v41, v10, v8 op_sel_hi:[1,1,0]
	v_fma_mix_f32 v75, v62, v10, v75 op_sel:[0,1,0] op_sel_hi:[1,1,0]
	s_delay_alu instid0(VALU_DEP_2) | instskip(NEXT) | instid1(VALU_DEP_2)
	;; [unrolled: 6-line block ×3, first 2 shown]
	v_fma_mix_f32 v8, v38, v11, v8 op_sel:[0,1,0] op_sel_hi:[1,1,0]
	v_fma_mixlo_f16 v75, v75, v23, 0 op_sel_hi:[0,1,0]
	s_delay_alu instid0(VALU_DEP_2) | instskip(NEXT) | instid1(VALU_DEP_2)
	v_fma_mixlo_f16 v8, v8, v26, 0 op_sel_hi:[0,1,0]
	v_add_f16_e32 v75, v98, v75
	s_delay_alu instid0(VALU_DEP_2)
	v_add_f16_e32 v77, v100, v8
	ds_load_b128 v[8:11], v29 offset:784
	s_waitcnt lgkmcnt(0)
	v_fma_mix_f32 v78, v49, v8, 0 op_sel_hi:[1,1,0]
	v_fma_mix_f32 v79, v47, v8, 0 op_sel_hi:[1,1,0]
	;; [unrolled: 1-line block ×4, first 2 shown]
	s_delay_alu instid0(VALU_DEP_4) | instskip(NEXT) | instid1(VALU_DEP_4)
	v_fma_mix_f32 v78, v52, v8, v78 op_sel:[0,1,0] op_sel_hi:[1,1,0]
	v_fma_mix_f32 v79, v50, v8, v79 op_sel:[0,1,0] op_sel_hi:[1,1,0]
	s_delay_alu instid0(VALU_DEP_4) | instskip(NEXT) | instid1(VALU_DEP_4)
	v_fma_mix_f32 v80, v48, v8, v80 op_sel:[0,1,0] op_sel_hi:[1,1,0]
	v_fma_mix_f32 v8, v46, v8, v81 op_sel:[0,1,0] op_sel_hi:[1,1,0]
	s_delay_alu instid0(VALU_DEP_4) | instskip(NEXT) | instid1(VALU_DEP_4)
	v_fma_mix_f32 v78, v55, v9, v78 op_sel_hi:[1,1,0]
	v_fma_mix_f32 v79, v53, v9, v79 op_sel_hi:[1,1,0]
	s_delay_alu instid0(VALU_DEP_4) | instskip(NEXT) | instid1(VALU_DEP_4)
	v_fma_mix_f32 v80, v51, v9, v80 op_sel_hi:[1,1,0]
	v_fma_mix_f32 v8, v43, v9, v8 op_sel_hi:[1,1,0]
	s_delay_alu instid0(VALU_DEP_4) | instskip(NEXT) | instid1(VALU_DEP_4)
	v_fma_mix_f32 v78, v58, v9, v78 op_sel:[0,1,0] op_sel_hi:[1,1,0]
	v_fma_mix_f32 v79, v56, v9, v79 op_sel:[0,1,0] op_sel_hi:[1,1,0]
	s_delay_alu instid0(VALU_DEP_4) | instskip(NEXT) | instid1(VALU_DEP_4)
	v_fma_mix_f32 v80, v54, v9, v80 op_sel:[0,1,0] op_sel_hi:[1,1,0]
	v_fma_mix_f32 v8, v42, v9, v8 op_sel:[0,1,0] op_sel_hi:[1,1,0]
	s_delay_alu instid0(VALU_DEP_4) | instskip(NEXT) | instid1(VALU_DEP_4)
	v_fma_mix_f32 v78, v61, v10, v78 op_sel_hi:[1,1,0]
	v_fma_mix_f32 v79, v59, v10, v79 op_sel_hi:[1,1,0]
	s_delay_alu instid0(VALU_DEP_4) | instskip(NEXT) | instid1(VALU_DEP_4)
	v_fma_mix_f32 v80, v57, v10, v80 op_sel_hi:[1,1,0]
	v_fma_mix_f32 v8, v41, v10, v8 op_sel_hi:[1,1,0]
	s_delay_alu instid0(VALU_DEP_4) | instskip(NEXT) | instid1(VALU_DEP_4)
	v_fma_mix_f32 v78, v64, v10, v78 op_sel:[0,1,0] op_sel_hi:[1,1,0]
	v_fma_mix_f32 v79, v62, v10, v79 op_sel:[0,1,0] op_sel_hi:[1,1,0]
	s_delay_alu instid0(VALU_DEP_4) | instskip(NEXT) | instid1(VALU_DEP_4)
	v_fma_mix_f32 v80, v60, v10, v80 op_sel:[0,1,0] op_sel_hi:[1,1,0]
	v_fma_mix_f32 v8, v40, v10, v8 op_sel:[0,1,0] op_sel_hi:[1,1,0]
	s_delay_alu instid0(VALU_DEP_4) | instskip(NEXT) | instid1(VALU_DEP_4)
	v_fma_mix_f32 v78, v67, v11, v78 op_sel_hi:[1,1,0]
	v_fma_mix_f32 v79, v65, v11, v79 op_sel_hi:[1,1,0]
	s_delay_alu instid0(VALU_DEP_4) | instskip(NEXT) | instid1(VALU_DEP_4)
	v_fma_mix_f32 v80, v63, v11, v80 op_sel_hi:[1,1,0]
	v_fma_mix_f32 v8, v39, v11, v8 op_sel_hi:[1,1,0]
	s_delay_alu instid0(VALU_DEP_4) | instskip(NEXT) | instid1(VALU_DEP_4)
	v_fma_mix_f32 v78, v69, v11, v78 op_sel:[0,1,0] op_sel_hi:[1,1,0]
	v_fma_mix_f32 v79, v68, v11, v79 op_sel:[0,1,0] op_sel_hi:[1,1,0]
	s_delay_alu instid0(VALU_DEP_4) | instskip(NEXT) | instid1(VALU_DEP_4)
	v_fma_mix_f32 v80, v66, v11, v80 op_sel:[0,1,0] op_sel_hi:[1,1,0]
	v_fma_mix_f32 v8, v38, v11, v8 op_sel:[0,1,0] op_sel_hi:[1,1,0]
	s_delay_alu instid0(VALU_DEP_4) | instskip(NEXT) | instid1(VALU_DEP_4)
	v_fma_mixlo_f16 v78, v78, v18, 0 op_sel_hi:[0,1,0]
	v_fma_mixlo_f16 v79, v79, v23, 0 op_sel_hi:[0,1,0]
	s_delay_alu instid0(VALU_DEP_4) | instskip(NEXT) | instid1(VALU_DEP_4)
	v_fma_mixlo_f16 v80, v80, v19, 0 op_sel_hi:[0,1,0]
	v_fma_mixlo_f16 v8, v8, v26, 0 op_sel_hi:[0,1,0]
	s_delay_alu instid0(VALU_DEP_4) | instskip(NEXT) | instid1(VALU_DEP_4)
	v_add_f16_e32 v78, v94, v78
	v_add_f16_e32 v79, v95, v79
	s_delay_alu instid0(VALU_DEP_4) | instskip(NEXT) | instid1(VALU_DEP_4)
	v_add_f16_e32 v80, v96, v80
	v_add_f16_e32 v81, v97, v8
	ds_load_b128 v[8:11], v29 offset:1040
	s_waitcnt lgkmcnt(0)
	v_fma_mix_f32 v94, v49, v8, 0 op_sel_hi:[1,1,0]
	s_delay_alu instid0(VALU_DEP_1) | instskip(NEXT) | instid1(VALU_DEP_1)
	v_fma_mix_f32 v94, v52, v8, v94 op_sel:[0,1,0] op_sel_hi:[1,1,0]
	v_fma_mix_f32 v94, v55, v9, v94 op_sel_hi:[1,1,0]
	s_delay_alu instid0(VALU_DEP_1) | instskip(NEXT) | instid1(VALU_DEP_1)
	v_fma_mix_f32 v94, v58, v9, v94 op_sel:[0,1,0] op_sel_hi:[1,1,0]
	v_fma_mix_f32 v94, v61, v10, v94 op_sel_hi:[1,1,0]
	s_delay_alu instid0(VALU_DEP_1) | instskip(NEXT) | instid1(VALU_DEP_1)
	v_fma_mix_f32 v94, v64, v10, v94 op_sel:[0,1,0] op_sel_hi:[1,1,0]
	v_fma_mix_f32 v94, v67, v11, v94 op_sel_hi:[1,1,0]
	s_delay_alu instid0(VALU_DEP_1) | instskip(NEXT) | instid1(VALU_DEP_1)
	v_fma_mix_f32 v94, v69, v11, v94 op_sel:[0,1,0] op_sel_hi:[1,1,0]
	v_fma_mixlo_f16 v94, v94, v18, 0 op_sel_hi:[0,1,0]
	s_delay_alu instid0(VALU_DEP_1) | instskip(SKIP_1) | instid1(VALU_DEP_1)
	v_add_f16_e32 v86, v86, v94
	v_fma_mix_f32 v94, v47, v8, 0 op_sel_hi:[1,1,0]
	v_fma_mix_f32 v94, v50, v8, v94 op_sel:[0,1,0] op_sel_hi:[1,1,0]
	s_delay_alu instid0(VALU_DEP_1) | instskip(NEXT) | instid1(VALU_DEP_1)
	v_fma_mix_f32 v94, v53, v9, v94 op_sel_hi:[1,1,0]
	v_fma_mix_f32 v94, v56, v9, v94 op_sel:[0,1,0] op_sel_hi:[1,1,0]
	s_delay_alu instid0(VALU_DEP_1) | instskip(NEXT) | instid1(VALU_DEP_1)
	v_fma_mix_f32 v94, v59, v10, v94 op_sel_hi:[1,1,0]
	v_fma_mix_f32 v94, v62, v10, v94 op_sel:[0,1,0] op_sel_hi:[1,1,0]
	s_delay_alu instid0(VALU_DEP_1) | instskip(NEXT) | instid1(VALU_DEP_1)
	v_fma_mix_f32 v94, v65, v11, v94 op_sel_hi:[1,1,0]
	v_fma_mix_f32 v94, v68, v11, v94 op_sel:[0,1,0] op_sel_hi:[1,1,0]
	s_delay_alu instid0(VALU_DEP_1) | instskip(NEXT) | instid1(VALU_DEP_1)
	v_fma_mixlo_f16 v94, v94, v23, 0 op_sel_hi:[0,1,0]
	v_add_f16_e32 v87, v87, v94
	v_fma_mix_f32 v94, v45, v8, 0 op_sel_hi:[1,1,0]
	s_delay_alu instid0(VALU_DEP_1) | instskip(NEXT) | instid1(VALU_DEP_1)
	v_fma_mix_f32 v94, v48, v8, v94 op_sel:[0,1,0] op_sel_hi:[1,1,0]
	v_fma_mix_f32 v94, v51, v9, v94 op_sel_hi:[1,1,0]
	s_delay_alu instid0(VALU_DEP_1) | instskip(NEXT) | instid1(VALU_DEP_1)
	v_fma_mix_f32 v94, v54, v9, v94 op_sel:[0,1,0] op_sel_hi:[1,1,0]
	v_fma_mix_f32 v94, v57, v10, v94 op_sel_hi:[1,1,0]
	s_delay_alu instid0(VALU_DEP_1) | instskip(NEXT) | instid1(VALU_DEP_1)
	v_fma_mix_f32 v94, v60, v10, v94 op_sel:[0,1,0] op_sel_hi:[1,1,0]
	v_fma_mix_f32 v94, v63, v11, v94 op_sel_hi:[1,1,0]
	s_delay_alu instid0(VALU_DEP_1) | instskip(NEXT) | instid1(VALU_DEP_1)
	v_fma_mix_f32 v94, v66, v11, v94 op_sel:[0,1,0] op_sel_hi:[1,1,0]
	v_fma_mixlo_f16 v94, v94, v19, 0 op_sel_hi:[0,1,0]
	s_delay_alu instid0(VALU_DEP_1) | instskip(SKIP_1) | instid1(VALU_DEP_1)
	v_add_f16_e32 v88, v88, v94
	v_fma_mix_f32 v94, v44, v8, 0 op_sel_hi:[1,1,0]
	v_fma_mix_f32 v8, v46, v8, v94 op_sel:[0,1,0] op_sel_hi:[1,1,0]
	s_delay_alu instid0(VALU_DEP_1) | instskip(NEXT) | instid1(VALU_DEP_1)
	v_fma_mix_f32 v8, v43, v9, v8 op_sel_hi:[1,1,0]
	v_fma_mix_f32 v8, v42, v9, v8 op_sel:[0,1,0] op_sel_hi:[1,1,0]
	s_delay_alu instid0(VALU_DEP_1) | instskip(NEXT) | instid1(VALU_DEP_1)
	v_fma_mix_f32 v8, v41, v10, v8 op_sel_hi:[1,1,0]
	v_fma_mix_f32 v8, v40, v10, v8 op_sel:[0,1,0] op_sel_hi:[1,1,0]
	s_delay_alu instid0(VALU_DEP_1) | instskip(NEXT) | instid1(VALU_DEP_1)
	v_fma_mix_f32 v8, v39, v11, v8 op_sel_hi:[1,1,0]
	v_fma_mix_f32 v8, v38, v11, v8 op_sel:[0,1,0] op_sel_hi:[1,1,0]
	s_delay_alu instid0(VALU_DEP_1) | instskip(NEXT) | instid1(VALU_DEP_1)
	v_fma_mixlo_f16 v8, v8, v26, 0 op_sel_hi:[0,1,0]
	v_add_f16_e32 v89, v89, v8
	ds_load_b128 v[8:11], v29 offset:1296
	s_waitcnt lgkmcnt(0)
	v_fma_mix_f32 v94, v49, v8, 0 op_sel_hi:[1,1,0]
	s_delay_alu instid0(VALU_DEP_1) | instskip(NEXT) | instid1(VALU_DEP_1)
	v_fma_mix_f32 v94, v52, v8, v94 op_sel:[0,1,0] op_sel_hi:[1,1,0]
	v_fma_mix_f32 v94, v55, v9, v94 op_sel_hi:[1,1,0]
	s_delay_alu instid0(VALU_DEP_1) | instskip(NEXT) | instid1(VALU_DEP_1)
	v_fma_mix_f32 v94, v58, v9, v94 op_sel:[0,1,0] op_sel_hi:[1,1,0]
	v_fma_mix_f32 v94, v61, v10, v94 op_sel_hi:[1,1,0]
	s_delay_alu instid0(VALU_DEP_1) | instskip(NEXT) | instid1(VALU_DEP_1)
	v_fma_mix_f32 v94, v64, v10, v94 op_sel:[0,1,0] op_sel_hi:[1,1,0]
	v_fma_mix_f32 v94, v67, v11, v94 op_sel_hi:[1,1,0]
	s_delay_alu instid0(VALU_DEP_1) | instskip(NEXT) | instid1(VALU_DEP_1)
	v_fma_mix_f32 v94, v69, v11, v94 op_sel:[0,1,0] op_sel_hi:[1,1,0]
	v_fma_mixlo_f16 v94, v94, v18, 0 op_sel_hi:[0,1,0]
	s_delay_alu instid0(VALU_DEP_1) | instskip(SKIP_1) | instid1(VALU_DEP_1)
	v_add_f16_e32 v90, v90, v94
	v_fma_mix_f32 v94, v47, v8, 0 op_sel_hi:[1,1,0]
	v_fma_mix_f32 v94, v50, v8, v94 op_sel:[0,1,0] op_sel_hi:[1,1,0]
	s_delay_alu instid0(VALU_DEP_1) | instskip(NEXT) | instid1(VALU_DEP_1)
	v_fma_mix_f32 v94, v53, v9, v94 op_sel_hi:[1,1,0]
	v_fma_mix_f32 v94, v56, v9, v94 op_sel:[0,1,0] op_sel_hi:[1,1,0]
	s_delay_alu instid0(VALU_DEP_1) | instskip(NEXT) | instid1(VALU_DEP_1)
	v_fma_mix_f32 v94, v59, v10, v94 op_sel_hi:[1,1,0]
	v_fma_mix_f32 v94, v62, v10, v94 op_sel:[0,1,0] op_sel_hi:[1,1,0]
	s_delay_alu instid0(VALU_DEP_1) | instskip(NEXT) | instid1(VALU_DEP_1)
	v_fma_mix_f32 v94, v65, v11, v94 op_sel_hi:[1,1,0]
	v_fma_mix_f32 v94, v68, v11, v94 op_sel:[0,1,0] op_sel_hi:[1,1,0]
	s_delay_alu instid0(VALU_DEP_1) | instskip(NEXT) | instid1(VALU_DEP_1)
	v_fma_mixlo_f16 v94, v94, v23, 0 op_sel_hi:[0,1,0]
	v_add_f16_e32 v91, v91, v94
	v_fma_mix_f32 v94, v45, v8, 0 op_sel_hi:[1,1,0]
	s_delay_alu instid0(VALU_DEP_1) | instskip(NEXT) | instid1(VALU_DEP_1)
	v_fma_mix_f32 v94, v48, v8, v94 op_sel:[0,1,0] op_sel_hi:[1,1,0]
	v_fma_mix_f32 v94, v51, v9, v94 op_sel_hi:[1,1,0]
	s_delay_alu instid0(VALU_DEP_1) | instskip(NEXT) | instid1(VALU_DEP_1)
	v_fma_mix_f32 v94, v54, v9, v94 op_sel:[0,1,0] op_sel_hi:[1,1,0]
	v_fma_mix_f32 v94, v57, v10, v94 op_sel_hi:[1,1,0]
	s_delay_alu instid0(VALU_DEP_1) | instskip(NEXT) | instid1(VALU_DEP_1)
	v_fma_mix_f32 v94, v60, v10, v94 op_sel:[0,1,0] op_sel_hi:[1,1,0]
	v_fma_mix_f32 v94, v63, v11, v94 op_sel_hi:[1,1,0]
	s_delay_alu instid0(VALU_DEP_1) | instskip(NEXT) | instid1(VALU_DEP_1)
	v_fma_mix_f32 v94, v66, v11, v94 op_sel:[0,1,0] op_sel_hi:[1,1,0]
	v_fma_mixlo_f16 v94, v94, v19, 0 op_sel_hi:[0,1,0]
	s_delay_alu instid0(VALU_DEP_1) | instskip(SKIP_1) | instid1(VALU_DEP_1)
	v_add_f16_e32 v92, v92, v94
	v_fma_mix_f32 v94, v44, v8, 0 op_sel_hi:[1,1,0]
	v_fma_mix_f32 v8, v46, v8, v94 op_sel:[0,1,0] op_sel_hi:[1,1,0]
	s_delay_alu instid0(VALU_DEP_1) | instskip(NEXT) | instid1(VALU_DEP_1)
	v_fma_mix_f32 v8, v43, v9, v8 op_sel_hi:[1,1,0]
	v_fma_mix_f32 v8, v42, v9, v8 op_sel:[0,1,0] op_sel_hi:[1,1,0]
	s_delay_alu instid0(VALU_DEP_1) | instskip(NEXT) | instid1(VALU_DEP_1)
	v_fma_mix_f32 v8, v41, v10, v8 op_sel_hi:[1,1,0]
	v_fma_mix_f32 v8, v40, v10, v8 op_sel:[0,1,0] op_sel_hi:[1,1,0]
	s_delay_alu instid0(VALU_DEP_1) | instskip(NEXT) | instid1(VALU_DEP_1)
	v_fma_mix_f32 v8, v39, v11, v8 op_sel_hi:[1,1,0]
	v_fma_mix_f32 v8, v38, v11, v8 op_sel:[0,1,0] op_sel_hi:[1,1,0]
	s_delay_alu instid0(VALU_DEP_1) | instskip(NEXT) | instid1(VALU_DEP_1)
	v_fma_mixlo_f16 v8, v8, v26, 0 op_sel_hi:[0,1,0]
	;; [unrolled: 60-line block ×4, first 2 shown]
	v_add_f16_e32 v53, v14, v8
	v_add_co_u32 v8, vcc_lo, v12, s0
	v_add_co_ci_u32_e32 v9, vcc_lo, s1, v13, vcc_lo
	s_delay_alu instid0(VALU_DEP_2)
	v_add_co_u32 v20, vcc_lo, v8, s0
	global_load_b128 v[12:15], v[8:9], off
	v_add_co_ci_u32_e32 v21, vcc_lo, s1, v9, vcc_lo
	global_load_b128 v[8:11], v[20:21], off
	s_waitcnt vmcnt(1)
	v_and_b32_e32 v38, 0xff, v12
	s_delay_alu instid0(VALU_DEP_1) | instskip(NEXT) | instid1(VALU_DEP_1)
	v_sub_nc_u32_e32 v38, v38, v33
	v_cvt_f32_i32_e32 v38, v38
	s_delay_alu instid0(VALU_DEP_1) | instskip(SKIP_1) | instid1(VALU_DEP_1)
	v_cvt_f16_f32_e32 v54, v38
	v_bfe_u32 v38, v12, 8, 8
	v_sub_nc_u32_e32 v38, v38, v33
	s_delay_alu instid0(VALU_DEP_1) | instskip(NEXT) | instid1(VALU_DEP_1)
	v_cvt_f32_i32_e32 v38, v38
	v_cvt_f16_f32_e32 v55, v38
	v_bfe_u32 v38, v12, 16, 8
	v_lshrrev_b32_e32 v12, 24, v12
	s_delay_alu instid0(VALU_DEP_2) | instskip(NEXT) | instid1(VALU_DEP_2)
	v_sub_nc_u32_e32 v38, v38, v33
	v_sub_nc_u32_e32 v12, v12, v33
	s_delay_alu instid0(VALU_DEP_2) | instskip(NEXT) | instid1(VALU_DEP_2)
	v_cvt_f32_i32_e32 v38, v38
	v_cvt_f32_i32_e32 v12, v12
	s_delay_alu instid0(VALU_DEP_2) | instskip(SKIP_2) | instid1(VALU_DEP_3)
	v_cvt_f16_f32_e32 v56, v38
	s_waitcnt vmcnt(0)
	v_and_b32_e32 v38, 0xff, v8
	v_cvt_f16_f32_e32 v12, v12
	s_delay_alu instid0(VALU_DEP_2) | instskip(NEXT) | instid1(VALU_DEP_1)
	v_sub_nc_u32_e32 v38, v38, v33
	v_cvt_f32_i32_e32 v38, v38
	s_delay_alu instid0(VALU_DEP_1) | instskip(SKIP_1) | instid1(VALU_DEP_1)
	v_cvt_f16_f32_e32 v57, v38
	v_bfe_u32 v38, v8, 8, 8
	v_sub_nc_u32_e32 v38, v38, v33
	s_delay_alu instid0(VALU_DEP_1) | instskip(NEXT) | instid1(VALU_DEP_1)
	v_cvt_f32_i32_e32 v38, v38
	v_cvt_f16_f32_e32 v58, v38
	v_bfe_u32 v38, v8, 16, 8
	v_lshrrev_b32_e32 v8, 24, v8
	s_delay_alu instid0(VALU_DEP_2) | instskip(NEXT) | instid1(VALU_DEP_2)
	v_sub_nc_u32_e32 v38, v38, v33
	v_sub_nc_u32_e32 v8, v8, v33
	s_delay_alu instid0(VALU_DEP_2) | instskip(NEXT) | instid1(VALU_DEP_2)
	v_cvt_f32_i32_e32 v38, v38
	v_cvt_f32_i32_e32 v8, v8
	s_delay_alu instid0(VALU_DEP_2) | instskip(SKIP_1) | instid1(VALU_DEP_3)
	v_cvt_f16_f32_e32 v59, v38
	v_and_b32_e32 v38, 0xff, v13
	v_cvt_f16_f32_e32 v8, v8
	s_delay_alu instid0(VALU_DEP_2) | instskip(NEXT) | instid1(VALU_DEP_1)
	v_sub_nc_u32_e32 v38, v38, v32
	v_cvt_f32_i32_e32 v38, v38
	s_delay_alu instid0(VALU_DEP_1) | instskip(SKIP_1) | instid1(VALU_DEP_1)
	v_cvt_f16_f32_e32 v60, v38
	v_bfe_u32 v38, v13, 8, 8
	v_sub_nc_u32_e32 v38, v38, v32
	s_delay_alu instid0(VALU_DEP_1) | instskip(NEXT) | instid1(VALU_DEP_1)
	v_cvt_f32_i32_e32 v38, v38
	v_cvt_f16_f32_e32 v61, v38
	v_bfe_u32 v38, v13, 16, 8
	v_lshrrev_b32_e32 v13, 24, v13
	s_delay_alu instid0(VALU_DEP_2) | instskip(NEXT) | instid1(VALU_DEP_2)
	v_sub_nc_u32_e32 v38, v38, v32
	v_sub_nc_u32_e32 v13, v13, v32
	s_delay_alu instid0(VALU_DEP_2) | instskip(NEXT) | instid1(VALU_DEP_2)
	v_cvt_f32_i32_e32 v38, v38
	v_cvt_f32_i32_e32 v13, v13
	s_delay_alu instid0(VALU_DEP_2) | instskip(SKIP_1) | instid1(VALU_DEP_3)
	v_cvt_f16_f32_e32 v62, v38
	;; [unrolled: 22-line block ×4, first 2 shown]
	v_and_b32_e32 v38, 0xff, v10
	v_cvt_f16_f32_e32 v14, v14
	s_delay_alu instid0(VALU_DEP_2) | instskip(NEXT) | instid1(VALU_DEP_1)
	v_sub_nc_u32_e32 v38, v38, v31
	v_cvt_f32_i32_e32 v38, v38
	s_delay_alu instid0(VALU_DEP_1) | instskip(SKIP_1) | instid1(VALU_DEP_1)
	v_cvt_f16_f32_e32 v69, v38
	v_bfe_u32 v38, v10, 8, 8
	v_sub_nc_u32_e32 v38, v38, v31
	s_delay_alu instid0(VALU_DEP_1) | instskip(NEXT) | instid1(VALU_DEP_1)
	v_cvt_f32_i32_e32 v38, v38
	v_cvt_f16_f32_e32 v95, v38
	v_bfe_u32 v38, v10, 16, 8
	v_lshrrev_b32_e32 v10, 24, v10
	s_delay_alu instid0(VALU_DEP_2) | instskip(NEXT) | instid1(VALU_DEP_2)
	v_sub_nc_u32_e32 v38, v38, v31
	v_sub_nc_u32_e32 v10, v10, v31
	s_delay_alu instid0(VALU_DEP_2) | instskip(NEXT) | instid1(VALU_DEP_2)
	v_cvt_f32_i32_e32 v38, v38
	v_cvt_f32_i32_e32 v10, v10
	s_delay_alu instid0(VALU_DEP_2) | instskip(NEXT) | instid1(VALU_DEP_2)
	v_cvt_f16_f32_e32 v96, v38
	v_cvt_f16_f32_e32 v97, v10
	v_and_b32_e32 v10, 0xff, v15
	s_delay_alu instid0(VALU_DEP_1) | instskip(NEXT) | instid1(VALU_DEP_1)
	v_sub_nc_u32_e32 v10, v10, v30
	v_cvt_f32_i32_e32 v10, v10
	s_delay_alu instid0(VALU_DEP_1) | instskip(SKIP_1) | instid1(VALU_DEP_1)
	v_cvt_f16_f32_e32 v98, v10
	v_bfe_u32 v10, v15, 8, 8
	v_sub_nc_u32_e32 v10, v10, v30
	s_delay_alu instid0(VALU_DEP_1) | instskip(NEXT) | instid1(VALU_DEP_1)
	v_cvt_f32_i32_e32 v10, v10
	v_cvt_f16_f32_e32 v99, v10
	v_bfe_u32 v10, v15, 16, 8
	s_delay_alu instid0(VALU_DEP_1) | instskip(NEXT) | instid1(VALU_DEP_1)
	v_sub_nc_u32_e32 v10, v10, v30
	v_cvt_f32_i32_e32 v10, v10
	s_delay_alu instid0(VALU_DEP_1) | instskip(SKIP_1) | instid1(VALU_DEP_1)
	v_cvt_f16_f32_e32 v100, v10
	v_lshrrev_b32_e32 v10, 24, v15
	v_sub_nc_u32_e32 v10, v10, v30
	s_delay_alu instid0(VALU_DEP_1) | instskip(NEXT) | instid1(VALU_DEP_1)
	v_cvt_f32_i32_e32 v10, v10
	v_cvt_f16_f32_e32 v15, v10
	v_and_b32_e32 v10, 0xff, v11
	s_delay_alu instid0(VALU_DEP_1) | instskip(NEXT) | instid1(VALU_DEP_1)
	v_sub_nc_u32_e32 v10, v10, v30
	v_cvt_f32_i32_e32 v10, v10
	s_delay_alu instid0(VALU_DEP_1) | instskip(SKIP_1) | instid1(VALU_DEP_1)
	v_cvt_f16_f32_e32 v101, v10
	v_bfe_u32 v10, v11, 8, 8
	v_sub_nc_u32_e32 v10, v10, v30
	s_delay_alu instid0(VALU_DEP_1) | instskip(NEXT) | instid1(VALU_DEP_1)
	v_cvt_f32_i32_e32 v10, v10
	v_cvt_f16_f32_e32 v102, v10
	v_bfe_u32 v10, v11, 16, 8
	s_delay_alu instid0(VALU_DEP_1) | instskip(NEXT) | instid1(VALU_DEP_1)
	v_sub_nc_u32_e32 v10, v10, v30
	v_cvt_f32_i32_e32 v10, v10
	s_delay_alu instid0(VALU_DEP_1) | instskip(SKIP_1) | instid1(VALU_DEP_1)
	v_cvt_f16_f32_e32 v103, v10
	v_lshrrev_b32_e32 v10, 24, v11
	v_sub_nc_u32_e32 v10, v10, v30
	s_delay_alu instid0(VALU_DEP_1) | instskip(NEXT) | instid1(VALU_DEP_1)
	v_cvt_f32_i32_e32 v10, v10
	v_cvt_f16_f32_e32 v11, v10
	v_fma_mix_f32 v10, v54, v4, 0 op_sel_hi:[1,1,0]
	s_delay_alu instid0(VALU_DEP_1) | instskip(NEXT) | instid1(VALU_DEP_1)
	v_fma_mix_f32 v10, v55, v4, v10 op_sel:[0,1,0] op_sel_hi:[1,1,0]
	v_fma_mix_f32 v10, v56, v5, v10 op_sel_hi:[1,1,0]
	s_delay_alu instid0(VALU_DEP_1) | instskip(NEXT) | instid1(VALU_DEP_1)
	v_fma_mix_f32 v10, v12, v5, v10 op_sel:[0,1,0] op_sel_hi:[1,1,0]
	;; [unrolled: 3-line block ×4, first 2 shown]
	v_fma_mixlo_f16 v10, v10, v18, 0 op_sel_hi:[0,1,0]
	s_delay_alu instid0(VALU_DEP_1) | instskip(SKIP_1) | instid1(VALU_DEP_1)
	v_add_f16_e32 v37, v37, v10
	v_fma_mix_f32 v10, v60, v4, 0 op_sel_hi:[1,1,0]
	v_fma_mix_f32 v10, v61, v4, v10 op_sel:[0,1,0] op_sel_hi:[1,1,0]
	s_delay_alu instid0(VALU_DEP_1) | instskip(NEXT) | instid1(VALU_DEP_1)
	v_fma_mix_f32 v10, v62, v5, v10 op_sel_hi:[1,1,0]
	v_fma_mix_f32 v10, v13, v5, v10 op_sel:[0,1,0] op_sel_hi:[1,1,0]
	s_delay_alu instid0(VALU_DEP_1) | instskip(NEXT) | instid1(VALU_DEP_1)
	;; [unrolled: 3-line block ×4, first 2 shown]
	v_fma_mixlo_f16 v10, v10, v23, 0 op_sel_hi:[0,1,0]
	v_add_f16_e32 v36, v36, v10
	v_fma_mix_f32 v10, v66, v4, 0 op_sel_hi:[1,1,0]
	s_delay_alu instid0(VALU_DEP_1) | instskip(NEXT) | instid1(VALU_DEP_1)
	v_fma_mix_f32 v10, v67, v4, v10 op_sel:[0,1,0] op_sel_hi:[1,1,0]
	v_fma_mix_f32 v10, v68, v5, v10 op_sel_hi:[1,1,0]
	s_delay_alu instid0(VALU_DEP_1) | instskip(NEXT) | instid1(VALU_DEP_1)
	v_fma_mix_f32 v10, v14, v5, v10 op_sel:[0,1,0] op_sel_hi:[1,1,0]
	;; [unrolled: 3-line block ×4, first 2 shown]
	v_fma_mixlo_f16 v10, v10, v19, 0 op_sel_hi:[0,1,0]
	s_delay_alu instid0(VALU_DEP_1) | instskip(SKIP_1) | instid1(VALU_DEP_1)
	v_add_f16_e32 v104, v35, v10
	v_fma_mix_f32 v10, v98, v4, 0 op_sel_hi:[1,1,0]
	v_fma_mix_f32 v4, v99, v4, v10 op_sel:[0,1,0] op_sel_hi:[1,1,0]
	s_delay_alu instid0(VALU_DEP_1) | instskip(NEXT) | instid1(VALU_DEP_1)
	v_fma_mix_f32 v4, v100, v5, v4 op_sel_hi:[1,1,0]
	v_fma_mix_f32 v4, v15, v5, v4 op_sel:[0,1,0] op_sel_hi:[1,1,0]
	s_delay_alu instid0(VALU_DEP_1) | instskip(NEXT) | instid1(VALU_DEP_1)
	v_fma_mix_f32 v4, v101, v6, v4 op_sel_hi:[1,1,0]
	v_fma_mix_f32 v4, v102, v6, v4 op_sel:[0,1,0] op_sel_hi:[1,1,0]
	s_delay_alu instid0(VALU_DEP_1) | instskip(NEXT) | instid1(VALU_DEP_1)
	v_fma_mix_f32 v4, v103, v7, v4 op_sel_hi:[1,1,0]
	v_fma_mix_f32 v4, v11, v7, v4 op_sel:[0,1,0] op_sel_hi:[1,1,0]
	s_delay_alu instid0(VALU_DEP_1) | instskip(NEXT) | instid1(VALU_DEP_1)
	v_fma_mixlo_f16 v4, v4, v26, 0 op_sel_hi:[0,1,0]
	v_add_f16_e32 v105, v34, v4
	ds_load_b128 v[4:7], v29 offset:288
	s_waitcnt lgkmcnt(0)
	v_fma_mix_f32 v10, v54, v4, 0 op_sel_hi:[1,1,0]
	s_delay_alu instid0(VALU_DEP_1) | instskip(NEXT) | instid1(VALU_DEP_1)
	v_fma_mix_f32 v10, v55, v4, v10 op_sel:[0,1,0] op_sel_hi:[1,1,0]
	v_fma_mix_f32 v10, v56, v5, v10 op_sel_hi:[1,1,0]
	s_delay_alu instid0(VALU_DEP_1) | instskip(NEXT) | instid1(VALU_DEP_1)
	v_fma_mix_f32 v10, v12, v5, v10 op_sel:[0,1,0] op_sel_hi:[1,1,0]
	;; [unrolled: 3-line block ×4, first 2 shown]
	v_fma_mixlo_f16 v10, v10, v18, 0 op_sel_hi:[0,1,0]
	s_delay_alu instid0(VALU_DEP_1) | instskip(SKIP_1) | instid1(VALU_DEP_1)
	v_add_f16_e32 v34, v70, v10
	v_fma_mix_f32 v10, v60, v4, 0 op_sel_hi:[1,1,0]
	v_fma_mix_f32 v10, v61, v4, v10 op_sel:[0,1,0] op_sel_hi:[1,1,0]
	s_delay_alu instid0(VALU_DEP_1) | instskip(NEXT) | instid1(VALU_DEP_1)
	v_fma_mix_f32 v10, v62, v5, v10 op_sel_hi:[1,1,0]
	v_fma_mix_f32 v10, v13, v5, v10 op_sel:[0,1,0] op_sel_hi:[1,1,0]
	s_delay_alu instid0(VALU_DEP_1) | instskip(NEXT) | instid1(VALU_DEP_1)
	;; [unrolled: 3-line block ×4, first 2 shown]
	v_fma_mixlo_f16 v10, v10, v23, 0 op_sel_hi:[0,1,0]
	v_add_f16_e32 v35, v71, v10
	v_fma_mix_f32 v10, v66, v4, 0 op_sel_hi:[1,1,0]
	s_delay_alu instid0(VALU_DEP_1) | instskip(NEXT) | instid1(VALU_DEP_1)
	v_fma_mix_f32 v10, v67, v4, v10 op_sel:[0,1,0] op_sel_hi:[1,1,0]
	v_fma_mix_f32 v10, v68, v5, v10 op_sel_hi:[1,1,0]
	s_delay_alu instid0(VALU_DEP_1) | instskip(NEXT) | instid1(VALU_DEP_1)
	v_fma_mix_f32 v10, v14, v5, v10 op_sel:[0,1,0] op_sel_hi:[1,1,0]
	;; [unrolled: 3-line block ×4, first 2 shown]
	v_fma_mixlo_f16 v10, v10, v19, 0 op_sel_hi:[0,1,0]
	s_delay_alu instid0(VALU_DEP_1) | instskip(SKIP_1) | instid1(VALU_DEP_1)
	v_add_f16_e32 v40, v72, v10
	v_fma_mix_f32 v10, v98, v4, 0 op_sel_hi:[1,1,0]
	v_fma_mix_f32 v4, v99, v4, v10 op_sel:[0,1,0] op_sel_hi:[1,1,0]
	s_delay_alu instid0(VALU_DEP_1) | instskip(NEXT) | instid1(VALU_DEP_1)
	v_fma_mix_f32 v4, v100, v5, v4 op_sel_hi:[1,1,0]
	v_fma_mix_f32 v4, v15, v5, v4 op_sel:[0,1,0] op_sel_hi:[1,1,0]
	s_delay_alu instid0(VALU_DEP_1) | instskip(NEXT) | instid1(VALU_DEP_1)
	;; [unrolled: 3-line block ×4, first 2 shown]
	v_fma_mixlo_f16 v4, v4, v26, 0 op_sel_hi:[0,1,0]
	v_add_f16_e32 v41, v73, v4
	ds_load_b128 v[4:7], v29 offset:544
	ds_load_b128 v[70:73], v29 offset:1824
	s_waitcnt lgkmcnt(1)
	v_fma_mix_f32 v10, v54, v4, 0 op_sel_hi:[1,1,0]
	s_delay_alu instid0(VALU_DEP_1) | instskip(NEXT) | instid1(VALU_DEP_1)
	v_fma_mix_f32 v10, v55, v4, v10 op_sel:[0,1,0] op_sel_hi:[1,1,0]
	v_fma_mix_f32 v10, v56, v5, v10 op_sel_hi:[1,1,0]
	s_delay_alu instid0(VALU_DEP_1) | instskip(NEXT) | instid1(VALU_DEP_1)
	v_fma_mix_f32 v10, v12, v5, v10 op_sel:[0,1,0] op_sel_hi:[1,1,0]
	v_fma_mix_f32 v10, v57, v6, v10 op_sel_hi:[1,1,0]
	s_delay_alu instid0(VALU_DEP_1) | instskip(NEXT) | instid1(VALU_DEP_1)
	v_fma_mix_f32 v10, v58, v6, v10 op_sel:[0,1,0] op_sel_hi:[1,1,0]
	v_fma_mix_f32 v10, v59, v7, v10 op_sel_hi:[1,1,0]
	s_delay_alu instid0(VALU_DEP_1) | instskip(NEXT) | instid1(VALU_DEP_1)
	v_fma_mix_f32 v10, v8, v7, v10 op_sel:[0,1,0] op_sel_hi:[1,1,0]
	v_fma_mixlo_f16 v10, v10, v18, 0 op_sel_hi:[0,1,0]
	s_delay_alu instid0(VALU_DEP_1) | instskip(SKIP_1) | instid1(VALU_DEP_1)
	v_add_f16_e32 v38, v74, v10
	v_fma_mix_f32 v10, v60, v4, 0 op_sel_hi:[1,1,0]
	v_fma_mix_f32 v10, v61, v4, v10 op_sel:[0,1,0] op_sel_hi:[1,1,0]
	s_delay_alu instid0(VALU_DEP_1) | instskip(NEXT) | instid1(VALU_DEP_1)
	v_fma_mix_f32 v10, v62, v5, v10 op_sel_hi:[1,1,0]
	v_fma_mix_f32 v10, v13, v5, v10 op_sel:[0,1,0] op_sel_hi:[1,1,0]
	s_delay_alu instid0(VALU_DEP_1) | instskip(NEXT) | instid1(VALU_DEP_1)
	v_fma_mix_f32 v10, v63, v6, v10 op_sel_hi:[1,1,0]
	v_fma_mix_f32 v10, v64, v6, v10 op_sel:[0,1,0] op_sel_hi:[1,1,0]
	s_delay_alu instid0(VALU_DEP_1) | instskip(NEXT) | instid1(VALU_DEP_1)
	v_fma_mix_f32 v10, v65, v7, v10 op_sel_hi:[1,1,0]
	v_fma_mix_f32 v10, v9, v7, v10 op_sel:[0,1,0] op_sel_hi:[1,1,0]
	s_delay_alu instid0(VALU_DEP_1) | instskip(NEXT) | instid1(VALU_DEP_1)
	v_fma_mixlo_f16 v10, v10, v23, 0 op_sel_hi:[0,1,0]
	v_add_f16_e32 v39, v75, v10
	v_fma_mix_f32 v10, v66, v4, 0 op_sel_hi:[1,1,0]
	s_delay_alu instid0(VALU_DEP_1) | instskip(NEXT) | instid1(VALU_DEP_1)
	v_fma_mix_f32 v10, v67, v4, v10 op_sel:[0,1,0] op_sel_hi:[1,1,0]
	v_fma_mix_f32 v10, v68, v5, v10 op_sel_hi:[1,1,0]
	s_delay_alu instid0(VALU_DEP_1) | instskip(NEXT) | instid1(VALU_DEP_1)
	v_fma_mix_f32 v10, v14, v5, v10 op_sel:[0,1,0] op_sel_hi:[1,1,0]
	v_fma_mix_f32 v10, v69, v6, v10 op_sel_hi:[1,1,0]
	s_delay_alu instid0(VALU_DEP_1) | instskip(NEXT) | instid1(VALU_DEP_1)
	v_fma_mix_f32 v10, v95, v6, v10 op_sel:[0,1,0] op_sel_hi:[1,1,0]
	v_fma_mix_f32 v10, v96, v7, v10 op_sel_hi:[1,1,0]
	s_delay_alu instid0(VALU_DEP_1) | instskip(NEXT) | instid1(VALU_DEP_1)
	v_fma_mix_f32 v10, v97, v7, v10 op_sel:[0,1,0] op_sel_hi:[1,1,0]
	v_fma_mixlo_f16 v10, v10, v19, 0 op_sel_hi:[0,1,0]
	s_delay_alu instid0(VALU_DEP_1) | instskip(SKIP_1) | instid1(VALU_DEP_1)
	v_add_f16_e32 v44, v76, v10
	v_fma_mix_f32 v10, v98, v4, 0 op_sel_hi:[1,1,0]
	v_fma_mix_f32 v4, v99, v4, v10 op_sel:[0,1,0] op_sel_hi:[1,1,0]
	s_delay_alu instid0(VALU_DEP_1) | instskip(NEXT) | instid1(VALU_DEP_1)
	v_fma_mix_f32 v4, v100, v5, v4 op_sel_hi:[1,1,0]
	v_fma_mix_f32 v4, v15, v5, v4 op_sel:[0,1,0] op_sel_hi:[1,1,0]
	s_delay_alu instid0(VALU_DEP_1) | instskip(NEXT) | instid1(VALU_DEP_1)
	v_fma_mix_f32 v4, v101, v6, v4 op_sel_hi:[1,1,0]
	v_fma_mix_f32 v4, v102, v6, v4 op_sel:[0,1,0] op_sel_hi:[1,1,0]
	s_delay_alu instid0(VALU_DEP_1) | instskip(NEXT) | instid1(VALU_DEP_1)
	v_fma_mix_f32 v4, v103, v7, v4 op_sel_hi:[1,1,0]
	v_fma_mix_f32 v4, v11, v7, v4 op_sel:[0,1,0] op_sel_hi:[1,1,0]
	s_delay_alu instid0(VALU_DEP_1) | instskip(NEXT) | instid1(VALU_DEP_1)
	v_fma_mixlo_f16 v4, v4, v26, 0 op_sel_hi:[0,1,0]
	v_add_f16_e32 v45, v77, v4
	ds_load_b128 v[4:7], v29 offset:800
	s_waitcnt lgkmcnt(0)
	v_fma_mix_f32 v10, v54, v4, 0 op_sel_hi:[1,1,0]
	s_delay_alu instid0(VALU_DEP_1) | instskip(NEXT) | instid1(VALU_DEP_1)
	v_fma_mix_f32 v10, v55, v4, v10 op_sel:[0,1,0] op_sel_hi:[1,1,0]
	v_fma_mix_f32 v10, v56, v5, v10 op_sel_hi:[1,1,0]
	s_delay_alu instid0(VALU_DEP_1) | instskip(NEXT) | instid1(VALU_DEP_1)
	v_fma_mix_f32 v10, v12, v5, v10 op_sel:[0,1,0] op_sel_hi:[1,1,0]
	v_fma_mix_f32 v10, v57, v6, v10 op_sel_hi:[1,1,0]
	s_delay_alu instid0(VALU_DEP_1) | instskip(NEXT) | instid1(VALU_DEP_1)
	v_fma_mix_f32 v10, v58, v6, v10 op_sel:[0,1,0] op_sel_hi:[1,1,0]
	v_fma_mix_f32 v10, v59, v7, v10 op_sel_hi:[1,1,0]
	s_delay_alu instid0(VALU_DEP_1) | instskip(NEXT) | instid1(VALU_DEP_1)
	v_fma_mix_f32 v10, v8, v7, v10 op_sel:[0,1,0] op_sel_hi:[1,1,0]
	v_fma_mixlo_f16 v10, v10, v18, 0 op_sel_hi:[0,1,0]
	s_delay_alu instid0(VALU_DEP_1) | instskip(SKIP_1) | instid1(VALU_DEP_1)
	v_add_f16_e32 v42, v78, v10
	v_fma_mix_f32 v10, v60, v4, 0 op_sel_hi:[1,1,0]
	v_fma_mix_f32 v10, v61, v4, v10 op_sel:[0,1,0] op_sel_hi:[1,1,0]
	s_delay_alu instid0(VALU_DEP_1) | instskip(NEXT) | instid1(VALU_DEP_1)
	v_fma_mix_f32 v10, v62, v5, v10 op_sel_hi:[1,1,0]
	v_fma_mix_f32 v10, v13, v5, v10 op_sel:[0,1,0] op_sel_hi:[1,1,0]
	s_delay_alu instid0(VALU_DEP_1) | instskip(NEXT) | instid1(VALU_DEP_1)
	v_fma_mix_f32 v10, v63, v6, v10 op_sel_hi:[1,1,0]
	v_fma_mix_f32 v10, v64, v6, v10 op_sel:[0,1,0] op_sel_hi:[1,1,0]
	s_delay_alu instid0(VALU_DEP_1) | instskip(NEXT) | instid1(VALU_DEP_1)
	v_fma_mix_f32 v10, v65, v7, v10 op_sel_hi:[1,1,0]
	v_fma_mix_f32 v10, v9, v7, v10 op_sel:[0,1,0] op_sel_hi:[1,1,0]
	s_delay_alu instid0(VALU_DEP_1) | instskip(NEXT) | instid1(VALU_DEP_1)
	v_fma_mixlo_f16 v10, v10, v23, 0 op_sel_hi:[0,1,0]
	v_add_f16_e32 v43, v79, v10
	v_fma_mix_f32 v10, v66, v4, 0 op_sel_hi:[1,1,0]
	s_delay_alu instid0(VALU_DEP_1) | instskip(NEXT) | instid1(VALU_DEP_1)
	v_fma_mix_f32 v10, v67, v4, v10 op_sel:[0,1,0] op_sel_hi:[1,1,0]
	v_fma_mix_f32 v10, v68, v5, v10 op_sel_hi:[1,1,0]
	s_delay_alu instid0(VALU_DEP_1) | instskip(NEXT) | instid1(VALU_DEP_1)
	v_fma_mix_f32 v10, v14, v5, v10 op_sel:[0,1,0] op_sel_hi:[1,1,0]
	v_fma_mix_f32 v10, v69, v6, v10 op_sel_hi:[1,1,0]
	s_delay_alu instid0(VALU_DEP_1) | instskip(NEXT) | instid1(VALU_DEP_1)
	v_fma_mix_f32 v10, v95, v6, v10 op_sel:[0,1,0] op_sel_hi:[1,1,0]
	v_fma_mix_f32 v10, v96, v7, v10 op_sel_hi:[1,1,0]
	s_delay_alu instid0(VALU_DEP_1) | instskip(NEXT) | instid1(VALU_DEP_1)
	v_fma_mix_f32 v10, v97, v7, v10 op_sel:[0,1,0] op_sel_hi:[1,1,0]
	v_fma_mixlo_f16 v10, v10, v19, 0 op_sel_hi:[0,1,0]
	s_delay_alu instid0(VALU_DEP_1) | instskip(SKIP_1) | instid1(VALU_DEP_1)
	v_add_f16_e32 v48, v80, v10
	v_fma_mix_f32 v10, v98, v4, 0 op_sel_hi:[1,1,0]
	v_fma_mix_f32 v4, v99, v4, v10 op_sel:[0,1,0] op_sel_hi:[1,1,0]
	s_delay_alu instid0(VALU_DEP_1) | instskip(NEXT) | instid1(VALU_DEP_1)
	v_fma_mix_f32 v4, v100, v5, v4 op_sel_hi:[1,1,0]
	v_fma_mix_f32 v4, v15, v5, v4 op_sel:[0,1,0] op_sel_hi:[1,1,0]
	s_delay_alu instid0(VALU_DEP_1) | instskip(NEXT) | instid1(VALU_DEP_1)
	v_fma_mix_f32 v4, v101, v6, v4 op_sel_hi:[1,1,0]
	v_fma_mix_f32 v4, v102, v6, v4 op_sel:[0,1,0] op_sel_hi:[1,1,0]
	s_delay_alu instid0(VALU_DEP_1) | instskip(NEXT) | instid1(VALU_DEP_1)
	v_fma_mix_f32 v4, v103, v7, v4 op_sel_hi:[1,1,0]
	v_fma_mix_f32 v4, v11, v7, v4 op_sel:[0,1,0] op_sel_hi:[1,1,0]
	s_delay_alu instid0(VALU_DEP_1) | instskip(NEXT) | instid1(VALU_DEP_1)
	v_fma_mixlo_f16 v4, v4, v26, 0 op_sel_hi:[0,1,0]
	v_add_f16_e32 v49, v81, v4
	;; [unrolled: 60-line block ×5, first 2 shown]
	v_fma_mix_f32 v4, v54, v70, 0 op_sel_hi:[1,1,0]
	s_delay_alu instid0(VALU_DEP_1) | instskip(NEXT) | instid1(VALU_DEP_1)
	v_fma_mix_f32 v4, v55, v70, v4 op_sel:[0,1,0] op_sel_hi:[1,1,0]
	v_fma_mix_f32 v4, v56, v71, v4 op_sel_hi:[1,1,0]
	s_delay_alu instid0(VALU_DEP_1) | instskip(NEXT) | instid1(VALU_DEP_1)
	v_fma_mix_f32 v4, v12, v71, v4 op_sel:[0,1,0] op_sel_hi:[1,1,0]
	v_fma_mix_f32 v4, v57, v72, v4 op_sel_hi:[1,1,0]
	s_delay_alu instid0(VALU_DEP_1) | instskip(NEXT) | instid1(VALU_DEP_1)
	v_fma_mix_f32 v4, v58, v72, v4 op_sel:[0,1,0] op_sel_hi:[1,1,0]
	v_fma_mix_f32 v4, v59, v73, v4 op_sel_hi:[1,1,0]
	s_delay_alu instid0(VALU_DEP_1) | instskip(NEXT) | instid1(VALU_DEP_1)
	v_fma_mix_f32 v4, v8, v73, v4 op_sel:[0,1,0] op_sel_hi:[1,1,0]
	v_fma_mixlo_f16 v4, v4, v18, 0 op_sel_hi:[0,1,0]
	s_delay_alu instid0(VALU_DEP_1) | instskip(SKIP_1) | instid1(VALU_DEP_1)
	v_add_f16_e32 v10, v52, v4
	v_fma_mix_f32 v4, v60, v70, 0 op_sel_hi:[1,1,0]
	v_fma_mix_f32 v4, v61, v70, v4 op_sel:[0,1,0] op_sel_hi:[1,1,0]
	s_delay_alu instid0(VALU_DEP_1) | instskip(NEXT) | instid1(VALU_DEP_1)
	v_fma_mix_f32 v4, v62, v71, v4 op_sel_hi:[1,1,0]
	v_fma_mix_f32 v4, v13, v71, v4 op_sel:[0,1,0] op_sel_hi:[1,1,0]
	s_delay_alu instid0(VALU_DEP_1) | instskip(NEXT) | instid1(VALU_DEP_1)
	;; [unrolled: 3-line block ×4, first 2 shown]
	v_fma_mixlo_f16 v4, v4, v23, 0 op_sel_hi:[0,1,0]
	v_add_f16_e32 v8, v50, v4
	v_fma_mix_f32 v4, v66, v70, 0 op_sel_hi:[1,1,0]
	s_delay_alu instid0(VALU_DEP_1) | instskip(NEXT) | instid1(VALU_DEP_1)
	v_fma_mix_f32 v4, v67, v70, v4 op_sel:[0,1,0] op_sel_hi:[1,1,0]
	v_fma_mix_f32 v4, v68, v71, v4 op_sel_hi:[1,1,0]
	s_delay_alu instid0(VALU_DEP_1) | instskip(NEXT) | instid1(VALU_DEP_1)
	v_fma_mix_f32 v4, v14, v71, v4 op_sel:[0,1,0] op_sel_hi:[1,1,0]
	;; [unrolled: 3-line block ×4, first 2 shown]
	v_fma_mixlo_f16 v4, v4, v19, 0 op_sel_hi:[0,1,0]
	s_delay_alu instid0(VALU_DEP_1) | instskip(SKIP_1) | instid1(VALU_DEP_1)
	v_add_f16_e32 v7, v51, v4
	v_fma_mix_f32 v4, v98, v70, 0 op_sel_hi:[1,1,0]
	v_fma_mix_f32 v4, v99, v70, v4 op_sel:[0,1,0] op_sel_hi:[1,1,0]
	s_delay_alu instid0(VALU_DEP_1) | instskip(NEXT) | instid1(VALU_DEP_1)
	v_fma_mix_f32 v4, v100, v71, v4 op_sel_hi:[1,1,0]
	v_fma_mix_f32 v4, v15, v71, v4 op_sel:[0,1,0] op_sel_hi:[1,1,0]
	s_delay_alu instid0(VALU_DEP_1) | instskip(NEXT) | instid1(VALU_DEP_1)
	;; [unrolled: 3-line block ×4, first 2 shown]
	v_fma_mixlo_f16 v4, v4, v26, 0 op_sel_hi:[0,1,0]
	v_add_f16_e32 v6, v53, v4
	v_add_co_u32 v4, vcc_lo, v20, s0
	v_add_co_ci_u32_e32 v5, vcc_lo, s1, v21, vcc_lo
	global_load_b128 v[11:14], v[4:5], off
	v_add_co_u32 v4, vcc_lo, v4, s0
	v_add_co_ci_u32_e32 v5, vcc_lo, s1, v5, vcc_lo
	global_load_b128 v[85:88], v[4:5], off
	s_waitcnt vmcnt(1)
	v_and_b32_e32 v9, 0xff, v11
	s_delay_alu instid0(VALU_DEP_1) | instskip(NEXT) | instid1(VALU_DEP_1)
	v_sub_nc_u32_e32 v9, v9, v33
	v_cvt_f32_i32_e32 v9, v9
	s_delay_alu instid0(VALU_DEP_1) | instskip(SKIP_1) | instid1(VALU_DEP_1)
	v_cvt_f16_f32_e32 v54, v9
	v_bfe_u32 v9, v11, 8, 8
	v_sub_nc_u32_e32 v9, v9, v33
	s_delay_alu instid0(VALU_DEP_1) | instskip(NEXT) | instid1(VALU_DEP_1)
	v_cvt_f32_i32_e32 v9, v9
	v_cvt_f16_f32_e32 v57, v9
	v_bfe_u32 v9, v11, 16, 8
	s_delay_alu instid0(VALU_DEP_1) | instskip(NEXT) | instid1(VALU_DEP_1)
	v_sub_nc_u32_e32 v9, v9, v33
	v_cvt_f32_i32_e32 v9, v9
	s_delay_alu instid0(VALU_DEP_1) | instskip(SKIP_1) | instid1(VALU_DEP_1)
	v_cvt_f16_f32_e32 v60, v9
	v_lshrrev_b32_e32 v9, 24, v11
	v_sub_nc_u32_e32 v9, v9, v33
	s_delay_alu instid0(VALU_DEP_1) | instskip(NEXT) | instid1(VALU_DEP_1)
	v_cvt_f32_i32_e32 v9, v9
	v_cvt_f16_f32_e32 v63, v9
	s_waitcnt vmcnt(0)
	v_and_b32_e32 v9, 0xff, v85
	s_delay_alu instid0(VALU_DEP_1) | instskip(NEXT) | instid1(VALU_DEP_1)
	v_sub_nc_u32_e32 v9, v9, v33
	v_cvt_f32_i32_e32 v9, v9
	s_delay_alu instid0(VALU_DEP_1) | instskip(SKIP_1) | instid1(VALU_DEP_1)
	v_cvt_f16_f32_e32 v66, v9
	v_bfe_u32 v9, v85, 8, 8
	v_sub_nc_u32_e32 v9, v9, v33
	s_delay_alu instid0(VALU_DEP_1) | instskip(NEXT) | instid1(VALU_DEP_1)
	v_cvt_f32_i32_e32 v9, v9
	v_cvt_f16_f32_e32 v69, v9
	v_bfe_u32 v9, v85, 16, 8
	s_delay_alu instid0(VALU_DEP_1) | instskip(NEXT) | instid1(VALU_DEP_1)
	v_sub_nc_u32_e32 v9, v9, v33
	v_cvt_f32_i32_e32 v9, v9
	s_delay_alu instid0(VALU_DEP_1) | instskip(SKIP_1) | instid1(VALU_DEP_1)
	v_cvt_f16_f32_e32 v72, v9
	v_lshrrev_b32_e32 v9, 24, v85
	v_sub_nc_u32_e32 v9, v9, v33
	s_delay_alu instid0(VALU_DEP_1) | instskip(NEXT) | instid1(VALU_DEP_1)
	v_cvt_f32_i32_e32 v9, v9
	v_cvt_f16_f32_e32 v74, v9
	v_and_b32_e32 v9, 0xff, v12
	s_delay_alu instid0(VALU_DEP_1) | instskip(NEXT) | instid1(VALU_DEP_1)
	v_sub_nc_u32_e32 v9, v9, v32
	v_cvt_f32_i32_e32 v9, v9
	s_delay_alu instid0(VALU_DEP_1) | instskip(SKIP_1) | instid1(VALU_DEP_1)
	v_cvt_f16_f32_e32 v52, v9
	v_bfe_u32 v9, v12, 8, 8
	v_sub_nc_u32_e32 v9, v9, v32
	s_delay_alu instid0(VALU_DEP_1) | instskip(NEXT) | instid1(VALU_DEP_1)
	v_cvt_f32_i32_e32 v9, v9
	v_cvt_f16_f32_e32 v55, v9
	v_bfe_u32 v9, v12, 16, 8
	s_delay_alu instid0(VALU_DEP_1) | instskip(NEXT) | instid1(VALU_DEP_1)
	v_sub_nc_u32_e32 v9, v9, v32
	v_cvt_f32_i32_e32 v9, v9
	s_delay_alu instid0(VALU_DEP_1) | instskip(SKIP_1) | instid1(VALU_DEP_1)
	v_cvt_f16_f32_e32 v58, v9
	v_lshrrev_b32_e32 v9, 24, v12
	v_sub_nc_u32_e32 v9, v9, v32
	s_delay_alu instid0(VALU_DEP_1) | instskip(NEXT) | instid1(VALU_DEP_1)
	v_cvt_f32_i32_e32 v9, v9
	v_cvt_f16_f32_e32 v61, v9
	;; [unrolled: 22-line block ×5, first 2 shown]
	v_and_b32_e32 v9, 0xff, v14
	s_delay_alu instid0(VALU_DEP_1) | instskip(NEXT) | instid1(VALU_DEP_1)
	v_sub_nc_u32_e32 v9, v9, v30
	v_cvt_f32_i32_e32 v9, v9
	s_delay_alu instid0(VALU_DEP_1) | instskip(SKIP_1) | instid1(VALU_DEP_1)
	v_cvt_f16_f32_e32 v50, v9
	v_bfe_u32 v9, v14, 8, 8
	v_sub_nc_u32_e32 v9, v9, v30
	s_delay_alu instid0(VALU_DEP_1) | instskip(NEXT) | instid1(VALU_DEP_1)
	v_cvt_f32_i32_e32 v9, v9
	v_cvt_f16_f32_e32 v33, v9
	v_bfe_u32 v9, v14, 16, 8
	s_delay_alu instid0(VALU_DEP_1) | instskip(NEXT) | instid1(VALU_DEP_1)
	v_sub_nc_u32_e32 v9, v9, v30
	v_cvt_f32_i32_e32 v9, v9
	s_delay_alu instid0(VALU_DEP_1) | instskip(SKIP_2) | instid1(VALU_DEP_2)
	v_cvt_f16_f32_e32 v32, v9
	v_lshrrev_b32_e32 v9, 24, v14
	v_fma_mix_f32 v14, v54, v0, 0 op_sel_hi:[1,1,0]
	v_sub_nc_u32_e32 v9, v9, v30
	s_delay_alu instid0(VALU_DEP_2) | instskip(NEXT) | instid1(VALU_DEP_2)
	v_fma_mix_f32 v14, v57, v0, v14 op_sel:[0,1,0] op_sel_hi:[1,1,0]
	v_cvt_f32_i32_e32 v9, v9
	s_delay_alu instid0(VALU_DEP_2) | instskip(NEXT) | instid1(VALU_DEP_2)
	v_fma_mix_f32 v14, v60, v1, v14 op_sel_hi:[1,1,0]
	v_cvt_f16_f32_e32 v31, v9
	s_delay_alu instid0(VALU_DEP_2) | instskip(SKIP_1) | instid1(VALU_DEP_2)
	v_fma_mix_f32 v14, v63, v1, v14 op_sel:[0,1,0] op_sel_hi:[1,1,0]
	v_and_b32_e32 v9, 0xff, v88
	v_fma_mix_f32 v14, v66, v2, v14 op_sel_hi:[1,1,0]
	s_delay_alu instid0(VALU_DEP_2) | instskip(NEXT) | instid1(VALU_DEP_2)
	v_sub_nc_u32_e32 v9, v9, v30
	v_fma_mix_f32 v14, v69, v2, v14 op_sel:[0,1,0] op_sel_hi:[1,1,0]
	s_delay_alu instid0(VALU_DEP_2) | instskip(NEXT) | instid1(VALU_DEP_2)
	v_cvt_f32_i32_e32 v9, v9
	v_fma_mix_f32 v14, v72, v3, v14 op_sel_hi:[1,1,0]
	s_delay_alu instid0(VALU_DEP_2) | instskip(SKIP_1) | instid1(VALU_DEP_3)
	v_cvt_f16_f32_e32 v13, v9
	v_bfe_u32 v9, v88, 8, 8
	v_fma_mix_f32 v14, v74, v3, v14 op_sel:[0,1,0] op_sel_hi:[1,1,0]
	s_delay_alu instid0(VALU_DEP_2) | instskip(NEXT) | instid1(VALU_DEP_2)
	v_sub_nc_u32_e32 v9, v9, v30
	v_fma_mixlo_f16 v14, v14, v18, 0 op_sel_hi:[0,1,0]
	s_delay_alu instid0(VALU_DEP_2) | instskip(NEXT) | instid1(VALU_DEP_2)
	v_cvt_f32_i32_e32 v9, v9
	v_add_f16_e32 v21, v37, v14
	v_fma_mix_f32 v14, v52, v0, 0 op_sel_hi:[1,1,0]
	s_delay_alu instid0(VALU_DEP_3) | instskip(SKIP_1) | instid1(VALU_DEP_3)
	v_cvt_f16_f32_e32 v12, v9
	v_bfe_u32 v9, v88, 16, 8
	v_fma_mix_f32 v14, v55, v0, v14 op_sel:[0,1,0] op_sel_hi:[1,1,0]
	s_delay_alu instid0(VALU_DEP_2) | instskip(NEXT) | instid1(VALU_DEP_2)
	v_sub_nc_u32_e32 v9, v9, v30
	v_fma_mix_f32 v14, v58, v1, v14 op_sel_hi:[1,1,0]
	s_delay_alu instid0(VALU_DEP_2) | instskip(NEXT) | instid1(VALU_DEP_2)
	v_cvt_f32_i32_e32 v9, v9
	v_fma_mix_f32 v14, v61, v1, v14 op_sel:[0,1,0] op_sel_hi:[1,1,0]
	s_delay_alu instid0(VALU_DEP_2) | instskip(SKIP_1) | instid1(VALU_DEP_3)
	v_cvt_f16_f32_e32 v11, v9
	v_lshrrev_b32_e32 v9, 24, v88
	v_fma_mix_f32 v14, v64, v2, v14 op_sel_hi:[1,1,0]
	s_delay_alu instid0(VALU_DEP_2) | instskip(NEXT) | instid1(VALU_DEP_2)
	v_sub_nc_u32_e32 v9, v9, v30
	v_fma_mix_f32 v14, v67, v2, v14 op_sel:[0,1,0] op_sel_hi:[1,1,0]
	s_delay_alu instid0(VALU_DEP_2) | instskip(NEXT) | instid1(VALU_DEP_2)
	v_cvt_f32_i32_e32 v9, v9
	v_fma_mix_f32 v14, v70, v3, v14 op_sel_hi:[1,1,0]
	s_delay_alu instid0(VALU_DEP_2) | instskip(NEXT) | instid1(VALU_DEP_2)
	v_cvt_f16_f32_e32 v9, v9
	v_fma_mix_f32 v14, v73, v3, v14 op_sel:[0,1,0] op_sel_hi:[1,1,0]
	s_delay_alu instid0(VALU_DEP_1) | instskip(NEXT) | instid1(VALU_DEP_1)
	v_fma_mixlo_f16 v14, v14, v23, 0 op_sel_hi:[0,1,0]
	v_add_f16_e32 v20, v36, v14
	v_fma_mix_f32 v14, v51, v0, 0 op_sel_hi:[1,1,0]
	s_delay_alu instid0(VALU_DEP_1) | instskip(NEXT) | instid1(VALU_DEP_1)
	v_fma_mix_f32 v14, v53, v0, v14 op_sel:[0,1,0] op_sel_hi:[1,1,0]
	v_fma_mix_f32 v14, v56, v1, v14 op_sel_hi:[1,1,0]
	s_delay_alu instid0(VALU_DEP_1) | instskip(NEXT) | instid1(VALU_DEP_1)
	v_fma_mix_f32 v14, v59, v1, v14 op_sel:[0,1,0] op_sel_hi:[1,1,0]
	v_fma_mix_f32 v14, v62, v2, v14 op_sel_hi:[1,1,0]
	s_delay_alu instid0(VALU_DEP_1) | instskip(NEXT) | instid1(VALU_DEP_1)
	v_fma_mix_f32 v14, v65, v2, v14 op_sel:[0,1,0] op_sel_hi:[1,1,0]
	v_fma_mix_f32 v14, v68, v3, v14 op_sel_hi:[1,1,0]
	s_delay_alu instid0(VALU_DEP_1) | instskip(NEXT) | instid1(VALU_DEP_1)
	v_fma_mix_f32 v14, v71, v3, v14 op_sel:[0,1,0] op_sel_hi:[1,1,0]
	v_fma_mixlo_f16 v14, v14, v19, 0 op_sel_hi:[0,1,0]
	s_delay_alu instid0(VALU_DEP_1) | instskip(SKIP_1) | instid1(VALU_DEP_1)
	v_add_f16_e32 v15, v104, v14
	v_fma_mix_f32 v14, v50, v0, 0 op_sel_hi:[1,1,0]
	v_fma_mix_f32 v0, v33, v0, v14 op_sel:[0,1,0] op_sel_hi:[1,1,0]
	s_delay_alu instid0(VALU_DEP_1) | instskip(NEXT) | instid1(VALU_DEP_1)
	v_fma_mix_f32 v0, v32, v1, v0 op_sel_hi:[1,1,0]
	v_fma_mix_f32 v0, v31, v1, v0 op_sel:[0,1,0] op_sel_hi:[1,1,0]
	s_delay_alu instid0(VALU_DEP_1) | instskip(NEXT) | instid1(VALU_DEP_1)
	v_fma_mix_f32 v0, v13, v2, v0 op_sel_hi:[1,1,0]
	v_fma_mix_f32 v0, v12, v2, v0 op_sel:[0,1,0] op_sel_hi:[1,1,0]
	s_delay_alu instid0(VALU_DEP_1) | instskip(NEXT) | instid1(VALU_DEP_1)
	v_fma_mix_f32 v0, v11, v3, v0 op_sel_hi:[1,1,0]
	v_fma_mix_f32 v0, v9, v3, v0 op_sel:[0,1,0] op_sel_hi:[1,1,0]
	s_delay_alu instid0(VALU_DEP_1) | instskip(NEXT) | instid1(VALU_DEP_1)
	v_fma_mixlo_f16 v0, v0, v26, 0 op_sel_hi:[0,1,0]
	v_add_f16_e32 v14, v105, v0
	ds_load_b128 v[0:3], v29 offset:304
	s_waitcnt lgkmcnt(0)
	v_fma_mix_f32 v30, v54, v0, 0 op_sel_hi:[1,1,0]
	s_delay_alu instid0(VALU_DEP_1) | instskip(NEXT) | instid1(VALU_DEP_1)
	v_fma_mix_f32 v30, v57, v0, v30 op_sel:[0,1,0] op_sel_hi:[1,1,0]
	v_fma_mix_f32 v30, v60, v1, v30 op_sel_hi:[1,1,0]
	s_delay_alu instid0(VALU_DEP_1) | instskip(NEXT) | instid1(VALU_DEP_1)
	v_fma_mix_f32 v30, v63, v1, v30 op_sel:[0,1,0] op_sel_hi:[1,1,0]
	v_fma_mix_f32 v30, v66, v2, v30 op_sel_hi:[1,1,0]
	s_delay_alu instid0(VALU_DEP_1) | instskip(NEXT) | instid1(VALU_DEP_1)
	v_fma_mix_f32 v30, v69, v2, v30 op_sel:[0,1,0] op_sel_hi:[1,1,0]
	v_fma_mix_f32 v30, v72, v3, v30 op_sel_hi:[1,1,0]
	s_delay_alu instid0(VALU_DEP_1) | instskip(NEXT) | instid1(VALU_DEP_1)
	v_fma_mix_f32 v30, v74, v3, v30 op_sel:[0,1,0] op_sel_hi:[1,1,0]
	v_fma_mixlo_f16 v30, v30, v18, 0 op_sel_hi:[0,1,0]
	s_delay_alu instid0(VALU_DEP_1) | instskip(SKIP_1) | instid1(VALU_DEP_1)
	v_add_f16_e32 v37, v34, v30
	v_fma_mix_f32 v30, v52, v0, 0 op_sel_hi:[1,1,0]
	v_fma_mix_f32 v30, v55, v0, v30 op_sel:[0,1,0] op_sel_hi:[1,1,0]
	s_delay_alu instid0(VALU_DEP_1) | instskip(NEXT) | instid1(VALU_DEP_1)
	v_fma_mix_f32 v30, v58, v1, v30 op_sel_hi:[1,1,0]
	v_fma_mix_f32 v30, v61, v1, v30 op_sel:[0,1,0] op_sel_hi:[1,1,0]
	s_delay_alu instid0(VALU_DEP_1) | instskip(NEXT) | instid1(VALU_DEP_1)
	v_fma_mix_f32 v30, v64, v2, v30 op_sel_hi:[1,1,0]
	v_fma_mix_f32 v30, v67, v2, v30 op_sel:[0,1,0] op_sel_hi:[1,1,0]
	s_delay_alu instid0(VALU_DEP_1) | instskip(NEXT) | instid1(VALU_DEP_1)
	v_fma_mix_f32 v30, v70, v3, v30 op_sel_hi:[1,1,0]
	v_fma_mix_f32 v30, v73, v3, v30 op_sel:[0,1,0] op_sel_hi:[1,1,0]
	s_delay_alu instid0(VALU_DEP_1) | instskip(NEXT) | instid1(VALU_DEP_1)
	v_fma_mixlo_f16 v30, v30, v23, 0 op_sel_hi:[0,1,0]
	v_add_f16_e32 v36, v35, v30
	v_fma_mix_f32 v30, v51, v0, 0 op_sel_hi:[1,1,0]
	s_delay_alu instid0(VALU_DEP_1) | instskip(NEXT) | instid1(VALU_DEP_1)
	v_fma_mix_f32 v30, v53, v0, v30 op_sel:[0,1,0] op_sel_hi:[1,1,0]
	v_fma_mix_f32 v30, v56, v1, v30 op_sel_hi:[1,1,0]
	s_delay_alu instid0(VALU_DEP_1) | instskip(NEXT) | instid1(VALU_DEP_1)
	v_fma_mix_f32 v30, v59, v1, v30 op_sel:[0,1,0] op_sel_hi:[1,1,0]
	v_fma_mix_f32 v30, v62, v2, v30 op_sel_hi:[1,1,0]
	s_delay_alu instid0(VALU_DEP_1) | instskip(NEXT) | instid1(VALU_DEP_1)
	v_fma_mix_f32 v30, v65, v2, v30 op_sel:[0,1,0] op_sel_hi:[1,1,0]
	v_fma_mix_f32 v30, v68, v3, v30 op_sel_hi:[1,1,0]
	s_delay_alu instid0(VALU_DEP_1) | instskip(NEXT) | instid1(VALU_DEP_1)
	v_fma_mix_f32 v30, v71, v3, v30 op_sel:[0,1,0] op_sel_hi:[1,1,0]
	v_fma_mixlo_f16 v30, v30, v19, 0 op_sel_hi:[0,1,0]
	s_delay_alu instid0(VALU_DEP_1) | instskip(SKIP_1) | instid1(VALU_DEP_1)
	v_add_f16_e32 v35, v40, v30
	v_fma_mix_f32 v30, v50, v0, 0 op_sel_hi:[1,1,0]
	v_fma_mix_f32 v0, v33, v0, v30 op_sel:[0,1,0] op_sel_hi:[1,1,0]
	s_delay_alu instid0(VALU_DEP_1) | instskip(NEXT) | instid1(VALU_DEP_1)
	v_fma_mix_f32 v0, v32, v1, v0 op_sel_hi:[1,1,0]
	v_fma_mix_f32 v0, v31, v1, v0 op_sel:[0,1,0] op_sel_hi:[1,1,0]
	s_delay_alu instid0(VALU_DEP_1) | instskip(NEXT) | instid1(VALU_DEP_1)
	v_fma_mix_f32 v0, v13, v2, v0 op_sel_hi:[1,1,0]
	v_fma_mix_f32 v0, v12, v2, v0 op_sel:[0,1,0] op_sel_hi:[1,1,0]
	s_delay_alu instid0(VALU_DEP_1) | instskip(NEXT) | instid1(VALU_DEP_1)
	v_fma_mix_f32 v0, v11, v3, v0 op_sel_hi:[1,1,0]
	v_fma_mix_f32 v0, v9, v3, v0 op_sel:[0,1,0] op_sel_hi:[1,1,0]
	s_delay_alu instid0(VALU_DEP_1) | instskip(NEXT) | instid1(VALU_DEP_1)
	v_fma_mixlo_f16 v0, v0, v26, 0 op_sel_hi:[0,1,0]
	v_add_f16_e32 v34, v41, v0
	ds_load_b128 v[0:3], v29 offset:560
	s_waitcnt lgkmcnt(0)
	v_fma_mix_f32 v30, v54, v0, 0 op_sel_hi:[1,1,0]
	s_delay_alu instid0(VALU_DEP_1) | instskip(NEXT) | instid1(VALU_DEP_1)
	v_fma_mix_f32 v30, v57, v0, v30 op_sel:[0,1,0] op_sel_hi:[1,1,0]
	v_fma_mix_f32 v30, v60, v1, v30 op_sel_hi:[1,1,0]
	s_delay_alu instid0(VALU_DEP_1) | instskip(NEXT) | instid1(VALU_DEP_1)
	v_fma_mix_f32 v30, v63, v1, v30 op_sel:[0,1,0] op_sel_hi:[1,1,0]
	v_fma_mix_f32 v30, v66, v2, v30 op_sel_hi:[1,1,0]
	s_delay_alu instid0(VALU_DEP_1) | instskip(NEXT) | instid1(VALU_DEP_1)
	v_fma_mix_f32 v30, v69, v2, v30 op_sel:[0,1,0] op_sel_hi:[1,1,0]
	v_fma_mix_f32 v30, v72, v3, v30 op_sel_hi:[1,1,0]
	s_delay_alu instid0(VALU_DEP_1) | instskip(NEXT) | instid1(VALU_DEP_1)
	v_fma_mix_f32 v30, v74, v3, v30 op_sel:[0,1,0] op_sel_hi:[1,1,0]
	v_fma_mixlo_f16 v30, v30, v18, 0 op_sel_hi:[0,1,0]
	s_delay_alu instid0(VALU_DEP_1) | instskip(SKIP_1) | instid1(VALU_DEP_1)
	v_add_f16_e32 v41, v38, v30
	v_fma_mix_f32 v30, v52, v0, 0 op_sel_hi:[1,1,0]
	v_fma_mix_f32 v30, v55, v0, v30 op_sel:[0,1,0] op_sel_hi:[1,1,0]
	s_delay_alu instid0(VALU_DEP_1) | instskip(NEXT) | instid1(VALU_DEP_1)
	v_fma_mix_f32 v30, v58, v1, v30 op_sel_hi:[1,1,0]
	v_fma_mix_f32 v30, v61, v1, v30 op_sel:[0,1,0] op_sel_hi:[1,1,0]
	s_delay_alu instid0(VALU_DEP_1) | instskip(NEXT) | instid1(VALU_DEP_1)
	v_fma_mix_f32 v30, v64, v2, v30 op_sel_hi:[1,1,0]
	v_fma_mix_f32 v30, v67, v2, v30 op_sel:[0,1,0] op_sel_hi:[1,1,0]
	s_delay_alu instid0(VALU_DEP_1) | instskip(NEXT) | instid1(VALU_DEP_1)
	v_fma_mix_f32 v30, v70, v3, v30 op_sel_hi:[1,1,0]
	;; [unrolled: 60-line block ×7, first 2 shown]
	v_fma_mix_f32 v10, v73, v3, v10 op_sel:[0,1,0] op_sel_hi:[1,1,0]
	s_delay_alu instid0(VALU_DEP_1) | instskip(NEXT) | instid1(VALU_DEP_1)
	v_fma_mixlo_f16 v10, v10, v23, 0 op_sel_hi:[0,1,0]
	v_add_f16_e32 v52, v8, v10
	v_fma_mix_f32 v8, v51, v0, 0 op_sel_hi:[1,1,0]
	s_delay_alu instid0(VALU_DEP_1) | instskip(NEXT) | instid1(VALU_DEP_1)
	v_fma_mix_f32 v8, v53, v0, v8 op_sel:[0,1,0] op_sel_hi:[1,1,0]
	v_fma_mix_f32 v8, v56, v1, v8 op_sel_hi:[1,1,0]
	s_delay_alu instid0(VALU_DEP_1) | instskip(NEXT) | instid1(VALU_DEP_1)
	v_fma_mix_f32 v8, v59, v1, v8 op_sel:[0,1,0] op_sel_hi:[1,1,0]
	;; [unrolled: 3-line block ×4, first 2 shown]
	v_fma_mixlo_f16 v8, v8, v19, 0 op_sel_hi:[0,1,0]
	s_delay_alu instid0(VALU_DEP_1) | instskip(SKIP_1) | instid1(VALU_DEP_1)
	v_add_f16_e32 v51, v7, v8
	v_fma_mix_f32 v7, v50, v0, 0 op_sel_hi:[1,1,0]
	v_fma_mix_f32 v0, v33, v0, v7 op_sel:[0,1,0] op_sel_hi:[1,1,0]
	s_delay_alu instid0(VALU_DEP_1) | instskip(NEXT) | instid1(VALU_DEP_1)
	v_fma_mix_f32 v0, v32, v1, v0 op_sel_hi:[1,1,0]
	v_fma_mix_f32 v0, v31, v1, v0 op_sel:[0,1,0] op_sel_hi:[1,1,0]
	s_delay_alu instid0(VALU_DEP_1) | instskip(NEXT) | instid1(VALU_DEP_1)
	;; [unrolled: 3-line block ×4, first 2 shown]
	v_fma_mixlo_f16 v0, v0, v26, 0 op_sel_hi:[0,1,0]
	v_add_f16_e32 v50, v6, v0
	v_add_co_u32 v0, vcc_lo, v4, s0
	v_add_co_ci_u32_e32 v1, vcc_lo, s1, v5, vcc_lo
	s_cbranch_scc1 .LBB46_24
.LBB46_22:                              ; =>This Inner Loop Header: Depth=1
	s_cmp_lg_u32 s15, s4
	s_cbranch_scc1 .LBB46_21
; %bb.23:                               ;   in Loop: Header=BB46_22 Depth=1
	s_add_i32 s13, s13, 1
	s_add_i32 s4, s4, s3
	s_mul_i32 s5, s13, s16
	s_delay_alu instid0(SALU_CYCLE_1) | instskip(SKIP_2) | instid1(SALU_CYCLE_1)
	s_ashr_i32 s14, s5, 31
	v_add_nc_u32_e32 v2, s5, v16
	s_lshr_b32 s14, s14, 30
	s_add_i32 s5, s5, s14
	s_delay_alu instid0(VALU_DEP_1) | instskip(SKIP_1) | instid1(SALU_CYCLE_1)
	v_ashrrev_i32_e32 v3, 31, v2
	s_ashr_i32 s5, s5, 2
	v_add_nc_u32_e32 v4, s5, v22
	s_delay_alu instid0(VALU_DEP_2) | instskip(NEXT) | instid1(VALU_DEP_2)
	v_lshlrev_b64 v[2:3], 1, v[2:3]
	v_ashrrev_i32_e32 v5, 31, v4
	s_delay_alu instid0(VALU_DEP_2) | instskip(NEXT) | instid1(VALU_DEP_2)
	v_add_co_u32 v2, vcc_lo, s8, v2
	v_lshlrev_b64 v[4:5], 2, v[4:5]
	s_delay_alu instid0(VALU_DEP_4) | instskip(NEXT) | instid1(VALU_DEP_2)
	v_add_co_ci_u32_e32 v3, vcc_lo, s9, v3, vcc_lo
	v_add_co_u32 v4, vcc_lo, s6, v4
	s_delay_alu instid0(VALU_DEP_3)
	v_add_co_ci_u32_e32 v5, vcc_lo, s7, v5, vcc_lo
	global_load_b64 v[18:19], v[2:3], off
	global_load_b32 v2, v[4:5], off
	s_waitcnt vmcnt(1)
	v_lshrrev_b32_e32 v23, 16, v18
	s_waitcnt vmcnt(0)
	v_and_b32_e32 v24, 0xff, v2
	v_bfe_u32 v25, v2, 8, 8
	v_bfe_u32 v27, v2, 16, 8
	v_lshrrev_b32_e32 v28, 24, v2
	v_lshrrev_b32_e32 v26, 16, v19
	s_branch .LBB46_21
.LBB46_24:
	v_mad_u64_u32 v[0:1], null, s12, s16, v[16:17]
	v_perm_b32 v5, v20, v21, 0x5040100
	s_mov_b32 s0, 0
	s_delay_alu instid0(VALU_DEP_2) | instskip(NEXT) | instid1(VALU_DEP_1)
	v_ashrrev_i32_e32 v1, 31, v0
	v_lshlrev_b64 v[1:2], 1, v[0:1]
	s_delay_alu instid0(VALU_DEP_1) | instskip(NEXT) | instid1(VALU_DEP_2)
	v_add_co_u32 v1, vcc_lo, s10, v1
	v_add_co_ci_u32_e32 v2, vcc_lo, s11, v2, vcc_lo
	global_load_b32 v4, v[1:2], off
.LBB46_25:                              ; =>This Inner Loop Header: Depth=1
	s_waitcnt vmcnt(0)
	v_pk_add_f16 v3, v5, v4
	global_atomic_cmpswap_b32 v3, v[1:2], v[3:4], off glc
	s_waitcnt vmcnt(0)
	v_cmp_eq_u32_e32 vcc_lo, v4, v3
	v_mov_b32_e32 v4, v3
	s_or_b32 s0, vcc_lo, s0
	s_delay_alu instid0(SALU_CYCLE_1)
	s_and_not1_b32 exec_lo, exec_lo, s0
	s_cbranch_execnz .LBB46_25
; %bb.26:
	s_or_b32 exec_lo, exec_lo, s0
	global_load_b32 v4, v[1:2], off offset:4
	v_perm_b32 v5, v14, v15, 0x5040100
	s_mov_b32 s0, 0
.LBB46_27:                              ; =>This Inner Loop Header: Depth=1
	s_waitcnt vmcnt(0)
	s_delay_alu instid0(VALU_DEP_1)
	v_pk_add_f16 v3, v5, v4
	global_atomic_cmpswap_b32 v3, v[1:2], v[3:4], off offset:4 glc
	s_waitcnt vmcnt(0)
	v_cmp_eq_u32_e32 vcc_lo, v4, v3
	v_mov_b32_e32 v4, v3
	s_or_b32 s0, vcc_lo, s0
	s_delay_alu instid0(SALU_CYCLE_1)
	s_and_not1_b32 exec_lo, exec_lo, s0
	s_cbranch_execnz .LBB46_27
; %bb.28:
	s_or_b32 exec_lo, exec_lo, s0
	v_add_nc_u32_e32 v0, s16, v0
	v_perm_b32 v5, v36, v37, 0x5040100
	s_mov_b32 s0, 0
	s_delay_alu instid0(VALU_DEP_2) | instskip(NEXT) | instid1(VALU_DEP_1)
	v_ashrrev_i32_e32 v1, 31, v0
	v_lshlrev_b64 v[1:2], 1, v[0:1]
	s_delay_alu instid0(VALU_DEP_1) | instskip(NEXT) | instid1(VALU_DEP_2)
	v_add_co_u32 v1, vcc_lo, s10, v1
	v_add_co_ci_u32_e32 v2, vcc_lo, s11, v2, vcc_lo
	global_load_b32 v4, v[1:2], off
.LBB46_29:                              ; =>This Inner Loop Header: Depth=1
	s_waitcnt vmcnt(0)
	v_pk_add_f16 v3, v5, v4
	global_atomic_cmpswap_b32 v3, v[1:2], v[3:4], off glc
	s_waitcnt vmcnt(0)
	v_cmp_eq_u32_e32 vcc_lo, v4, v3
	v_mov_b32_e32 v4, v3
	s_or_b32 s0, vcc_lo, s0
	s_delay_alu instid0(SALU_CYCLE_1)
	s_and_not1_b32 exec_lo, exec_lo, s0
	s_cbranch_execnz .LBB46_29
; %bb.30:
	s_or_b32 exec_lo, exec_lo, s0
	global_load_b32 v4, v[1:2], off offset:4
	v_perm_b32 v5, v34, v35, 0x5040100
	s_mov_b32 s0, 0
.LBB46_31:                              ; =>This Inner Loop Header: Depth=1
	s_waitcnt vmcnt(0)
	s_delay_alu instid0(VALU_DEP_1)
	v_pk_add_f16 v3, v5, v4
	global_atomic_cmpswap_b32 v3, v[1:2], v[3:4], off offset:4 glc
	s_waitcnt vmcnt(0)
	v_cmp_eq_u32_e32 vcc_lo, v4, v3
	v_mov_b32_e32 v4, v3
	s_or_b32 s0, vcc_lo, s0
	s_delay_alu instid0(SALU_CYCLE_1)
	s_and_not1_b32 exec_lo, exec_lo, s0
	s_cbranch_execnz .LBB46_31
; %bb.32:
	s_or_b32 exec_lo, exec_lo, s0
	v_add_nc_u32_e32 v0, s16, v0
	;; [unrolled: 40-line block ×7, first 2 shown]
	v_perm_b32 v4, v52, v54, 0x5040100
	s_mov_b32 s0, 0
	s_delay_alu instid0(VALU_DEP_2) | instskip(NEXT) | instid1(VALU_DEP_1)
	v_ashrrev_i32_e32 v1, 31, v0
	v_lshlrev_b64 v[0:1], 1, v[0:1]
	s_delay_alu instid0(VALU_DEP_1) | instskip(NEXT) | instid1(VALU_DEP_2)
	v_add_co_u32 v0, vcc_lo, s10, v0
	v_add_co_ci_u32_e32 v1, vcc_lo, s11, v1, vcc_lo
	global_load_b32 v3, v[0:1], off
.LBB46_53:                              ; =>This Inner Loop Header: Depth=1
	s_waitcnt vmcnt(0)
	v_pk_add_f16 v2, v4, v3
	global_atomic_cmpswap_b32 v2, v[0:1], v[2:3], off glc
	s_waitcnt vmcnt(0)
	v_cmp_eq_u32_e32 vcc_lo, v3, v2
	v_mov_b32_e32 v3, v2
	s_or_b32 s0, vcc_lo, s0
	s_delay_alu instid0(SALU_CYCLE_1)
	s_and_not1_b32 exec_lo, exec_lo, s0
	s_cbranch_execnz .LBB46_53
; %bb.54:
	s_or_b32 exec_lo, exec_lo, s0
	global_load_b32 v3, v[0:1], off offset:4
	v_perm_b32 v4, v50, v51, 0x5040100
	s_mov_b32 s0, 0
.LBB46_55:                              ; =>This Inner Loop Header: Depth=1
	s_waitcnt vmcnt(0)
	s_delay_alu instid0(VALU_DEP_1)
	v_pk_add_f16 v2, v4, v3
	global_atomic_cmpswap_b32 v2, v[0:1], v[2:3], off offset:4 glc
	s_waitcnt vmcnt(0)
	v_cmp_eq_u32_e32 vcc_lo, v3, v2
	v_mov_b32_e32 v3, v2
	s_or_b32 s0, vcc_lo, s0
	s_delay_alu instid0(SALU_CYCLE_1)
	s_and_not1_b32 exec_lo, exec_lo, s0
	s_cbranch_execnz .LBB46_55
.LBB46_56:
	s_endpgm
	.section	.rodata,"a",@progbits
	.p2align	6, 0x0
	.amdhsa_kernel _ZN4vllm4gptq33gemm_half_q_half_gptq_8bit_kernelILb1ELi8EEEvPK6__halfPKjS6_S4_PS2_iiiibPKi
		.amdhsa_group_segment_fixed_size 2048
		.amdhsa_private_segment_fixed_size 0
		.amdhsa_kernarg_size 72
		.amdhsa_user_sgpr_count 13
		.amdhsa_user_sgpr_dispatch_ptr 0
		.amdhsa_user_sgpr_queue_ptr 0
		.amdhsa_user_sgpr_kernarg_segment_ptr 1
		.amdhsa_user_sgpr_dispatch_id 0
		.amdhsa_user_sgpr_private_segment_size 0
		.amdhsa_wavefront_size32 1
		.amdhsa_uses_dynamic_stack 0
		.amdhsa_enable_private_segment 0
		.amdhsa_system_sgpr_workgroup_id_x 1
		.amdhsa_system_sgpr_workgroup_id_y 1
		.amdhsa_system_sgpr_workgroup_id_z 1
		.amdhsa_system_sgpr_workgroup_info 0
		.amdhsa_system_vgpr_workitem_id 0
		.amdhsa_next_free_vgpr 121
		.amdhsa_next_free_sgpr 24
		.amdhsa_reserve_vcc 1
		.amdhsa_float_round_mode_32 0
		.amdhsa_float_round_mode_16_64 0
		.amdhsa_float_denorm_mode_32 3
		.amdhsa_float_denorm_mode_16_64 3
		.amdhsa_dx10_clamp 1
		.amdhsa_ieee_mode 1
		.amdhsa_fp16_overflow 0
		.amdhsa_workgroup_processor_mode 1
		.amdhsa_memory_ordered 1
		.amdhsa_forward_progress 0
		.amdhsa_shared_vgpr_count 0
		.amdhsa_exception_fp_ieee_invalid_op 0
		.amdhsa_exception_fp_denorm_src 0
		.amdhsa_exception_fp_ieee_div_zero 0
		.amdhsa_exception_fp_ieee_overflow 0
		.amdhsa_exception_fp_ieee_underflow 0
		.amdhsa_exception_fp_ieee_inexact 0
		.amdhsa_exception_int_div_zero 0
	.end_amdhsa_kernel
	.section	.text._ZN4vllm4gptq33gemm_half_q_half_gptq_8bit_kernelILb1ELi8EEEvPK6__halfPKjS6_S4_PS2_iiiibPKi,"axG",@progbits,_ZN4vllm4gptq33gemm_half_q_half_gptq_8bit_kernelILb1ELi8EEEvPK6__halfPKjS6_S4_PS2_iiiibPKi,comdat
.Lfunc_end46:
	.size	_ZN4vllm4gptq33gemm_half_q_half_gptq_8bit_kernelILb1ELi8EEEvPK6__halfPKjS6_S4_PS2_iiiibPKi, .Lfunc_end46-_ZN4vllm4gptq33gemm_half_q_half_gptq_8bit_kernelILb1ELi8EEEvPK6__halfPKjS6_S4_PS2_iiiibPKi
                                        ; -- End function
	.section	.AMDGPU.csdata,"",@progbits
; Kernel info:
; codeLenInByte = 19296
; NumSgprs: 26
; NumVgprs: 121
; ScratchSize: 0
; MemoryBound: 0
; FloatMode: 240
; IeeeMode: 1
; LDSByteSize: 2048 bytes/workgroup (compile time only)
; SGPRBlocks: 3
; VGPRBlocks: 15
; NumSGPRsForWavesPerEU: 26
; NumVGPRsForWavesPerEU: 121
; Occupancy: 10
; WaveLimiterHint : 0
; COMPUTE_PGM_RSRC2:SCRATCH_EN: 0
; COMPUTE_PGM_RSRC2:USER_SGPR: 13
; COMPUTE_PGM_RSRC2:TRAP_HANDLER: 0
; COMPUTE_PGM_RSRC2:TGID_X_EN: 1
; COMPUTE_PGM_RSRC2:TGID_Y_EN: 1
; COMPUTE_PGM_RSRC2:TGID_Z_EN: 1
; COMPUTE_PGM_RSRC2:TIDIG_COMP_CNT: 0
	.section	.text._ZN4vllm4gptq23reconstruct_gptq_kernelINS0_17MatrixView_q4_rowELi4EEEvPKjPK6__halfS4_PKiiiibPS5_,"axG",@progbits,_ZN4vllm4gptq23reconstruct_gptq_kernelINS0_17MatrixView_q4_rowELi4EEEvPKjPK6__halfS4_PKiiiibPS5_,comdat
	.protected	_ZN4vllm4gptq23reconstruct_gptq_kernelINS0_17MatrixView_q4_rowELi4EEEvPKjPK6__halfS4_PKiiiibPS5_ ; -- Begin function _ZN4vllm4gptq23reconstruct_gptq_kernelINS0_17MatrixView_q4_rowELi4EEEvPKjPK6__halfS4_PKiiiibPS5_
	.globl	_ZN4vllm4gptq23reconstruct_gptq_kernelINS0_17MatrixView_q4_rowELi4EEEvPKjPK6__halfS4_PKiiiibPS5_
	.p2align	8
	.type	_ZN4vllm4gptq23reconstruct_gptq_kernelINS0_17MatrixView_q4_rowELi4EEEvPKjPK6__halfS4_PKiiiibPS5_,@function
_ZN4vllm4gptq23reconstruct_gptq_kernelINS0_17MatrixView_q4_rowELi4EEEvPKjPK6__halfS4_PKiiiibPS5_: ; @_ZN4vllm4gptq23reconstruct_gptq_kernelINS0_17MatrixView_q4_rowELi4EEEvPKjPK6__halfS4_PKiiiibPS5_
; %bb.0:
	s_load_b32 s2, s[0:1], 0x24
	v_lshl_add_u32 v1, s14, 7, v0
	s_mov_b32 s3, exec_lo
	s_waitcnt lgkmcnt(0)
	s_delay_alu instid0(VALU_DEP_1)
	v_cmpx_gt_u32_e64 s2, v1
	s_cbranch_execz .LBB47_2
; %bb.1:
	s_clause 0x1
	s_load_b32 s3, s[0:1], 0x2c
	s_load_b256 s[4:11], s[0:1], 0x0
	v_ashrrev_i32_e32 v4, 31, v1
	v_mad_u64_u32 v[2:3], null, s15, s2, v[1:2]
	s_load_b64 s[0:1], s[0:1], 0x30
	s_delay_alu instid0(VALU_DEP_2) | instskip(NEXT) | instid1(VALU_DEP_1)
	v_lshrrev_b32_e32 v4, 29, v4
	v_dual_mov_b32 v3, 0 :: v_dual_add_nc_u32 v4, v1, v4
	s_delay_alu instid0(VALU_DEP_1) | instskip(NEXT) | instid1(VALU_DEP_2)
	v_lshlrev_b64 v[2:3], 2, v[2:3]
	v_ashrrev_i32_e32 v17, 3, v4
	s_waitcnt lgkmcnt(0)
	s_bitcmp1_b32 s3, 0
	s_delay_alu instid0(VALU_DEP_2)
	v_add_co_u32 v2, vcc_lo, s4, v2
	s_cselect_b32 s12, -1, 0
	s_lshl_b32 s3, s15, 5
	v_add_co_ci_u32_e32 v3, vcc_lo, s5, v3, vcc_lo
	s_load_b256 s[16:23], s[10:11], s3 offset:0x0
	global_load_b32 v2, v[2:3], off
	s_waitcnt lgkmcnt(0)
	s_mul_i32 s3, s16, s2
	s_mul_i32 s4, s17, s2
	s_ashr_i32 s11, s3, 31
	v_add_nc_u32_e32 v3, s3, v1
	s_lshr_b32 s11, s11, 29
	s_ashr_i32 s13, s4, 31
	s_add_i32 s3, s3, s11
	v_add_nc_u32_e32 v5, s4, v1
	s_lshr_b32 s13, s13, 29
	s_ashr_i32 s3, s3, 3
	s_add_i32 s4, s4, s13
	v_ashrrev_i32_e32 v4, 31, v3
	v_add_nc_u32_e32 v9, s3, v17
	s_ashr_i32 s4, s4, 3
	v_ashrrev_i32_e32 v6, 31, v5
	s_mul_i32 s5, s18, s2
	v_add_nc_u32_e32 v11, s4, v17
	v_lshlrev_b64 v[3:4], 1, v[3:4]
	s_ashr_i32 s14, s5, 31
	v_ashrrev_i32_e32 v10, 31, v9
	s_lshr_b32 s14, s14, 29
	v_lshlrev_b64 v[5:6], 1, v[5:6]
	v_ashrrev_i32_e32 v12, 31, v11
	v_add_nc_u32_e32 v7, s5, v1
	s_add_i32 s5, s5, s14
	v_add_co_u32 v3, vcc_lo, s6, v3
	v_lshlrev_b64 v[9:10], 2, v[9:10]
	s_ashr_i32 s5, s5, 3
	s_mul_i32 s10, s19, s2
	v_add_co_ci_u32_e32 v4, vcc_lo, s7, v4, vcc_lo
	v_add_nc_u32_e32 v13, s5, v17
	v_add_co_u32 v5, vcc_lo, s6, v5
	v_lshlrev_b64 v[11:12], 2, v[11:12]
	s_ashr_i32 s16, s10, 31
	v_ashrrev_i32_e32 v8, 31, v7
	v_add_co_ci_u32_e32 v6, vcc_lo, s7, v6, vcc_lo
	s_lshr_b32 s16, s16, 29
	v_add_co_u32 v9, vcc_lo, s8, v9
	s_add_i32 s11, s10, s16
	v_add_co_ci_u32_e32 v10, vcc_lo, s9, v10, vcc_lo
	v_ashrrev_i32_e32 v14, 31, v13
	v_add_co_u32 v11, vcc_lo, s8, v11
	s_ashr_i32 s11, s11, 3
	v_lshlrev_b64 v[7:8], 1, v[7:8]
	v_add_co_ci_u32_e32 v12, vcc_lo, s9, v12, vcc_lo
	v_add_nc_u32_e32 v15, s11, v17
	s_clause 0x1
	global_load_u16 v18, v[3:4], off
	global_load_u16 v19, v[5:6], off
	s_clause 0x1
	global_load_b32 v20, v[9:10], off
	global_load_b32 v21, v[11:12], off
	v_lshlrev_b64 v[3:4], 2, v[13:14]
	s_mul_i32 s3, s20, s2
	v_add_co_u32 v5, vcc_lo, s6, v7
	v_ashrrev_i32_e32 v16, 31, v15
	v_add_nc_u32_e32 v7, s10, v1
	s_mul_i32 s4, s21, s2
	s_ashr_i32 s5, s3, 31
	v_add_co_ci_u32_e32 v6, vcc_lo, s7, v8, vcc_lo
	v_add_co_u32 v3, vcc_lo, s8, v3
	s_ashr_i32 s10, s4, 31
	s_lshr_b32 s5, s5, 29
	v_add_co_ci_u32_e32 v4, vcc_lo, s9, v4, vcc_lo
	v_add_nc_u32_e32 v11, s3, v1
	s_lshr_b32 s10, s10, 29
	s_add_i32 s3, s3, s5
	v_lshlrev_b64 v[9:10], 2, v[15:16]
	v_ashrrev_i32_e32 v8, 31, v7
	s_add_i32 s5, s4, s10
	s_ashr_i32 s3, s3, 3
	global_load_u16 v22, v[5:6], off
	global_load_b32 v23, v[3:4], off
	s_ashr_i32 s5, s5, 3
	v_add_nc_u32_e32 v5, s3, v17
	s_mul_i32 s3, s22, s2
	v_lshlrev_b64 v[3:4], 1, v[7:8]
	v_add_nc_u32_e32 v7, s5, v17
	s_ashr_i32 s5, s3, 31
	v_add_co_u32 v9, vcc_lo, s8, v9
	s_lshr_b32 s5, s5, 29
	v_add_co_ci_u32_e32 v10, vcc_lo, s9, v10, vcc_lo
	v_ashrrev_i32_e32 v12, 31, v11
	s_add_i32 s5, s3, s5
	s_mul_i32 s10, s23, s2
	s_ashr_i32 s5, s5, 3
	s_ashr_i32 s11, s10, 31
	global_load_b32 v24, v[9:10], off
	v_lshlrev_b64 v[9:10], 1, v[11:12]
	v_add_nc_u32_e32 v11, s5, v17
	s_lshr_b32 s5, s11, 29
	v_ashrrev_i32_e32 v6, 31, v5
	s_add_i32 s5, s10, s5
	v_ashrrev_i32_e32 v8, 31, v7
	s_ashr_i32 s5, s5, 3
	v_ashrrev_i32_e32 v12, 31, v11
	v_add_nc_u32_e32 v13, s5, v17
	v_lshlrev_b64 v[5:6], 2, v[5:6]
	v_lshlrev_b64 v[7:8], 2, v[7:8]
	v_add_nc_u32_e32 v15, s4, v1
	v_lshlrev_b64 v[11:12], 2, v[11:12]
	v_ashrrev_i32_e32 v14, 31, v13
	v_add_co_u32 v5, vcc_lo, s8, v5
	v_add_co_ci_u32_e32 v6, vcc_lo, s9, v6, vcc_lo
	v_add_co_u32 v7, vcc_lo, s8, v7
	s_delay_alu instid0(VALU_DEP_4) | instskip(SKIP_3) | instid1(VALU_DEP_4)
	v_lshlrev_b64 v[13:14], 2, v[13:14]
	v_add_co_ci_u32_e32 v8, vcc_lo, s9, v8, vcc_lo
	v_add_co_u32 v11, vcc_lo, s8, v11
	v_add_co_ci_u32_e32 v12, vcc_lo, s9, v12, vcc_lo
	v_add_co_u32 v13, vcc_lo, s8, v13
	v_add_co_ci_u32_e32 v14, vcc_lo, s9, v14, vcc_lo
	global_load_b32 v17, v[5:6], off
	v_add_nc_u32_e32 v5, s3, v1
	v_ashrrev_i32_e32 v16, 31, v15
	s_clause 0x2
	global_load_b32 v25, v[7:8], off
	global_load_b32 v26, v[11:12], off
	;; [unrolled: 1-line block ×3, first 2 shown]
	v_add_nc_u32_e32 v11, s10, v1
	v_add_co_u32 v3, vcc_lo, s6, v3
	v_ashrrev_i32_e32 v6, 31, v5
	v_lshlrev_b64 v[7:8], 1, v[15:16]
	s_delay_alu instid0(VALU_DEP_4)
	v_ashrrev_i32_e32 v12, 31, v11
	v_add_co_ci_u32_e32 v4, vcc_lo, s7, v4, vcc_lo
	v_add_co_u32 v9, vcc_lo, s6, v9
	v_lshlrev_b64 v[5:6], 1, v[5:6]
	v_add_co_ci_u32_e32 v10, vcc_lo, s7, v10, vcc_lo
	v_add_co_u32 v7, vcc_lo, s6, v7
	v_lshlrev_b64 v[11:12], 1, v[11:12]
	v_add_co_ci_u32_e32 v8, vcc_lo, s7, v8, vcc_lo
	v_add_co_u32 v5, vcc_lo, s6, v5
	v_add_co_ci_u32_e32 v6, vcc_lo, s7, v6, vcc_lo
	s_delay_alu instid0(VALU_DEP_4)
	v_add_co_u32 v11, vcc_lo, s6, v11
	v_add_co_ci_u32_e32 v12, vcc_lo, s7, v12, vcc_lo
	s_clause 0x4
	global_load_u16 v28, v[3:4], off
	global_load_u16 v29, v[9:10], off
	;; [unrolled: 1-line block ×5, first 2 shown]
	s_lshl_b32 s3, s15, 3
	v_lshlrev_b32_e32 v13, 2, v0
	s_and_b32 s3, s3, 0x3ffffff8
	s_delay_alu instid0(VALU_DEP_1)
	v_and_b32_e32 v33, 28, v13
	s_waitcnt vmcnt(16)
	v_mad_u64_u32 v[3:4], null, s3, s2, v[1:2]
	s_ashr_i32 s3, s2, 31
	v_and_b32_e32 v35, 15, v2
	v_bfe_u32 v36, v2, 4, 4
	v_bfe_u32 v37, v2, 8, 4
	;; [unrolled: 1-line block ×4, first 2 shown]
	v_ashrrev_i32_e32 v4, 31, v3
	v_bfe_u32 v40, v2, 20, 4
	v_bfe_u32 v41, v2, 24, 4
	v_lshrrev_b32_e32 v2, 28, v2
	s_delay_alu instid0(VALU_DEP_4) | instskip(NEXT) | instid1(VALU_DEP_1)
	v_lshlrev_b64 v[3:4], 1, v[3:4]
	v_add_co_u32 v3, vcc_lo, s0, v3
	s_delay_alu instid0(VALU_DEP_2) | instskip(SKIP_2) | instid1(VALU_DEP_2)
	v_add_co_ci_u32_e32 v4, vcc_lo, s1, v4, vcc_lo
	s_lshl_b64 s[0:1], s[2:3], 1
	s_xor_b32 s2, s12, -1
	v_add_co_u32 v5, vcc_lo, v3, s0
	s_delay_alu instid0(VALU_DEP_2) | instskip(SKIP_1) | instid1(VALU_DEP_3)
	v_add_co_ci_u32_e32 v6, vcc_lo, s1, v4, vcc_lo
	v_cndmask_b32_e64 v34, 0, 1, s2
	v_add_co_u32 v7, vcc_lo, v5, s0
	s_delay_alu instid0(VALU_DEP_3) | instskip(NEXT) | instid1(VALU_DEP_3)
	v_add_co_ci_u32_e32 v8, vcc_lo, s1, v6, vcc_lo
	v_sub_nc_u32_e32 v35, v35, v34
	v_sub_nc_u32_e32 v36, v36, v34
	;; [unrolled: 1-line block ×3, first 2 shown]
	v_add_co_u32 v9, vcc_lo, v7, s0
	v_sub_nc_u32_e32 v38, v38, v34
	v_sub_nc_u32_e32 v39, v39, v34
	v_add_co_ci_u32_e32 v10, vcc_lo, s1, v8, vcc_lo
	v_sub_nc_u32_e32 v40, v40, v34
	v_sub_nc_u32_e32 v41, v41, v34
	;; [unrolled: 1-line block ×3, first 2 shown]
	v_add_co_u32 v11, vcc_lo, v9, s0
	v_add_co_ci_u32_e32 v12, vcc_lo, s1, v10, vcc_lo
	s_delay_alu instid0(VALU_DEP_2) | instskip(NEXT) | instid1(VALU_DEP_2)
	v_add_co_u32 v0, vcc_lo, v11, s0
	v_add_co_ci_u32_e32 v1, vcc_lo, s1, v12, vcc_lo
	s_delay_alu instid0(VALU_DEP_2) | instskip(NEXT) | instid1(VALU_DEP_2)
	;; [unrolled: 3-line block ×3, first 2 shown]
	v_add_co_u32 v15, vcc_lo, v13, s0
	v_add_co_ci_u32_e32 v16, vcc_lo, s1, v14, vcc_lo
	s_waitcnt vmcnt(13)
	v_bfe_u32 v20, v20, v33, 4
	s_waitcnt vmcnt(12)
	v_bfe_u32 v21, v21, v33, 4
	s_delay_alu instid0(VALU_DEP_2) | instskip(NEXT) | instid1(VALU_DEP_2)
	v_sub_nc_u32_e32 v20, v35, v20
	v_sub_nc_u32_e32 v21, v36, v21
	s_delay_alu instid0(VALU_DEP_2) | instskip(NEXT) | instid1(VALU_DEP_2)
	v_cvt_f32_i32_e32 v20, v20
	v_cvt_f32_i32_e32 v21, v21
	s_delay_alu instid0(VALU_DEP_2) | instskip(NEXT) | instid1(VALU_DEP_2)
	v_cvt_f16_f32_e32 v20, v20
	v_cvt_f16_f32_e32 v21, v21
	s_delay_alu instid0(VALU_DEP_2) | instskip(NEXT) | instid1(VALU_DEP_2)
	v_mul_f16_e32 v18, v18, v20
	v_mul_f16_e32 v19, v19, v21
	s_waitcnt vmcnt(10)
	v_bfe_u32 v23, v23, v33, 4
	s_delay_alu instid0(VALU_DEP_1) | instskip(NEXT) | instid1(VALU_DEP_1)
	v_sub_nc_u32_e32 v23, v37, v23
	v_cvt_f32_i32_e32 v23, v23
	s_delay_alu instid0(VALU_DEP_1) | instskip(SKIP_2) | instid1(VALU_DEP_2)
	v_cvt_f16_f32_e32 v23, v23
	s_waitcnt vmcnt(9)
	v_bfe_u32 v24, v24, v33, 4
	v_mul_f16_e32 v20, v22, v23
	s_delay_alu instid0(VALU_DEP_2) | instskip(NEXT) | instid1(VALU_DEP_1)
	v_sub_nc_u32_e32 v24, v38, v24
	v_cvt_f32_i32_e32 v24, v24
	s_delay_alu instid0(VALU_DEP_1)
	v_cvt_f16_f32_e32 v24, v24
	s_waitcnt vmcnt(8)
	v_bfe_u32 v17, v17, v33, 4
	s_waitcnt vmcnt(7)
	v_bfe_u32 v25, v25, v33, 4
	;; [unrolled: 2-line block ×4, first 2 shown]
	v_sub_nc_u32_e32 v17, v39, v17
	v_sub_nc_u32_e32 v25, v40, v25
	;; [unrolled: 1-line block ×3, first 2 shown]
	s_delay_alu instid0(VALU_DEP_4) | instskip(NEXT) | instid1(VALU_DEP_4)
	v_sub_nc_u32_e32 v2, v2, v27
	v_cvt_f32_i32_e32 v17, v17
	s_delay_alu instid0(VALU_DEP_4) | instskip(NEXT) | instid1(VALU_DEP_4)
	v_cvt_f32_i32_e32 v25, v25
	v_cvt_f32_i32_e32 v26, v26
	s_delay_alu instid0(VALU_DEP_4) | instskip(NEXT) | instid1(VALU_DEP_4)
	v_cvt_f32_i32_e32 v2, v2
	v_cvt_f16_f32_e32 v17, v17
	s_delay_alu instid0(VALU_DEP_4) | instskip(NEXT) | instid1(VALU_DEP_4)
	v_cvt_f16_f32_e32 v25, v25
	v_cvt_f16_f32_e32 v26, v26
	s_delay_alu instid0(VALU_DEP_4)
	v_cvt_f16_f32_e32 v2, v2
	s_waitcnt vmcnt(4)
	v_mul_f16_e32 v21, v28, v24
	s_waitcnt vmcnt(3)
	v_mul_f16_e32 v17, v29, v17
	;; [unrolled: 2-line block ×5, first 2 shown]
	s_clause 0x5
	global_store_b16 v[3:4], v18, off
	global_store_b16 v[5:6], v19, off
	global_store_b16 v[7:8], v20, off
	global_store_b16 v[9:10], v21, off
	global_store_b16 v[11:12], v17, off
	global_store_b16 v[0:1], v22, off
	global_store_b16 v[13:14], v23, off
	global_store_b16 v[15:16], v2, off
.LBB47_2:
	s_nop 0
	s_sendmsg sendmsg(MSG_DEALLOC_VGPRS)
	s_endpgm
	.section	.rodata,"a",@progbits
	.p2align	6, 0x0
	.amdhsa_kernel _ZN4vllm4gptq23reconstruct_gptq_kernelINS0_17MatrixView_q4_rowELi4EEEvPKjPK6__halfS4_PKiiiibPS5_
		.amdhsa_group_segment_fixed_size 0
		.amdhsa_private_segment_fixed_size 0
		.amdhsa_kernarg_size 56
		.amdhsa_user_sgpr_count 14
		.amdhsa_user_sgpr_dispatch_ptr 0
		.amdhsa_user_sgpr_queue_ptr 0
		.amdhsa_user_sgpr_kernarg_segment_ptr 1
		.amdhsa_user_sgpr_dispatch_id 0
		.amdhsa_user_sgpr_private_segment_size 0
		.amdhsa_wavefront_size32 1
		.amdhsa_uses_dynamic_stack 0
		.amdhsa_enable_private_segment 0
		.amdhsa_system_sgpr_workgroup_id_x 1
		.amdhsa_system_sgpr_workgroup_id_y 1
		.amdhsa_system_sgpr_workgroup_id_z 0
		.amdhsa_system_sgpr_workgroup_info 0
		.amdhsa_system_vgpr_workitem_id 0
		.amdhsa_next_free_vgpr 42
		.amdhsa_next_free_sgpr 24
		.amdhsa_reserve_vcc 1
		.amdhsa_float_round_mode_32 0
		.amdhsa_float_round_mode_16_64 0
		.amdhsa_float_denorm_mode_32 3
		.amdhsa_float_denorm_mode_16_64 3
		.amdhsa_dx10_clamp 1
		.amdhsa_ieee_mode 1
		.amdhsa_fp16_overflow 0
		.amdhsa_workgroup_processor_mode 1
		.amdhsa_memory_ordered 1
		.amdhsa_forward_progress 0
		.amdhsa_shared_vgpr_count 0
		.amdhsa_exception_fp_ieee_invalid_op 0
		.amdhsa_exception_fp_denorm_src 0
		.amdhsa_exception_fp_ieee_div_zero 0
		.amdhsa_exception_fp_ieee_overflow 0
		.amdhsa_exception_fp_ieee_underflow 0
		.amdhsa_exception_fp_ieee_inexact 0
		.amdhsa_exception_int_div_zero 0
	.end_amdhsa_kernel
	.section	.text._ZN4vllm4gptq23reconstruct_gptq_kernelINS0_17MatrixView_q4_rowELi4EEEvPKjPK6__halfS4_PKiiiibPS5_,"axG",@progbits,_ZN4vllm4gptq23reconstruct_gptq_kernelINS0_17MatrixView_q4_rowELi4EEEvPKjPK6__halfS4_PKiiiibPS5_,comdat
.Lfunc_end47:
	.size	_ZN4vllm4gptq23reconstruct_gptq_kernelINS0_17MatrixView_q4_rowELi4EEEvPKjPK6__halfS4_PKiiiibPS5_, .Lfunc_end47-_ZN4vllm4gptq23reconstruct_gptq_kernelINS0_17MatrixView_q4_rowELi4EEEvPKjPK6__halfS4_PKiiiibPS5_
                                        ; -- End function
	.section	.AMDGPU.csdata,"",@progbits
; Kernel info:
; codeLenInByte = 1584
; NumSgprs: 26
; NumVgprs: 42
; ScratchSize: 0
; MemoryBound: 0
; FloatMode: 240
; IeeeMode: 1
; LDSByteSize: 0 bytes/workgroup (compile time only)
; SGPRBlocks: 3
; VGPRBlocks: 5
; NumSGPRsForWavesPerEU: 26
; NumVGPRsForWavesPerEU: 42
; Occupancy: 16
; WaveLimiterHint : 1
; COMPUTE_PGM_RSRC2:SCRATCH_EN: 0
; COMPUTE_PGM_RSRC2:USER_SGPR: 14
; COMPUTE_PGM_RSRC2:TRAP_HANDLER: 0
; COMPUTE_PGM_RSRC2:TGID_X_EN: 1
; COMPUTE_PGM_RSRC2:TGID_Y_EN: 1
; COMPUTE_PGM_RSRC2:TGID_Z_EN: 0
; COMPUTE_PGM_RSRC2:TIDIG_COMP_CNT: 0
	.section	.text._ZN4vllm4gptq23reconstruct_gptq_kernelINS0_17MatrixView_q2_rowELi2EEEvPKjPK6__halfS4_PKiiiibPS5_,"axG",@progbits,_ZN4vllm4gptq23reconstruct_gptq_kernelINS0_17MatrixView_q2_rowELi2EEEvPKjPK6__halfS4_PKiiiibPS5_,comdat
	.protected	_ZN4vllm4gptq23reconstruct_gptq_kernelINS0_17MatrixView_q2_rowELi2EEEvPKjPK6__halfS4_PKiiiibPS5_ ; -- Begin function _ZN4vllm4gptq23reconstruct_gptq_kernelINS0_17MatrixView_q2_rowELi2EEEvPKjPK6__halfS4_PKiiiibPS5_
	.globl	_ZN4vllm4gptq23reconstruct_gptq_kernelINS0_17MatrixView_q2_rowELi2EEEvPKjPK6__halfS4_PKiiiibPS5_
	.p2align	8
	.type	_ZN4vllm4gptq23reconstruct_gptq_kernelINS0_17MatrixView_q2_rowELi2EEEvPKjPK6__halfS4_PKiiiibPS5_,@function
_ZN4vllm4gptq23reconstruct_gptq_kernelINS0_17MatrixView_q2_rowELi2EEEvPKjPK6__halfS4_PKiiiibPS5_: ; @_ZN4vllm4gptq23reconstruct_gptq_kernelINS0_17MatrixView_q2_rowELi2EEEvPKjPK6__halfS4_PKiiiibPS5_
; %bb.0:
	s_load_b32 s2, s[0:1], 0x24
	v_lshl_add_u32 v1, s14, 7, v0
	s_mov_b32 s3, exec_lo
	s_waitcnt lgkmcnt(0)
	s_delay_alu instid0(VALU_DEP_1)
	v_cmpx_gt_u32_e64 s2, v1
	s_cbranch_execz .LBB48_2
; %bb.1:
	s_clause 0x1
	s_load_b32 s3, s[0:1], 0x2c
	s_load_b256 s[20:27], s[0:1], 0x0
	s_mov_b32 s29, 0
	v_ashrrev_i32_e32 v4, 31, v1
	v_mad_u64_u32 v[2:3], null, s15, s2, v[1:2]
	s_load_b64 s[0:1], s[0:1], 0x30
	v_lshlrev_b32_e32 v0, 1, v0
	s_delay_alu instid0(VALU_DEP_3) | instskip(NEXT) | instid1(VALU_DEP_2)
	v_lshrrev_b32_e32 v4, 28, v4
	v_dual_mov_b32 v3, 0 :: v_dual_and_b32 v48, 30, v0
	s_delay_alu instid0(VALU_DEP_2) | instskip(NEXT) | instid1(VALU_DEP_2)
	v_add_nc_u32_e32 v6, v1, v4
	v_lshlrev_b64 v[2:3], 2, v[2:3]
	s_waitcnt lgkmcnt(0)
	s_bitcmp1_b32 s3, 0
	s_delay_alu instid0(VALU_DEP_1)
	v_add_co_u32 v4, vcc_lo, s20, v2
	s_cselect_b32 s6, -1, 0
	s_lshl_b32 s3, s15, 4
	v_add_co_ci_u32_e32 v5, vcc_lo, s21, v3, vcc_lo
	s_and_b32 s28, s3, 0x7ffffff0
	s_ashr_i32 s3, s2, 31
	s_lshl_b64 s[4:5], s[28:29], 2
	s_xor_b32 s29, s6, -1
	s_add_u32 s4, s26, s4
	s_addc_u32 s5, s27, s5
	global_load_b32 v2, v[4:5], off
	s_load_b512 s[4:19], s[4:5], 0x0
	v_ashrrev_i32_e32 v3, 4, v6
	v_cndmask_b32_e64 v49, 0, 1, s29
	s_waitcnt lgkmcnt(0)
	s_mul_i32 s4, s4, s2
	s_mul_i32 s5, s5, s2
	v_add_nc_u32_e32 v4, s4, v1
	s_ashr_i32 s20, s4, 31
	v_add_nc_u32_e32 v6, s5, v1
	s_lshr_b32 s20, s20, 28
	s_ashr_i32 s21, s5, 31
	s_add_i32 s4, s4, s20
	v_ashrrev_i32_e32 v5, 31, v4
	s_lshr_b32 s21, s21, 28
	s_ashr_i32 s4, s4, 4
	s_mul_i32 s6, s6, s2
	s_add_i32 s5, s5, s21
	v_ashrrev_i32_e32 v7, 31, v6
	v_add_nc_u32_e32 v10, s4, v3
	s_ashr_i32 s26, s6, 31
	s_ashr_i32 s5, s5, 4
	v_lshlrev_b64 v[4:5], 1, v[4:5]
	s_lshr_b32 s26, s26, 28
	v_add_nc_u32_e32 v12, s5, v3
	v_lshlrev_b64 v[6:7], 1, v[6:7]
	v_add_nc_u32_e32 v8, s6, v1
	s_add_i32 s6, s6, s26
	v_ashrrev_i32_e32 v11, 31, v10
	s_ashr_i32 s6, s6, 4
	v_add_co_u32 v4, vcc_lo, s22, v4
	v_ashrrev_i32_e32 v13, 31, v12
	v_add_nc_u32_e32 v14, s6, v3
	v_add_co_ci_u32_e32 v5, vcc_lo, s23, v5, vcc_lo
	v_add_co_u32 v6, vcc_lo, s22, v6
	v_lshlrev_b64 v[10:11], 2, v[10:11]
	v_ashrrev_i32_e32 v9, 31, v8
	v_add_co_ci_u32_e32 v7, vcc_lo, s23, v7, vcc_lo
	v_lshlrev_b64 v[12:13], 2, v[12:13]
	v_ashrrev_i32_e32 v15, 31, v14
	s_mul_i32 s7, s7, s2
	v_lshlrev_b64 v[8:9], 1, v[8:9]
	s_clause 0x1
	global_load_u16 v4, v[4:5], off
	global_load_u16 v5, v[6:7], off
	v_add_co_u32 v6, vcc_lo, s24, v10
	s_ashr_i32 s27, s7, 31
	v_add_co_ci_u32_e32 v7, vcc_lo, s25, v11, vcc_lo
	v_lshlrev_b64 v[14:15], 2, v[14:15]
	v_add_co_u32 v10, vcc_lo, s24, v12
	s_lshr_b32 s27, s27, 28
	v_add_co_ci_u32_e32 v11, vcc_lo, s25, v13, vcc_lo
	s_add_i32 s20, s7, s27
	v_add_co_u32 v12, vcc_lo, s22, v8
	v_add_co_ci_u32_e32 v13, vcc_lo, s23, v9, vcc_lo
	s_ashr_i32 s4, s20, 4
	v_add_co_u32 v14, vcc_lo, s24, v14
	v_add_nc_u32_e32 v16, s7, v1
	v_add_nc_u32_e32 v18, s4, v3
	s_mul_i32 s4, s8, s2
	v_add_co_ci_u32_e32 v15, vcc_lo, s25, v15, vcc_lo
	s_ashr_i32 s5, s4, 31
	v_ashrrev_i32_e32 v17, 31, v16
	s_lshr_b32 s5, s5, 28
	s_clause 0x2
	global_load_b32 v7, v[6:7], off
	global_load_b32 v8, v[10:11], off
	;; [unrolled: 1-line block ×3, first 2 shown]
	v_add_nc_u32_e32 v14, s4, v1
	s_add_i32 s4, s4, s5
	global_load_u16 v6, v[12:13], off
	s_ashr_i32 s4, s4, 4
	v_lshlrev_b64 v[12:13], 1, v[16:17]
	v_add_nc_u32_e32 v16, s4, v3
	s_mul_i32 s4, s9, s2
	v_ashrrev_i32_e32 v19, 31, v18
	s_ashr_i32 s5, s4, 31
	v_ashrrev_i32_e32 v15, 31, v14
	s_lshr_b32 s5, s5, 28
	v_ashrrev_i32_e32 v17, 31, v16
	v_lshlrev_b64 v[10:11], 2, v[18:19]
	v_add_nc_u32_e32 v18, s4, v1
	s_add_i32 s4, s4, s5
	s_mul_i32 s5, s10, s2
	s_ashr_i32 s4, s4, 4
	s_ashr_i32 s6, s5, 31
	v_add_nc_u32_e32 v20, s4, v3
	s_lshr_b32 s4, s6, 28
	v_add_co_u32 v10, vcc_lo, s24, v10
	s_add_i32 s4, s5, s4
	v_lshlrev_b64 v[16:17], 2, v[16:17]
	s_ashr_i32 s4, s4, 4
	v_ashrrev_i32_e32 v21, 31, v20
	v_add_nc_u32_e32 v22, s4, v3
	v_add_co_ci_u32_e32 v11, vcc_lo, s25, v11, vcc_lo
	v_add_co_u32 v12, vcc_lo, s22, v12
	v_lshlrev_b64 v[14:15], 1, v[14:15]
	s_delay_alu instid0(VALU_DEP_4)
	v_ashrrev_i32_e32 v23, 31, v22
	v_add_co_ci_u32_e32 v13, vcc_lo, s23, v13, vcc_lo
	v_add_co_u32 v16, vcc_lo, s24, v16
	v_lshlrev_b64 v[20:21], 2, v[20:21]
	v_add_co_ci_u32_e32 v17, vcc_lo, s25, v17, vcc_lo
	v_add_co_u32 v14, vcc_lo, s22, v14
	v_lshlrev_b64 v[22:23], 2, v[22:23]
	v_add_co_ci_u32_e32 v15, vcc_lo, s23, v15, vcc_lo
	v_add_co_u32 v20, vcc_lo, s24, v20
	v_add_co_ci_u32_e32 v21, vcc_lo, s25, v21, vcc_lo
	s_delay_alu instid0(VALU_DEP_4)
	v_add_co_u32 v22, vcc_lo, s24, v22
	s_mul_i32 s4, s11, s2
	v_ashrrev_i32_e32 v19, 31, v18
	v_add_co_ci_u32_e32 v23, vcc_lo, s25, v23, vcc_lo
	s_ashr_i32 s6, s4, 31
	s_clause 0x2
	global_load_b32 v31, v[16:17], off
	global_load_b32 v32, v[20:21], off
	;; [unrolled: 1-line block ×3, first 2 shown]
	s_lshr_b32 s6, s6, 28
	v_lshlrev_b64 v[16:17], 1, v[18:19]
	v_add_nc_u32_e32 v18, s5, v1
	s_mul_i32 s5, s12, s2
	s_add_i32 s6, s4, s6
	s_ashr_i32 s7, s5, 31
	s_ashr_i32 s6, s6, 4
	s_lshr_b32 s7, s7, 28
	v_add_nc_u32_e32 v20, s6, v3
	s_mul_i32 s6, s13, s2
	s_add_i32 s7, s5, s7
	v_add_nc_u32_e32 v24, s4, v1
	s_ashr_i32 s4, s6, 31
	s_ashr_i32 s7, s7, 4
	s_lshr_b32 s4, s4, 28
	v_add_nc_u32_e32 v22, s7, v3
	s_add_i32 s4, s6, s4
	s_mul_i32 s7, s14, s2
	s_ashr_i32 s4, s4, 4
	s_ashr_i32 s8, s7, 31
	v_add_nc_u32_e32 v25, s4, v3
	s_lshr_b32 s4, s8, 28
	v_ashrrev_i32_e32 v21, 31, v20
	s_add_i32 s4, s7, s4
	v_ashrrev_i32_e32 v23, 31, v22
	s_ashr_i32 s4, s4, 4
	v_ashrrev_i32_e32 v26, 31, v25
	v_add_nc_u32_e32 v27, s4, v3
	v_lshlrev_b64 v[20:21], 2, v[20:21]
	v_add_co_u32 v16, vcc_lo, s22, v16
	v_lshlrev_b64 v[22:23], 2, v[22:23]
	s_delay_alu instid0(VALU_DEP_4)
	v_ashrrev_i32_e32 v28, 31, v27
	v_add_co_ci_u32_e32 v17, vcc_lo, s23, v17, vcc_lo
	v_add_co_u32 v20, vcc_lo, s24, v20
	v_lshlrev_b64 v[25:26], 2, v[25:26]
	v_add_co_ci_u32_e32 v21, vcc_lo, s25, v21, vcc_lo
	v_ashrrev_i32_e32 v19, 31, v18
	v_add_co_u32 v22, vcc_lo, s24, v22
	v_lshlrev_b64 v[27:28], 2, v[27:28]
	v_add_co_ci_u32_e32 v23, vcc_lo, s25, v23, vcc_lo
	v_add_co_u32 v29, vcc_lo, s24, v25
	v_lshlrev_b64 v[18:19], 1, v[18:19]
	v_add_co_ci_u32_e32 v30, vcc_lo, s25, v26, vcc_lo
	v_ashrrev_i32_e32 v25, 31, v24
	v_add_co_u32 v26, vcc_lo, s24, v27
	v_add_co_ci_u32_e32 v27, vcc_lo, s25, v28, vcc_lo
	s_clause 0x4
	global_load_b32 v10, v[10:11], off
	global_load_b32 v34, v[20:21], off
	;; [unrolled: 1-line block ×5, first 2 shown]
	global_load_u16 v36, v[12:13], off
	v_lshlrev_b64 v[11:12], 1, v[24:25]
	v_add_co_u32 v18, vcc_lo, s22, v18
	v_add_co_ci_u32_e32 v19, vcc_lo, s23, v19, vcc_lo
	v_add_nc_u32_e32 v13, s5, v1
	s_clause 0x2
	global_load_u16 v37, v[14:15], off
	global_load_u16 v38, v[16:17], off
	;; [unrolled: 1-line block ×3, first 2 shown]
	v_add_co_u32 v11, vcc_lo, s22, v11
	v_add_nc_u32_e32 v15, s6, v1
	v_add_co_ci_u32_e32 v12, vcc_lo, s23, v12, vcc_lo
	v_ashrrev_i32_e32 v14, 31, v13
	s_mul_i32 s4, s15, s2
	s_delay_alu instid0(VALU_DEP_3)
	v_ashrrev_i32_e32 v16, 31, v15
	s_ashr_i32 s5, s4, 31
	global_load_u16 v40, v[11:12], off
	s_lshr_b32 s5, s5, 28
	v_lshlrev_b64 v[11:12], 1, v[13:14]
	s_add_i32 s5, s4, s5
	v_lshlrev_b64 v[15:16], 1, v[15:16]
	s_ashr_i32 s5, s5, 4
	v_add_nc_u32_e32 v17, s7, v1
	v_add_nc_u32_e32 v13, s5, v3
	s_mul_i32 s5, s16, s2
	v_add_co_u32 v11, vcc_lo, s22, v11
	v_add_co_ci_u32_e32 v12, vcc_lo, s23, v12, vcc_lo
	s_ashr_i32 s6, s5, 31
	v_add_co_u32 v15, vcc_lo, s22, v15
	s_lshr_b32 s6, s6, 28
	v_ashrrev_i32_e32 v14, 31, v13
	v_add_co_ci_u32_e32 v16, vcc_lo, s23, v16, vcc_lo
	s_add_i32 s6, s5, s6
	global_load_u16 v41, v[11:12], off
	s_ashr_i32 s6, s6, 4
	global_load_u16 v42, v[15:16], off
	v_lshlrev_b64 v[11:12], 2, v[13:14]
	v_add_nc_u32_e32 v13, s6, v3
	v_ashrrev_i32_e32 v18, 31, v17
	s_delay_alu instid0(VALU_DEP_2) | instskip(NEXT) | instid1(VALU_DEP_4)
	v_ashrrev_i32_e32 v14, 31, v13
	v_add_co_u32 v11, vcc_lo, s24, v11
	v_add_co_ci_u32_e32 v12, vcc_lo, s25, v12, vcc_lo
	s_delay_alu instid0(VALU_DEP_3)
	v_lshlrev_b64 v[13:14], 2, v[13:14]
	v_lshlrev_b64 v[15:16], 1, v[17:18]
	global_load_b32 v43, v[11:12], off
	v_add_co_u32 v11, vcc_lo, s24, v13
	v_add_nc_u32_e32 v13, s4, v1
	v_add_co_ci_u32_e32 v12, vcc_lo, s25, v14, vcc_lo
	s_delay_alu instid0(VALU_DEP_2)
	v_ashrrev_i32_e32 v14, 31, v13
	global_load_b32 v44, v[11:12], off
	v_add_co_u32 v11, vcc_lo, s22, v15
	v_add_nc_u32_e32 v15, s5, v1
	v_lshlrev_b64 v[13:14], 1, v[13:14]
	v_add_co_ci_u32_e32 v12, vcc_lo, s23, v16, vcc_lo
	s_delay_alu instid0(VALU_DEP_3)
	v_ashrrev_i32_e32 v16, 31, v15
	global_load_u16 v45, v[11:12], off
	v_add_co_u32 v11, vcc_lo, s22, v13
	v_add_co_ci_u32_e32 v12, vcc_lo, s23, v14, vcc_lo
	v_lshlrev_b64 v[13:14], 1, v[15:16]
	global_load_u16 v46, v[11:12], off
	v_add_co_u32 v11, vcc_lo, s22, v13
	v_add_co_ci_u32_e32 v12, vcc_lo, s23, v14, vcc_lo
	global_load_u16 v47, v[11:12], off
	s_waitcnt vmcnt(26)
	v_mad_u64_u32 v[11:12], null, s28, s2, v[1:2]
	v_and_b32_e32 v0, 3, v2
	v_bfe_u32 v50, v2, 2, 2
	v_bfe_u32 v51, v2, 4, 2
	;; [unrolled: 1-line block ×5, first 2 shown]
	v_ashrrev_i32_e32 v12, 31, v11
	v_bfe_u32 v55, v2, 12, 2
	v_bfe_u32 v56, v2, 14, 2
	v_sub_nc_u32_e32 v0, v0, v49
	v_bfe_u32 v57, v2, 16, 2
	v_lshlrev_b64 v[11:12], 1, v[11:12]
	v_sub_nc_u32_e32 v50, v50, v49
	v_bfe_u32 v58, v2, 18, 2
	v_sub_nc_u32_e32 v51, v51, v49
	v_sub_nc_u32_e32 v52, v52, v49
	;; [unrolled: 1-line block ×3, first 2 shown]
	v_add_co_u32 v11, vcc_lo, s0, v11
	v_add_co_ci_u32_e32 v12, vcc_lo, s1, v12, vcc_lo
	s_lshl_b64 s[0:1], s[2:3], 1
	v_sub_nc_u32_e32 v54, v54, v49
	s_delay_alu instid0(VALU_DEP_3) | instskip(NEXT) | instid1(VALU_DEP_3)
	v_add_co_u32 v13, vcc_lo, v11, s0
	v_add_co_ci_u32_e32 v14, vcc_lo, s1, v12, vcc_lo
	v_sub_nc_u32_e32 v55, v55, v49
	s_delay_alu instid0(VALU_DEP_3) | instskip(NEXT) | instid1(VALU_DEP_3)
	v_add_co_u32 v15, vcc_lo, v13, s0
	v_add_co_ci_u32_e32 v16, vcc_lo, s1, v14, vcc_lo
	;; [unrolled: 4-line block ×5, first 2 shown]
	v_bfe_u32 v59, v2, 20, 2
	s_delay_alu instid0(VALU_DEP_3) | instskip(NEXT) | instid1(VALU_DEP_3)
	v_add_co_u32 v23, vcc_lo, v21, s0
	v_add_co_ci_u32_e32 v24, vcc_lo, s1, v22, vcc_lo
	s_delay_alu instid0(VALU_DEP_3) | instskip(NEXT) | instid1(VALU_DEP_3)
	v_sub_nc_u32_e32 v59, v59, v49
	v_add_co_u32 v25, vcc_lo, v23, s0
	s_delay_alu instid0(VALU_DEP_3) | instskip(SKIP_1) | instid1(VALU_DEP_3)
	v_add_co_ci_u32_e32 v26, vcc_lo, s1, v24, vcc_lo
	v_bfe_u32 v60, v2, 22, 2
	v_add_co_u32 v27, vcc_lo, v25, s0
	s_delay_alu instid0(VALU_DEP_3) | instskip(SKIP_1) | instid1(SALU_CYCLE_1)
	v_add_co_ci_u32_e32 v28, vcc_lo, s1, v26, vcc_lo
	s_mul_i32 s3, s17, s2
	s_ashr_i32 s4, s3, 31
	s_delay_alu instid0(SALU_CYCLE_1) | instskip(NEXT) | instid1(SALU_CYCLE_1)
	s_lshr_b32 s4, s4, 28
	s_add_i32 s4, s3, s4
	s_delay_alu instid0(SALU_CYCLE_1)
	s_ashr_i32 s4, s4, 4
	s_waitcnt vmcnt(23)
	v_bfe_u32 v7, v7, v48, 2
	s_waitcnt vmcnt(22)
	v_bfe_u32 v8, v8, v48, 2
	;; [unrolled: 2-line block ×3, first 2 shown]
	v_sub_nc_u32_e32 v0, v0, v7
	s_delay_alu instid0(VALU_DEP_3) | instskip(NEXT) | instid1(VALU_DEP_3)
	v_sub_nc_u32_e32 v7, v50, v8
	v_sub_nc_u32_e32 v8, v51, v9
	s_delay_alu instid0(VALU_DEP_3) | instskip(NEXT) | instid1(VALU_DEP_3)
	v_cvt_f32_i32_e32 v0, v0
	v_cvt_f32_i32_e32 v7, v7
	s_delay_alu instid0(VALU_DEP_3) | instskip(NEXT) | instid1(VALU_DEP_3)
	v_cvt_f32_i32_e32 v8, v8
	v_cvt_f16_f32_e32 v0, v0
	s_delay_alu instid0(VALU_DEP_3) | instskip(NEXT) | instid1(VALU_DEP_3)
	v_cvt_f16_f32_e32 v7, v7
	v_cvt_f16_f32_e32 v8, v8
	s_delay_alu instid0(VALU_DEP_3) | instskip(NEXT) | instid1(VALU_DEP_3)
	v_mul_f16_e32 v0, v4, v0
	v_mul_f16_e32 v4, v5, v7
	s_waitcnt vmcnt(20)
	s_delay_alu instid0(VALU_DEP_3)
	v_mul_f16_e32 v5, v6, v8
	s_waitcnt vmcnt(19)
	v_bfe_u32 v31, v31, v48, 2
	s_waitcnt vmcnt(18)
	v_bfe_u32 v32, v32, v48, 2
	;; [unrolled: 2-line block ×5, first 2 shown]
	v_bfe_u32 v10, v10, v48, 2
	s_waitcnt vmcnt(13)
	v_bfe_u32 v29, v29, v48, 2
	s_waitcnt vmcnt(12)
	v_bfe_u32 v30, v30, v48, 2
	v_sub_nc_u32_e32 v9, v52, v10
	v_sub_nc_u32_e32 v10, v53, v31
	v_sub_nc_u32_e32 v31, v54, v32
	v_sub_nc_u32_e32 v32, v55, v33
	v_sub_nc_u32_e32 v33, v56, v34
	v_sub_nc_u32_e32 v34, v57, v35
	v_sub_nc_u32_e32 v29, v58, v29
	v_cvt_f32_i32_e32 v9, v9
	v_cvt_f32_i32_e32 v10, v10
	;; [unrolled: 1-line block ×7, first 2 shown]
	v_cvt_f16_f32_e32 v9, v9
	v_cvt_f16_f32_e32 v10, v10
	;; [unrolled: 1-line block ×7, first 2 shown]
	s_waitcnt vmcnt(11)
	v_mul_f16_e32 v6, v36, v9
	s_waitcnt vmcnt(10)
	v_mul_f16_e32 v7, v37, v10
	;; [unrolled: 2-line block ×5, first 2 shown]
	s_clause 0x5
	global_store_b16 v[11:12], v0, off
	global_store_b16 v[13:14], v4, off
	global_store_b16 v[15:16], v5, off
	global_store_b16 v[17:18], v6, off
	global_store_b16 v[19:20], v7, off
	global_store_b16 v[21:22], v8, off
	global_store_b16 v[23:24], v9, off
	global_store_b16 v[25:26], v10, off
	v_add_co_u32 v4, vcc_lo, v27, s0
	v_sub_nc_u32_e32 v6, v59, v30
	v_add_co_ci_u32_e32 v5, vcc_lo, s1, v28, vcc_lo
	v_sub_nc_u32_e32 v8, v60, v49
	s_waitcnt vmcnt(6)
	v_mul_f16_e32 v31, v41, v34
	s_waitcnt vmcnt(5)
	v_mul_f16_e32 v0, v42, v29
	global_store_b16 v[27:28], v31, off
	global_store_b16 v[4:5], v0, off
	v_cvt_f32_i32_e32 v0, v6
	v_bfe_u32 v6, v2, 24, 2
	v_add_co_u32 v4, vcc_lo, v4, s0
	v_add_co_ci_u32_e32 v5, vcc_lo, s1, v5, vcc_lo
	s_delay_alu instid0(VALU_DEP_3) | instskip(SKIP_3) | instid1(VALU_DEP_1)
	v_sub_nc_u32_e32 v6, v6, v49
	v_cvt_f16_f32_e32 v0, v0
	s_waitcnt vmcnt(4)
	v_bfe_u32 v7, v43, v48, 2
	v_sub_nc_u32_e32 v7, v8, v7
	s_delay_alu instid0(VALU_DEP_1) | instskip(SKIP_2) | instid1(VALU_DEP_2)
	v_cvt_f32_i32_e32 v7, v7
	s_waitcnt vmcnt(3)
	v_bfe_u32 v8, v44, v48, 2
	v_cvt_f16_f32_e32 v10, v7
	s_delay_alu instid0(VALU_DEP_2) | instskip(SKIP_1) | instid1(VALU_DEP_2)
	v_sub_nc_u32_e32 v8, v6, v8
	v_add_nc_u32_e32 v6, s4, v3
	v_cvt_f32_i32_e32 v11, v8
	s_delay_alu instid0(VALU_DEP_2) | instskip(SKIP_2) | instid1(VALU_DEP_3)
	v_ashrrev_i32_e32 v7, 31, v6
	v_add_co_u32 v8, vcc_lo, v4, s0
	v_add_co_ci_u32_e32 v9, vcc_lo, s1, v5, vcc_lo
	v_lshlrev_b64 v[6:7], 2, v[6:7]
	v_cvt_f16_f32_e32 v13, v11
	s_waitcnt vmcnt(1)
	v_mul_f16_e32 v12, v46, v10
	v_add_co_u32 v10, vcc_lo, v8, s0
	v_mul_f16_e32 v0, v45, v0
	v_add_co_ci_u32_e32 v11, vcc_lo, s1, v9, vcc_lo
	v_add_co_u32 v6, vcc_lo, s24, v6
	v_add_co_ci_u32_e32 v7, vcc_lo, s25, v7, vcc_lo
	s_waitcnt vmcnt(0)
	v_mul_f16_e32 v13, v47, v13
	global_store_b16 v[4:5], v0, off
	v_add_nc_u32_e32 v4, s3, v1
	global_store_b16 v[8:9], v12, off
	global_store_b16 v[10:11], v13, off
	global_load_b32 v0, v[6:7], off
	s_mul_i32 s3, s18, s2
	v_ashrrev_i32_e32 v5, 31, v4
	s_ashr_i32 s4, s3, 31
	s_mul_i32 s2, s19, s2
	s_lshr_b32 s4, s4, 28
	s_delay_alu instid0(VALU_DEP_1) | instskip(SKIP_1) | instid1(SALU_CYCLE_1)
	v_lshlrev_b64 v[4:5], 1, v[4:5]
	s_add_i32 s4, s3, s4
	s_ashr_i32 s4, s4, 4
	s_delay_alu instid0(VALU_DEP_1) | instskip(NEXT) | instid1(VALU_DEP_2)
	v_add_co_u32 v4, vcc_lo, s22, v4
	v_add_co_ci_u32_e32 v5, vcc_lo, s23, v5, vcc_lo
	v_add_co_u32 v6, vcc_lo, v10, s0
	v_add_co_ci_u32_e32 v7, vcc_lo, s1, v11, vcc_lo
	global_load_u16 v8, v[4:5], off
	v_bfe_u32 v4, v2, 26, 2
	s_delay_alu instid0(VALU_DEP_1) | instskip(SKIP_3) | instid1(VALU_DEP_1)
	v_sub_nc_u32_e32 v5, v4, v49
	v_add_nc_u32_e32 v4, s4, v3
	s_waitcnt vmcnt(1)
	v_bfe_u32 v0, v0, v48, 2
	v_sub_nc_u32_e32 v0, v5, v0
	s_delay_alu instid0(VALU_DEP_3) | instskip(NEXT) | instid1(VALU_DEP_2)
	v_ashrrev_i32_e32 v5, 31, v4
	v_cvt_f32_i32_e32 v0, v0
	s_delay_alu instid0(VALU_DEP_2) | instskip(NEXT) | instid1(VALU_DEP_2)
	v_lshlrev_b64 v[4:5], 2, v[4:5]
	v_cvt_f16_f32_e32 v0, v0
	s_delay_alu instid0(VALU_DEP_2) | instskip(NEXT) | instid1(VALU_DEP_3)
	v_add_co_u32 v4, vcc_lo, s24, v4
	v_add_co_ci_u32_e32 v5, vcc_lo, s25, v5, vcc_lo
	s_waitcnt vmcnt(0)
	s_delay_alu instid0(VALU_DEP_3) | instskip(SKIP_2) | instid1(SALU_CYCLE_1)
	v_mul_f16_e32 v0, v8, v0
	v_add_nc_u32_e32 v8, s3, v1
	s_ashr_i32 s3, s2, 31
	s_lshr_b32 s3, s3, 28
	global_store_b16 v[6:7], v0, off
	global_load_b32 v0, v[4:5], off
	v_ashrrev_i32_e32 v9, 31, v8
	s_add_i32 s3, s2, s3
	s_delay_alu instid0(SALU_CYCLE_1) | instskip(NEXT) | instid1(VALU_DEP_1)
	s_ashr_i32 s3, s3, 4
	v_lshlrev_b64 v[4:5], 1, v[8:9]
	v_add_nc_u32_e32 v3, s3, v3
	s_delay_alu instid0(VALU_DEP_2) | instskip(NEXT) | instid1(VALU_DEP_3)
	v_add_co_u32 v4, vcc_lo, s22, v4
	v_add_co_ci_u32_e32 v5, vcc_lo, s23, v5, vcc_lo
	global_load_u16 v8, v[4:5], off
	v_bfe_u32 v4, v2, 28, 2
	v_add_co_u32 v5, vcc_lo, v6, s0
	v_add_co_ci_u32_e32 v6, vcc_lo, s1, v7, vcc_lo
	s_delay_alu instid0(VALU_DEP_3) | instskip(SKIP_2) | instid1(VALU_DEP_1)
	v_sub_nc_u32_e32 v4, v4, v49
	s_waitcnt vmcnt(1)
	v_bfe_u32 v0, v0, v48, 2
	v_sub_nc_u32_e32 v0, v4, v0
	v_ashrrev_i32_e32 v4, 31, v3
	s_delay_alu instid0(VALU_DEP_2) | instskip(NEXT) | instid1(VALU_DEP_2)
	v_cvt_f32_i32_e32 v0, v0
	v_lshlrev_b64 v[3:4], 2, v[3:4]
	s_delay_alu instid0(VALU_DEP_2) | instskip(NEXT) | instid1(VALU_DEP_2)
	v_cvt_f16_f32_e32 v0, v0
	v_add_co_u32 v3, vcc_lo, s24, v3
	s_delay_alu instid0(VALU_DEP_3) | instskip(SKIP_1) | instid1(VALU_DEP_3)
	v_add_co_ci_u32_e32 v4, vcc_lo, s25, v4, vcc_lo
	s_waitcnt vmcnt(0)
	v_mul_f16_e32 v7, v8, v0
	v_add_nc_u32_e32 v0, s2, v1
	global_store_b16 v[5:6], v7, off
	global_load_b32 v3, v[3:4], off
	v_ashrrev_i32_e32 v1, 31, v0
	s_delay_alu instid0(VALU_DEP_1) | instskip(NEXT) | instid1(VALU_DEP_1)
	v_lshlrev_b64 v[0:1], 1, v[0:1]
	v_add_co_u32 v0, vcc_lo, s22, v0
	s_delay_alu instid0(VALU_DEP_2) | instskip(SKIP_2) | instid1(VALU_DEP_1)
	v_add_co_ci_u32_e32 v1, vcc_lo, s23, v1, vcc_lo
	global_load_u16 v4, v[0:1], off
	v_lshrrev_b32_e32 v0, 30, v2
	v_sub_nc_u32_e32 v0, v0, v49
	s_waitcnt vmcnt(1)
	v_bfe_u32 v1, v3, v48, 2
	s_delay_alu instid0(VALU_DEP_1) | instskip(NEXT) | instid1(VALU_DEP_1)
	v_sub_nc_u32_e32 v0, v0, v1
	v_cvt_f32_i32_e32 v0, v0
	s_delay_alu instid0(VALU_DEP_1) | instskip(SKIP_3) | instid1(VALU_DEP_3)
	v_cvt_f16_f32_e32 v2, v0
	v_add_co_u32 v0, vcc_lo, v5, s0
	v_add_co_ci_u32_e32 v1, vcc_lo, s1, v6, vcc_lo
	s_waitcnt vmcnt(0)
	v_mul_f16_e32 v2, v4, v2
	global_store_b16 v[0:1], v2, off
.LBB48_2:
	s_nop 0
	s_sendmsg sendmsg(MSG_DEALLOC_VGPRS)
	s_endpgm
	.section	.rodata,"a",@progbits
	.p2align	6, 0x0
	.amdhsa_kernel _ZN4vllm4gptq23reconstruct_gptq_kernelINS0_17MatrixView_q2_rowELi2EEEvPKjPK6__halfS4_PKiiiibPS5_
		.amdhsa_group_segment_fixed_size 0
		.amdhsa_private_segment_fixed_size 0
		.amdhsa_kernarg_size 56
		.amdhsa_user_sgpr_count 14
		.amdhsa_user_sgpr_dispatch_ptr 0
		.amdhsa_user_sgpr_queue_ptr 0
		.amdhsa_user_sgpr_kernarg_segment_ptr 1
		.amdhsa_user_sgpr_dispatch_id 0
		.amdhsa_user_sgpr_private_segment_size 0
		.amdhsa_wavefront_size32 1
		.amdhsa_uses_dynamic_stack 0
		.amdhsa_enable_private_segment 0
		.amdhsa_system_sgpr_workgroup_id_x 1
		.amdhsa_system_sgpr_workgroup_id_y 1
		.amdhsa_system_sgpr_workgroup_id_z 0
		.amdhsa_system_sgpr_workgroup_info 0
		.amdhsa_system_vgpr_workitem_id 0
		.amdhsa_next_free_vgpr 61
		.amdhsa_next_free_sgpr 30
		.amdhsa_reserve_vcc 1
		.amdhsa_float_round_mode_32 0
		.amdhsa_float_round_mode_16_64 0
		.amdhsa_float_denorm_mode_32 3
		.amdhsa_float_denorm_mode_16_64 3
		.amdhsa_dx10_clamp 1
		.amdhsa_ieee_mode 1
		.amdhsa_fp16_overflow 0
		.amdhsa_workgroup_processor_mode 1
		.amdhsa_memory_ordered 1
		.amdhsa_forward_progress 0
		.amdhsa_shared_vgpr_count 0
		.amdhsa_exception_fp_ieee_invalid_op 0
		.amdhsa_exception_fp_denorm_src 0
		.amdhsa_exception_fp_ieee_div_zero 0
		.amdhsa_exception_fp_ieee_overflow 0
		.amdhsa_exception_fp_ieee_underflow 0
		.amdhsa_exception_fp_ieee_inexact 0
		.amdhsa_exception_int_div_zero 0
	.end_amdhsa_kernel
	.section	.text._ZN4vllm4gptq23reconstruct_gptq_kernelINS0_17MatrixView_q2_rowELi2EEEvPKjPK6__halfS4_PKiiiibPS5_,"axG",@progbits,_ZN4vllm4gptq23reconstruct_gptq_kernelINS0_17MatrixView_q2_rowELi2EEEvPKjPK6__halfS4_PKiiiibPS5_,comdat
.Lfunc_end48:
	.size	_ZN4vllm4gptq23reconstruct_gptq_kernelINS0_17MatrixView_q2_rowELi2EEEvPKjPK6__halfS4_PKiiiibPS5_, .Lfunc_end48-_ZN4vllm4gptq23reconstruct_gptq_kernelINS0_17MatrixView_q2_rowELi2EEEvPKjPK6__halfS4_PKiiiibPS5_
                                        ; -- End function
	.section	.AMDGPU.csdata,"",@progbits
; Kernel info:
; codeLenInByte = 2932
; NumSgprs: 32
; NumVgprs: 61
; ScratchSize: 0
; MemoryBound: 0
; FloatMode: 240
; IeeeMode: 1
; LDSByteSize: 0 bytes/workgroup (compile time only)
; SGPRBlocks: 3
; VGPRBlocks: 7
; NumSGPRsForWavesPerEU: 32
; NumVGPRsForWavesPerEU: 61
; Occupancy: 16
; WaveLimiterHint : 1
; COMPUTE_PGM_RSRC2:SCRATCH_EN: 0
; COMPUTE_PGM_RSRC2:USER_SGPR: 14
; COMPUTE_PGM_RSRC2:TRAP_HANDLER: 0
; COMPUTE_PGM_RSRC2:TGID_X_EN: 1
; COMPUTE_PGM_RSRC2:TGID_Y_EN: 1
; COMPUTE_PGM_RSRC2:TGID_Z_EN: 0
; COMPUTE_PGM_RSRC2:TIDIG_COMP_CNT: 0
	.section	.text._ZN4vllm4gptq23reconstruct_gptq_kernelINS0_17MatrixView_q8_rowELi8EEEvPKjPK6__halfS4_PKiiiibPS5_,"axG",@progbits,_ZN4vllm4gptq23reconstruct_gptq_kernelINS0_17MatrixView_q8_rowELi8EEEvPKjPK6__halfS4_PKiiiibPS5_,comdat
	.protected	_ZN4vllm4gptq23reconstruct_gptq_kernelINS0_17MatrixView_q8_rowELi8EEEvPKjPK6__halfS4_PKiiiibPS5_ ; -- Begin function _ZN4vllm4gptq23reconstruct_gptq_kernelINS0_17MatrixView_q8_rowELi8EEEvPKjPK6__halfS4_PKiiiibPS5_
	.globl	_ZN4vllm4gptq23reconstruct_gptq_kernelINS0_17MatrixView_q8_rowELi8EEEvPKjPK6__halfS4_PKiiiibPS5_
	.p2align	8
	.type	_ZN4vllm4gptq23reconstruct_gptq_kernelINS0_17MatrixView_q8_rowELi8EEEvPKjPK6__halfS4_PKiiiibPS5_,@function
_ZN4vllm4gptq23reconstruct_gptq_kernelINS0_17MatrixView_q8_rowELi8EEEvPKjPK6__halfS4_PKiiiibPS5_: ; @_ZN4vllm4gptq23reconstruct_gptq_kernelINS0_17MatrixView_q8_rowELi8EEEvPKjPK6__halfS4_PKiiiibPS5_
; %bb.0:
	s_load_b32 s2, s[0:1], 0x24
	v_lshl_add_u32 v1, s14, 7, v0
	s_mov_b32 s3, exec_lo
	s_waitcnt lgkmcnt(0)
	s_delay_alu instid0(VALU_DEP_1)
	v_cmpx_gt_u32_e64 s2, v1
	s_cbranch_execz .LBB49_2
; %bb.1:
	s_clause 0x1
	s_load_b32 s3, s[0:1], 0x2c
	s_load_b256 s[4:11], s[0:1], 0x0
	v_mad_u64_u32 v[2:3], null, s15, s2, v[1:2]
	v_ashrrev_i32_e32 v4, 31, v1
	s_load_b64 s[0:1], s[0:1], 0x30
	v_lshlrev_b32_e32 v0, 3, v0
	s_delay_alu instid0(VALU_DEP_2) | instskip(NEXT) | instid1(VALU_DEP_1)
	v_lshrrev_b32_e32 v4, 30, v4
	v_dual_mov_b32 v3, 0 :: v_dual_add_nc_u32 v4, v1, v4
	s_delay_alu instid0(VALU_DEP_1) | instskip(NEXT) | instid1(VALU_DEP_2)
	v_lshlrev_b64 v[2:3], 2, v[2:3]
	v_ashrrev_i32_e32 v5, 2, v4
	s_waitcnt lgkmcnt(0)
	s_bitcmp1_b32 s3, 0
	s_delay_alu instid0(VALU_DEP_2) | instskip(SKIP_4) | instid1(SALU_CYCLE_1)
	v_add_co_u32 v2, vcc_lo, s4, v2
	s_cselect_b32 s16, -1, 0
	s_lshl_b32 s3, s15, 2
	v_add_co_ci_u32_e32 v3, vcc_lo, s5, v3, vcc_lo
	s_and_b32 s3, s3, 0x1ffffffc
	s_lshl_b32 s12, s3, 2
	global_load_b32 v16, v[2:3], off
	s_load_b128 s[12:15], s[10:11], s12 offset:0x0
	s_waitcnt lgkmcnt(0)
	s_mul_i32 s4, s12, s2
	s_mul_i32 s5, s13, s2
	s_ashr_i32 s12, s4, 31
	s_ashr_i32 s13, s5, 31
	s_lshr_b32 s12, s12, 30
	s_mul_i32 s10, s14, s2
	s_add_i32 s12, s4, s12
	s_lshr_b32 s13, s13, 30
	s_mul_i32 s11, s15, s2
	s_ashr_i32 s14, s10, 31
	s_ashr_i32 s12, s12, 2
	s_add_i32 s13, s5, s13
	s_ashr_i32 s15, s11, 31
	s_lshr_b32 s14, s14, 30
	v_add_nc_u32_e32 v2, s12, v5
	s_ashr_i32 s13, s13, 2
	s_lshr_b32 s15, s15, 30
	s_add_i32 s14, s10, s14
	v_add_nc_u32_e32 v4, s13, v5
	s_add_i32 s15, s11, s15
	s_ashr_i32 s14, s14, 2
	v_ashrrev_i32_e32 v3, 31, v2
	s_ashr_i32 s12, s15, 2
	v_add_nc_u32_e32 v6, s14, v5
	v_add_nc_u32_e32 v8, s12, v5
	v_ashrrev_i32_e32 v5, 31, v4
	v_lshlrev_b64 v[2:3], 2, v[2:3]
	v_add_nc_u32_e32 v10, s4, v1
	v_ashrrev_i32_e32 v7, 31, v6
	v_ashrrev_i32_e32 v9, 31, v8
	v_lshlrev_b64 v[4:5], 2, v[4:5]
	v_add_nc_u32_e32 v12, s5, v1
	v_add_co_u32 v2, vcc_lo, s8, v2
	v_lshlrev_b64 v[6:7], 2, v[6:7]
	v_add_co_ci_u32_e32 v3, vcc_lo, s9, v3, vcc_lo
	v_lshlrev_b64 v[8:9], 2, v[8:9]
	v_add_co_u32 v4, vcc_lo, s8, v4
	v_add_co_ci_u32_e32 v5, vcc_lo, s9, v5, vcc_lo
	v_add_co_u32 v6, vcc_lo, s8, v6
	v_add_co_ci_u32_e32 v7, vcc_lo, s9, v7, vcc_lo
	v_add_co_u32 v8, vcc_lo, s8, v8
	v_ashrrev_i32_e32 v11, 31, v10
	v_add_nc_u32_e32 v14, s10, v1
	v_add_co_ci_u32_e32 v9, vcc_lo, s9, v9, vcc_lo
	v_ashrrev_i32_e32 v13, 31, v12
	s_clause 0x3
	global_load_b32 v17, v[2:3], off
	global_load_b32 v18, v[4:5], off
	;; [unrolled: 1-line block ×4, first 2 shown]
	v_add_nc_u32_e32 v2, s11, v1
	v_lshlrev_b64 v[4:5], 1, v[10:11]
	v_ashrrev_i32_e32 v15, 31, v14
	v_lshlrev_b64 v[6:7], 1, v[12:13]
	s_xor_b32 s4, s16, -1
	v_ashrrev_i32_e32 v3, 31, v2
	s_delay_alu instid0(VALU_DEP_3) | instskip(SKIP_2) | instid1(VALU_DEP_4)
	v_lshlrev_b64 v[8:9], 1, v[14:15]
	v_add_co_u32 v4, vcc_lo, s6, v4
	v_add_co_ci_u32_e32 v5, vcc_lo, s7, v5, vcc_lo
	v_lshlrev_b64 v[2:3], 1, v[2:3]
	v_add_co_u32 v6, vcc_lo, s6, v6
	v_add_co_ci_u32_e32 v7, vcc_lo, s7, v7, vcc_lo
	v_add_co_u32 v8, vcc_lo, s6, v8
	v_add_co_ci_u32_e32 v9, vcc_lo, s7, v9, vcc_lo
	;; [unrolled: 2-line block ×3, first 2 shown]
	s_clause 0x3
	global_load_u16 v10, v[4:5], off
	global_load_u16 v11, v[6:7], off
	;; [unrolled: 1-line block ×4, first 2 shown]
	v_mad_u64_u32 v[2:3], null, s3, s2, v[1:2]
	v_and_b32_e32 v4, 24, v0
	v_cndmask_b32_e64 v5, 0, 1, s4
	s_ashr_i32 s3, s2, 31
	s_delay_alu instid0(SALU_CYCLE_1) | instskip(NEXT) | instid1(VALU_DEP_3)
	s_lshl_b64 s[2:3], s[2:3], 1
	v_ashrrev_i32_e32 v3, 31, v2
	s_delay_alu instid0(VALU_DEP_1) | instskip(NEXT) | instid1(VALU_DEP_1)
	v_lshlrev_b64 v[0:1], 1, v[2:3]
	v_add_co_u32 v0, vcc_lo, s0, v0
	s_delay_alu instid0(VALU_DEP_2)
	v_add_co_ci_u32_e32 v1, vcc_lo, s1, v1, vcc_lo
	s_waitcnt vmcnt(8)
	v_and_b32_e32 v6, 0xff, v16
	v_bfe_u32 v7, v16, 8, 8
	v_bfe_u32 v12, v16, 16, 8
	v_lshrrev_b32_e32 v13, 24, v16
	s_delay_alu instid0(VALU_DEP_4) | instskip(NEXT) | instid1(VALU_DEP_4)
	v_sub_nc_u32_e32 v2, v6, v5
	v_sub_nc_u32_e32 v3, v7, v5
	s_delay_alu instid0(VALU_DEP_4) | instskip(NEXT) | instid1(VALU_DEP_4)
	v_sub_nc_u32_e32 v6, v12, v5
	v_sub_nc_u32_e32 v5, v13, v5
	s_waitcnt vmcnt(7)
	v_bfe_u32 v7, v17, v4, 8
	s_waitcnt vmcnt(6)
	v_bfe_u32 v12, v18, v4, 8
	;; [unrolled: 2-line block ×4, first 2 shown]
	v_sub_nc_u32_e32 v7, v2, v7
	v_sub_nc_u32_e32 v12, v3, v12
	;; [unrolled: 1-line block ×3, first 2 shown]
	s_delay_alu instid0(VALU_DEP_4)
	v_sub_nc_u32_e32 v4, v5, v4
	v_add_co_u32 v2, vcc_lo, v0, s2
	v_cvt_f32_i32_e32 v7, v7
	v_cvt_f32_i32_e32 v12, v12
	v_cvt_f32_i32_e32 v6, v6
	v_add_co_ci_u32_e32 v3, vcc_lo, s3, v1, vcc_lo
	v_cvt_f32_i32_e32 v13, v4
	v_cvt_f16_f32_e32 v14, v7
	v_add_co_u32 v4, vcc_lo, v2, s2
	v_cvt_f16_f32_e32 v12, v12
	v_cvt_f16_f32_e32 v15, v6
	v_add_co_ci_u32_e32 v5, vcc_lo, s3, v3, vcc_lo
	v_cvt_f16_f32_e32 v13, v13
	v_add_co_u32 v6, vcc_lo, v4, s2
	s_waitcnt vmcnt(3)
	v_mul_f16_e32 v10, v10, v14
	s_waitcnt vmcnt(2)
	v_mul_f16_e32 v11, v11, v12
	;; [unrolled: 2-line block ×3, first 2 shown]
	v_add_co_ci_u32_e32 v7, vcc_lo, s3, v5, vcc_lo
	s_waitcnt vmcnt(0)
	v_mul_f16_e32 v9, v9, v13
	s_clause 0x3
	global_store_b16 v[0:1], v10, off
	global_store_b16 v[2:3], v11, off
	;; [unrolled: 1-line block ×4, first 2 shown]
.LBB49_2:
	s_nop 0
	s_sendmsg sendmsg(MSG_DEALLOC_VGPRS)
	s_endpgm
	.section	.rodata,"a",@progbits
	.p2align	6, 0x0
	.amdhsa_kernel _ZN4vllm4gptq23reconstruct_gptq_kernelINS0_17MatrixView_q8_rowELi8EEEvPKjPK6__halfS4_PKiiiibPS5_
		.amdhsa_group_segment_fixed_size 0
		.amdhsa_private_segment_fixed_size 0
		.amdhsa_kernarg_size 56
		.amdhsa_user_sgpr_count 14
		.amdhsa_user_sgpr_dispatch_ptr 0
		.amdhsa_user_sgpr_queue_ptr 0
		.amdhsa_user_sgpr_kernarg_segment_ptr 1
		.amdhsa_user_sgpr_dispatch_id 0
		.amdhsa_user_sgpr_private_segment_size 0
		.amdhsa_wavefront_size32 1
		.amdhsa_uses_dynamic_stack 0
		.amdhsa_enable_private_segment 0
		.amdhsa_system_sgpr_workgroup_id_x 1
		.amdhsa_system_sgpr_workgroup_id_y 1
		.amdhsa_system_sgpr_workgroup_id_z 0
		.amdhsa_system_sgpr_workgroup_info 0
		.amdhsa_system_vgpr_workitem_id 0
		.amdhsa_next_free_vgpr 21
		.amdhsa_next_free_sgpr 17
		.amdhsa_reserve_vcc 1
		.amdhsa_float_round_mode_32 0
		.amdhsa_float_round_mode_16_64 0
		.amdhsa_float_denorm_mode_32 3
		.amdhsa_float_denorm_mode_16_64 3
		.amdhsa_dx10_clamp 1
		.amdhsa_ieee_mode 1
		.amdhsa_fp16_overflow 0
		.amdhsa_workgroup_processor_mode 1
		.amdhsa_memory_ordered 1
		.amdhsa_forward_progress 0
		.amdhsa_shared_vgpr_count 0
		.amdhsa_exception_fp_ieee_invalid_op 0
		.amdhsa_exception_fp_denorm_src 0
		.amdhsa_exception_fp_ieee_div_zero 0
		.amdhsa_exception_fp_ieee_overflow 0
		.amdhsa_exception_fp_ieee_underflow 0
		.amdhsa_exception_fp_ieee_inexact 0
		.amdhsa_exception_int_div_zero 0
	.end_amdhsa_kernel
	.section	.text._ZN4vllm4gptq23reconstruct_gptq_kernelINS0_17MatrixView_q8_rowELi8EEEvPKjPK6__halfS4_PKiiiibPS5_,"axG",@progbits,_ZN4vllm4gptq23reconstruct_gptq_kernelINS0_17MatrixView_q8_rowELi8EEEvPKjPK6__halfS4_PKiiiibPS5_,comdat
.Lfunc_end49:
	.size	_ZN4vllm4gptq23reconstruct_gptq_kernelINS0_17MatrixView_q8_rowELi8EEEvPKjPK6__halfS4_PKiiiibPS5_, .Lfunc_end49-_ZN4vllm4gptq23reconstruct_gptq_kernelINS0_17MatrixView_q8_rowELi8EEEvPKjPK6__halfS4_PKiiiibPS5_
                                        ; -- End function
	.section	.AMDGPU.csdata,"",@progbits
; Kernel info:
; codeLenInByte = 900
; NumSgprs: 19
; NumVgprs: 21
; ScratchSize: 0
; MemoryBound: 0
; FloatMode: 240
; IeeeMode: 1
; LDSByteSize: 0 bytes/workgroup (compile time only)
; SGPRBlocks: 2
; VGPRBlocks: 2
; NumSGPRsForWavesPerEU: 19
; NumVGPRsForWavesPerEU: 21
; Occupancy: 16
; WaveLimiterHint : 1
; COMPUTE_PGM_RSRC2:SCRATCH_EN: 0
; COMPUTE_PGM_RSRC2:USER_SGPR: 14
; COMPUTE_PGM_RSRC2:TRAP_HANDLER: 0
; COMPUTE_PGM_RSRC2:TGID_X_EN: 1
; COMPUTE_PGM_RSRC2:TGID_Y_EN: 1
; COMPUTE_PGM_RSRC2:TGID_Z_EN: 0
; COMPUTE_PGM_RSRC2:TIDIG_COMP_CNT: 0
	.text
	.p2alignl 7, 3214868480
	.fill 96, 4, 3214868480
	.type	__hip_cuid_f79a1cc4bd584b79,@object ; @__hip_cuid_f79a1cc4bd584b79
	.section	.bss,"aw",@nobits
	.globl	__hip_cuid_f79a1cc4bd584b79
__hip_cuid_f79a1cc4bd584b79:
	.byte	0                               ; 0x0
	.size	__hip_cuid_f79a1cc4bd584b79, 1

	.ident	"AMD clang version 19.0.0git (https://github.com/RadeonOpenCompute/llvm-project roc-6.4.0 25133 c7fe45cf4b819c5991fe208aaa96edf142730f1d)"
	.section	".note.GNU-stack","",@progbits
	.addrsig
	.addrsig_sym __hip_cuid_f79a1cc4bd584b79
	.amdgpu_metadata
---
amdhsa.kernels:
  - .args:
      - .actual_access:  read_only
        .address_space:  global
        .offset:         0
        .size:           8
        .value_kind:     global_buffer
      - .actual_access:  read_only
        .address_space:  global
        .offset:         8
        .size:           8
        .value_kind:     global_buffer
      - .actual_access:  read_only
        .address_space:  global
        .offset:         16
        .size:           8
        .value_kind:     global_buffer
      - .actual_access:  read_only
        .address_space:  global
        .offset:         24
        .size:           8
        .value_kind:     global_buffer
      - .offset:         32
        .size:           4
        .value_kind:     by_value
      - .offset:         36
        .size:           4
        .value_kind:     by_value
      - .offset:         40
        .size:           4
        .value_kind:     by_value
      - .offset:         44
        .size:           1
        .value_kind:     by_value
      - .actual_access:  write_only
        .address_space:  global
        .offset:         48
        .size:           8
        .value_kind:     global_buffer
    .group_segment_fixed_size: 512
    .kernarg_segment_align: 8
    .kernarg_segment_size: 56
    .language:       OpenCL C
    .language_version:
      - 2
      - 0
    .max_flat_workgroup_size: 1024
    .name:           _ZN4vllm4gptq31reconstruct_exllama_8bit_kernelEPKjPKiS2_PK6__halfiiibPS5_
    .private_segment_fixed_size: 0
    .sgpr_count:     40
    .sgpr_spill_count: 0
    .symbol:         _ZN4vllm4gptq31reconstruct_exllama_8bit_kernelEPKjPKiS2_PK6__halfiiibPS5_.kd
    .uniform_work_group_size: 1
    .uses_dynamic_stack: false
    .vgpr_count:     57
    .vgpr_spill_count: 0
    .wavefront_size: 32
    .workgroup_processor_mode: 1
  - .args:
      - .actual_access:  read_only
        .address_space:  global
        .offset:         0
        .size:           8
        .value_kind:     global_buffer
      - .actual_access:  read_only
        .address_space:  global
        .offset:         8
        .size:           8
        .value_kind:     global_buffer
      - .actual_access:  read_only
        .address_space:  global
        .offset:         16
        .size:           8
        .value_kind:     global_buffer
      - .actual_access:  read_only
        .address_space:  global
        .offset:         24
        .size:           8
        .value_kind:     global_buffer
      - .offset:         32
        .size:           4
        .value_kind:     by_value
      - .offset:         36
        .size:           4
        .value_kind:     by_value
      - .offset:         40
        .size:           4
        .value_kind:     by_value
      - .offset:         44
        .size:           1
        .value_kind:     by_value
      - .actual_access:  write_only
        .address_space:  global
        .offset:         48
        .size:           8
        .value_kind:     global_buffer
    .group_segment_fixed_size: 512
    .kernarg_segment_align: 8
    .kernarg_segment_size: 56
    .language:       OpenCL C
    .language_version:
      - 2
      - 0
    .max_flat_workgroup_size: 1024
    .name:           _ZN4vllm4gptq31reconstruct_exllama_4bit_kernelEPKjPKiS2_PK6__halfiiibPS5_
    .private_segment_fixed_size: 0
    .sgpr_count:     40
    .sgpr_spill_count: 0
    .symbol:         _ZN4vllm4gptq31reconstruct_exllama_4bit_kernelEPKjPKiS2_PK6__halfiiibPS5_.kd
    .uniform_work_group_size: 1
    .uses_dynamic_stack: false
    .vgpr_count:     56
    .vgpr_spill_count: 0
    .wavefront_size: 32
    .workgroup_processor_mode: 1
  - .args:
      - .actual_access:  read_only
        .address_space:  global
        .offset:         0
        .size:           8
        .value_kind:     global_buffer
      - .actual_access:  read_only
        .address_space:  global
        .offset:         8
        .size:           8
        .value_kind:     global_buffer
      - .actual_access:  read_only
        .address_space:  global
        .offset:         16
        .size:           8
        .value_kind:     global_buffer
      - .actual_access:  read_only
        .address_space:  global
        .offset:         24
        .size:           8
        .value_kind:     global_buffer
      - .offset:         32
        .size:           4
        .value_kind:     by_value
      - .offset:         36
        .size:           4
        .value_kind:     by_value
      - .offset:         40
        .size:           4
        .value_kind:     by_value
      - .offset:         44
        .size:           1
        .value_kind:     by_value
      - .actual_access:  write_only
        .address_space:  global
        .offset:         48
        .size:           8
        .value_kind:     global_buffer
    .group_segment_fixed_size: 512
    .kernarg_segment_align: 8
    .kernarg_segment_size: 56
    .language:       OpenCL C
    .language_version:
      - 2
      - 0
    .max_flat_workgroup_size: 1024
    .name:           _ZN4vllm4gptq31reconstruct_exllama_3bit_kernelEPKjPKiS2_PK6__halfiiibPS5_
    .private_segment_fixed_size: 0
    .sgpr_count:     64
    .sgpr_spill_count: 0
    .symbol:         _ZN4vllm4gptq31reconstruct_exllama_3bit_kernelEPKjPKiS2_PK6__halfiiibPS5_.kd
    .uniform_work_group_size: 1
    .uses_dynamic_stack: false
    .vgpr_count:     113
    .vgpr_spill_count: 0
    .wavefront_size: 32
    .workgroup_processor_mode: 1
  - .args:
      - .actual_access:  read_only
        .address_space:  global
        .offset:         0
        .size:           8
        .value_kind:     global_buffer
      - .actual_access:  read_only
        .address_space:  global
        .offset:         8
        .size:           8
        .value_kind:     global_buffer
      - .actual_access:  read_only
        .address_space:  global
        .offset:         16
        .size:           8
        .value_kind:     global_buffer
      - .actual_access:  read_only
        .address_space:  global
        .offset:         24
        .size:           8
        .value_kind:     global_buffer
      - .offset:         32
        .size:           4
        .value_kind:     by_value
      - .offset:         36
        .size:           4
        .value_kind:     by_value
      - .offset:         40
        .size:           4
        .value_kind:     by_value
      - .offset:         44
        .size:           1
        .value_kind:     by_value
      - .actual_access:  write_only
        .address_space:  global
        .offset:         48
        .size:           8
        .value_kind:     global_buffer
    .group_segment_fixed_size: 512
    .kernarg_segment_align: 8
    .kernarg_segment_size: 56
    .language:       OpenCL C
    .language_version:
      - 2
      - 0
    .max_flat_workgroup_size: 1024
    .name:           _ZN4vllm4gptq31reconstruct_exllama_2bit_kernelEPKjPKiS2_PK6__halfiiibPS5_
    .private_segment_fixed_size: 0
    .sgpr_count:     58
    .sgpr_spill_count: 0
    .symbol:         _ZN4vllm4gptq31reconstruct_exllama_2bit_kernelEPKjPKiS2_PK6__halfiiibPS5_.kd
    .uniform_work_group_size: 1
    .uses_dynamic_stack: false
    .vgpr_count:     87
    .vgpr_spill_count: 0
    .wavefront_size: 32
    .workgroup_processor_mode: 1
  - .args:
      - .actual_access:  read_only
        .address_space:  global
        .offset:         0
        .size:           8
        .value_kind:     global_buffer
      - .actual_access:  read_only
        .address_space:  global
        .offset:         8
        .size:           8
        .value_kind:     global_buffer
      - .address_space:  global
        .offset:         16
        .size:           8
        .value_kind:     global_buffer
      - .actual_access:  read_only
        .address_space:  global
        .offset:         24
        .size:           8
        .value_kind:     global_buffer
      - .actual_access:  read_only
        .address_space:  global
        .offset:         32
        .size:           8
        .value_kind:     global_buffer
      - .actual_access:  read_only
        .address_space:  global
        .offset:         40
        .size:           8
        .value_kind:     global_buffer
      - .offset:         48
        .size:           4
        .value_kind:     by_value
      - .offset:         52
        .size:           4
        .value_kind:     by_value
      - .offset:         56
        .size:           4
        .value_kind:     by_value
      - .offset:         60
        .size:           1
        .value_kind:     by_value
    .group_segment_fixed_size: 26624
    .kernarg_segment_align: 8
    .kernarg_segment_size: 64
    .language:       OpenCL C
    .language_version:
      - 2
      - 0
    .max_flat_workgroup_size: 1024
    .name:           _ZN4vllm4gptq32gemm_half_q_half_alt_4bit_kernelEPK7__half2PKjP6__halfPKS6_S5_PKiiiib
    .private_segment_fixed_size: 0
    .sgpr_count:     33
    .sgpr_spill_count: 0
    .symbol:         _ZN4vllm4gptq32gemm_half_q_half_alt_4bit_kernelEPK7__half2PKjP6__halfPKS6_S5_PKiiiib.kd
    .uniform_work_group_size: 1
    .uses_dynamic_stack: false
    .vgpr_count:     30
    .vgpr_spill_count: 0
    .wavefront_size: 32
    .workgroup_processor_mode: 1
  - .args:
      - .actual_access:  read_only
        .address_space:  global
        .offset:         0
        .size:           8
        .value_kind:     global_buffer
      - .actual_access:  read_only
        .address_space:  global
        .offset:         8
        .size:           8
        .value_kind:     global_buffer
      - .address_space:  global
        .offset:         16
        .size:           8
        .value_kind:     global_buffer
      - .actual_access:  read_only
        .address_space:  global
        .offset:         24
        .size:           8
        .value_kind:     global_buffer
      - .actual_access:  read_only
        .address_space:  global
        .offset:         32
        .size:           8
        .value_kind:     global_buffer
      - .actual_access:  read_only
        .address_space:  global
        .offset:         40
        .size:           8
        .value_kind:     global_buffer
      - .offset:         48
        .size:           4
        .value_kind:     by_value
      - .offset:         52
        .size:           4
        .value_kind:     by_value
      - .offset:         56
        .size:           4
        .value_kind:     by_value
      - .offset:         60
        .size:           1
        .value_kind:     by_value
    .group_segment_fixed_size: 18432
    .kernarg_segment_align: 8
    .kernarg_segment_size: 64
    .language:       OpenCL C
    .language_version:
      - 2
      - 0
    .max_flat_workgroup_size: 1024
    .name:           _ZN4vllm4gptq32gemm_half_q_half_alt_8bit_kernelEPK7__half2PKjP6__halfPKS6_S5_PKiiiib
    .private_segment_fixed_size: 0
    .sgpr_count:     32
    .sgpr_spill_count: 0
    .symbol:         _ZN4vllm4gptq32gemm_half_q_half_alt_8bit_kernelEPK7__half2PKjP6__halfPKS6_S5_PKiiiib.kd
    .uniform_work_group_size: 1
    .uses_dynamic_stack: false
    .vgpr_count:     26
    .vgpr_spill_count: 0
    .wavefront_size: 32
    .workgroup_processor_mode: 1
  - .args:
      - .actual_access:  read_only
        .address_space:  global
        .offset:         0
        .size:           8
        .value_kind:     global_buffer
      - .actual_access:  read_only
        .address_space:  global
        .offset:         8
        .size:           8
        .value_kind:     global_buffer
      - .actual_access:  read_only
        .address_space:  global
        .offset:         16
        .size:           8
        .value_kind:     global_buffer
      - .actual_access:  read_only
        .address_space:  global
        .offset:         24
        .size:           8
        .value_kind:     global_buffer
      - .offset:         32
        .size:           4
        .value_kind:     by_value
      - .offset:         36
        .size:           4
        .value_kind:     by_value
      - .offset:         40
        .size:           4
        .value_kind:     by_value
      - .offset:         44
        .size:           1
        .value_kind:     by_value
      - .actual_access:  write_only
        .address_space:  global
        .offset:         48
        .size:           8
        .value_kind:     global_buffer
    .group_segment_fixed_size: 0
    .kernarg_segment_align: 8
    .kernarg_segment_size: 56
    .language:       OpenCL C
    .language_version:
      - 2
      - 0
    .max_flat_workgroup_size: 1024
    .name:           _ZN4vllm4gptq28reconstruct_gptq_3bit_kernelEPKjPK6__halfS2_PKiiiibPS3_
    .private_segment_fixed_size: 0
    .sgpr_count:     22
    .sgpr_spill_count: 0
    .symbol:         _ZN4vllm4gptq28reconstruct_gptq_3bit_kernelEPKjPK6__halfS2_PKiiiibPS3_.kd
    .uniform_work_group_size: 1
    .uses_dynamic_stack: false
    .vgpr_count:     18
    .vgpr_spill_count: 0
    .wavefront_size: 32
    .workgroup_processor_mode: 1
  - .args:
      - .address_space:  global
        .offset:         0
        .size:           8
        .value_kind:     global_buffer
      - .offset:         8
        .size:           4
        .value_kind:     by_value
      - .offset:         12
        .size:           4
        .value_kind:     by_value
    .group_segment_fixed_size: 0
    .kernarg_segment_align: 8
    .kernarg_segment_size: 16
    .language:       OpenCL C
    .language_version:
      - 2
      - 0
    .max_flat_workgroup_size: 1024
    .name:           _ZN4vllm4gptq19shuffle_4bit_kernelEPjii
    .private_segment_fixed_size: 0
    .sgpr_count:     18
    .sgpr_spill_count: 0
    .symbol:         _ZN4vllm4gptq19shuffle_4bit_kernelEPjii.kd
    .uniform_work_group_size: 1
    .uses_dynamic_stack: false
    .vgpr_count:     9
    .vgpr_spill_count: 0
    .wavefront_size: 32
    .workgroup_processor_mode: 1
  - .args:
      - .actual_access:  read_only
        .address_space:  global
        .offset:         0
        .size:           8
        .value_kind:     global_buffer
      - .offset:         8
        .size:           4
        .value_kind:     by_value
      - .offset:         12
        .size:           4
        .value_kind:     by_value
    .group_segment_fixed_size: 0
    .kernarg_segment_align: 8
    .kernarg_segment_size: 16
    .language:       OpenCL C
    .language_version:
      - 2
      - 0
    .max_flat_workgroup_size: 1024
    .name:           _ZN4vllm4gptq19shuffle_8bit_kernelEPjii
    .private_segment_fixed_size: 0
    .sgpr_count:     0
    .sgpr_spill_count: 0
    .symbol:         _ZN4vllm4gptq19shuffle_8bit_kernelEPjii.kd
    .uniform_work_group_size: 1
    .uses_dynamic_stack: false
    .vgpr_count:     0
    .vgpr_spill_count: 0
    .wavefront_size: 32
    .workgroup_processor_mode: 1
  - .args:
      - .address_space:  global
        .offset:         0
        .size:           8
        .value_kind:     global_buffer
      - .offset:         8
        .size:           4
        .value_kind:     by_value
      - .offset:         12
        .size:           4
        .value_kind:     by_value
    .group_segment_fixed_size: 0
    .kernarg_segment_align: 8
    .kernarg_segment_size: 16
    .language:       OpenCL C
    .language_version:
      - 2
      - 0
    .max_flat_workgroup_size: 1024
    .name:           _ZN4vllm4gptq19shuffle_2bit_kernelEPjii
    .private_segment_fixed_size: 0
    .sgpr_count:     18
    .sgpr_spill_count: 0
    .symbol:         _ZN4vllm4gptq19shuffle_2bit_kernelEPjii.kd
    .uniform_work_group_size: 1
    .uses_dynamic_stack: false
    .vgpr_count:     10
    .vgpr_spill_count: 0
    .wavefront_size: 32
    .workgroup_processor_mode: 1
  - .args:
      - .address_space:  global
        .offset:         0
        .size:           8
        .value_kind:     global_buffer
      - .offset:         8
        .size:           4
        .value_kind:     by_value
      - .offset:         12
        .size:           4
        .value_kind:     by_value
    .group_segment_fixed_size: 0
    .kernarg_segment_align: 8
    .kernarg_segment_size: 16
    .language:       OpenCL C
    .language_version:
      - 2
      - 0
    .max_flat_workgroup_size: 1024
    .name:           _ZN4vllm4gptq19shuffle_3bit_kernelEPjii
    .private_segment_fixed_size: 0
    .sgpr_count:     18
    .sgpr_spill_count: 0
    .symbol:         _ZN4vllm4gptq19shuffle_3bit_kernelEPjii.kd
    .uniform_work_group_size: 1
    .uses_dynamic_stack: false
    .vgpr_count:     39
    .vgpr_spill_count: 0
    .wavefront_size: 32
    .workgroup_processor_mode: 1
  - .args:
      - .actual_access:  read_only
        .address_space:  global
        .offset:         0
        .size:           8
        .value_kind:     global_buffer
      - .actual_access:  write_only
        .address_space:  global
        .offset:         8
        .size:           8
        .value_kind:     global_buffer
      - .actual_access:  read_only
        .address_space:  global
        .offset:         16
        .size:           8
        .value_kind:     global_buffer
      - .offset:         24
        .size:           4
        .value_kind:     by_value
    .group_segment_fixed_size: 0
    .kernarg_segment_align: 8
    .kernarg_segment_size: 28
    .language:       OpenCL C
    .language_version:
      - 2
      - 0
    .max_flat_workgroup_size: 1024
    .name:           _ZN4vllm4gptq27make_sequential_4bit_kernelEPKjPjPKii
    .private_segment_fixed_size: 0
    .sgpr_count:     24
    .sgpr_spill_count: 0
    .symbol:         _ZN4vllm4gptq27make_sequential_4bit_kernelEPKjPjPKii.kd
    .uniform_work_group_size: 1
    .uses_dynamic_stack: false
    .vgpr_count:     21
    .vgpr_spill_count: 0
    .wavefront_size: 32
    .workgroup_processor_mode: 1
  - .args:
      - .actual_access:  read_only
        .address_space:  global
        .offset:         0
        .size:           8
        .value_kind:     global_buffer
      - .actual_access:  write_only
        .address_space:  global
        .offset:         8
        .size:           8
        .value_kind:     global_buffer
      - .actual_access:  read_only
        .address_space:  global
        .offset:         16
        .size:           8
        .value_kind:     global_buffer
      - .offset:         24
        .size:           4
        .value_kind:     by_value
    .group_segment_fixed_size: 0
    .kernarg_segment_align: 8
    .kernarg_segment_size: 28
    .language:       OpenCL C
    .language_version:
      - 2
      - 0
    .max_flat_workgroup_size: 1024
    .name:           _ZN4vllm4gptq27make_sequential_2bit_kernelEPKjPjPKii
    .private_segment_fixed_size: 0
    .sgpr_count:     34
    .sgpr_spill_count: 0
    .symbol:         _ZN4vllm4gptq27make_sequential_2bit_kernelEPKjPjPKii.kd
    .uniform_work_group_size: 1
    .uses_dynamic_stack: false
    .vgpr_count:     37
    .vgpr_spill_count: 0
    .wavefront_size: 32
    .workgroup_processor_mode: 1
  - .args:
      - .actual_access:  read_only
        .address_space:  global
        .offset:         0
        .size:           8
        .value_kind:     global_buffer
      - .actual_access:  write_only
        .address_space:  global
        .offset:         8
        .size:           8
        .value_kind:     global_buffer
      - .actual_access:  read_only
        .address_space:  global
        .offset:         16
        .size:           8
        .value_kind:     global_buffer
      - .offset:         24
        .size:           4
        .value_kind:     by_value
    .group_segment_fixed_size: 0
    .kernarg_segment_align: 8
    .kernarg_segment_size: 28
    .language:       OpenCL C
    .language_version:
      - 2
      - 0
    .max_flat_workgroup_size: 1024
    .name:           _ZN4vllm4gptq27make_sequential_3bit_kernelEPKjPjPKii
    .private_segment_fixed_size: 0
    .sgpr_count:     18
    .sgpr_spill_count: 0
    .symbol:         _ZN4vllm4gptq27make_sequential_3bit_kernelEPKjPjPKii.kd
    .uniform_work_group_size: 1
    .uses_dynamic_stack: false
    .vgpr_count:     37
    .vgpr_spill_count: 0
    .wavefront_size: 32
    .workgroup_processor_mode: 1
  - .args:
      - .actual_access:  read_only
        .address_space:  global
        .offset:         0
        .size:           8
        .value_kind:     global_buffer
      - .actual_access:  write_only
        .address_space:  global
        .offset:         8
        .size:           8
        .value_kind:     global_buffer
      - .actual_access:  read_only
        .address_space:  global
        .offset:         16
        .size:           8
        .value_kind:     global_buffer
      - .offset:         24
        .size:           4
        .value_kind:     by_value
    .group_segment_fixed_size: 0
    .kernarg_segment_align: 8
    .kernarg_segment_size: 28
    .language:       OpenCL C
    .language_version:
      - 2
      - 0
    .max_flat_workgroup_size: 1024
    .name:           _ZN4vllm4gptq27make_sequential_8bit_kernelEPKjPjPKii
    .private_segment_fixed_size: 0
    .sgpr_count:     18
    .sgpr_spill_count: 0
    .symbol:         _ZN4vllm4gptq27make_sequential_8bit_kernelEPKjPjPKii.kd
    .uniform_work_group_size: 1
    .uses_dynamic_stack: false
    .vgpr_count:     13
    .vgpr_spill_count: 0
    .wavefront_size: 32
    .workgroup_processor_mode: 1
  - .args:
      - .actual_access:  read_only
        .address_space:  global
        .offset:         0
        .size:           8
        .value_kind:     global_buffer
      - .actual_access:  read_only
        .address_space:  global
        .offset:         8
        .size:           8
        .value_kind:     global_buffer
      - .actual_access:  read_only
        .address_space:  global
        .offset:         16
        .size:           8
        .value_kind:     global_buffer
      - .actual_access:  read_only
        .address_space:  global
        .offset:         24
        .size:           8
        .value_kind:     global_buffer
      - .address_space:  global
        .offset:         32
        .size:           8
        .value_kind:     global_buffer
      - .offset:         40
        .size:           4
        .value_kind:     by_value
      - .offset:         44
        .size:           4
        .value_kind:     by_value
      - .offset:         48
        .size:           4
        .value_kind:     by_value
      - .offset:         52
        .size:           4
        .value_kind:     by_value
      - .offset:         56
        .size:           1
        .value_kind:     by_value
      - .actual_access:  read_only
        .address_space:  global
        .offset:         64
        .size:           8
        .value_kind:     global_buffer
    .group_segment_fixed_size: 256
    .kernarg_segment_align: 8
    .kernarg_segment_size: 72
    .language:       OpenCL C
    .language_version:
      - 2
      - 0
    .max_flat_workgroup_size: 1024
    .name:           _ZN4vllm4gptq33gemm_half_q_half_gptq_2bit_kernelILb1ELi1EEEvPK6__halfPKjS6_S4_PS2_iiiibPKi
    .private_segment_fixed_size: 0
    .sgpr_count:     24
    .sgpr_spill_count: 0
    .symbol:         _ZN4vllm4gptq33gemm_half_q_half_gptq_2bit_kernelILb1ELi1EEEvPK6__halfPKjS6_S4_PS2_iiiibPKi.kd
    .uniform_work_group_size: 1
    .uses_dynamic_stack: false
    .vgpr_count:     70
    .vgpr_spill_count: 0
    .wavefront_size: 32
    .workgroup_processor_mode: 1
  - .args:
      - .actual_access:  read_only
        .address_space:  global
        .offset:         0
        .size:           8
        .value_kind:     global_buffer
      - .actual_access:  read_only
        .address_space:  global
        .offset:         8
        .size:           8
        .value_kind:     global_buffer
      - .actual_access:  read_only
        .address_space:  global
        .offset:         16
        .size:           8
        .value_kind:     global_buffer
      - .actual_access:  read_only
        .address_space:  global
        .offset:         24
        .size:           8
        .value_kind:     global_buffer
      - .address_space:  global
        .offset:         32
        .size:           8
        .value_kind:     global_buffer
      - .offset:         40
        .size:           4
        .value_kind:     by_value
      - .offset:         44
        .size:           4
        .value_kind:     by_value
      - .offset:         48
        .size:           4
        .value_kind:     by_value
      - .offset:         52
        .size:           4
        .value_kind:     by_value
      - .offset:         56
        .size:           1
        .value_kind:     by_value
      - .actual_access:  read_only
        .address_space:  global
        .offset:         64
        .size:           8
        .value_kind:     global_buffer
    .group_segment_fixed_size: 256
    .kernarg_segment_align: 8
    .kernarg_segment_size: 72
    .language:       OpenCL C
    .language_version:
      - 2
      - 0
    .max_flat_workgroup_size: 1024
    .name:           _ZN4vllm4gptq33gemm_half_q_half_gptq_3bit_kernelILb1ELi1EEEvPK6__halfPKjS6_S4_PS2_iiiibPKi
    .private_segment_fixed_size: 0
    .sgpr_count:     31
    .sgpr_spill_count: 0
    .symbol:         _ZN4vllm4gptq33gemm_half_q_half_gptq_3bit_kernelILb1ELi1EEEvPK6__halfPKjS6_S4_PS2_iiiibPKi.kd
    .uniform_work_group_size: 1
    .uses_dynamic_stack: false
    .vgpr_count:     92
    .vgpr_spill_count: 0
    .wavefront_size: 32
    .workgroup_processor_mode: 1
  - .args:
      - .actual_access:  read_only
        .address_space:  global
        .offset:         0
        .size:           8
        .value_kind:     global_buffer
      - .actual_access:  read_only
        .address_space:  global
        .offset:         8
        .size:           8
        .value_kind:     global_buffer
      - .actual_access:  read_only
        .address_space:  global
        .offset:         16
        .size:           8
        .value_kind:     global_buffer
      - .actual_access:  read_only
        .address_space:  global
        .offset:         24
        .size:           8
        .value_kind:     global_buffer
      - .address_space:  global
        .offset:         32
        .size:           8
        .value_kind:     global_buffer
      - .offset:         40
        .size:           4
        .value_kind:     by_value
      - .offset:         44
        .size:           4
        .value_kind:     by_value
      - .offset:         48
        .size:           4
        .value_kind:     by_value
      - .offset:         52
        .size:           4
        .value_kind:     by_value
      - .offset:         56
        .size:           1
        .value_kind:     by_value
      - .actual_access:  read_only
        .address_space:  global
        .offset:         64
        .size:           8
        .value_kind:     global_buffer
    .group_segment_fixed_size: 256
    .kernarg_segment_align: 8
    .kernarg_segment_size: 72
    .language:       OpenCL C
    .language_version:
      - 2
      - 0
    .max_flat_workgroup_size: 1024
    .name:           _ZN4vllm4gptq33gemm_half_q_half_gptq_4bit_kernelILb1ELi1EEEvPK6__halfPKjS6_S4_PS2_iiiibPKi
    .private_segment_fixed_size: 0
    .sgpr_count:     24
    .sgpr_spill_count: 0
    .symbol:         _ZN4vllm4gptq33gemm_half_q_half_gptq_4bit_kernelILb1ELi1EEEvPK6__halfPKjS6_S4_PS2_iiiibPKi.kd
    .uniform_work_group_size: 1
    .uses_dynamic_stack: false
    .vgpr_count:     91
    .vgpr_spill_count: 0
    .wavefront_size: 32
    .workgroup_processor_mode: 1
  - .args:
      - .actual_access:  read_only
        .address_space:  global
        .offset:         0
        .size:           8
        .value_kind:     global_buffer
      - .actual_access:  read_only
        .address_space:  global
        .offset:         8
        .size:           8
        .value_kind:     global_buffer
      - .actual_access:  read_only
        .address_space:  global
        .offset:         16
        .size:           8
        .value_kind:     global_buffer
      - .actual_access:  read_only
        .address_space:  global
        .offset:         24
        .size:           8
        .value_kind:     global_buffer
      - .address_space:  global
        .offset:         32
        .size:           8
        .value_kind:     global_buffer
      - .offset:         40
        .size:           4
        .value_kind:     by_value
      - .offset:         44
        .size:           4
        .value_kind:     by_value
      - .offset:         48
        .size:           4
        .value_kind:     by_value
      - .offset:         52
        .size:           4
        .value_kind:     by_value
      - .offset:         56
        .size:           1
        .value_kind:     by_value
      - .actual_access:  read_only
        .address_space:  global
        .offset:         64
        .size:           8
        .value_kind:     global_buffer
    .group_segment_fixed_size: 256
    .kernarg_segment_align: 8
    .kernarg_segment_size: 72
    .language:       OpenCL C
    .language_version:
      - 2
      - 0
    .max_flat_workgroup_size: 1024
    .name:           _ZN4vllm4gptq33gemm_half_q_half_gptq_8bit_kernelILb1ELi1EEEvPK6__halfPKjS6_S4_PS2_iiiibPKi
    .private_segment_fixed_size: 0
    .sgpr_count:     23
    .sgpr_spill_count: 0
    .symbol:         _ZN4vllm4gptq33gemm_half_q_half_gptq_8bit_kernelILb1ELi1EEEvPK6__halfPKjS6_S4_PS2_iiiibPKi.kd
    .uniform_work_group_size: 1
    .uses_dynamic_stack: false
    .vgpr_count:     102
    .vgpr_spill_count: 0
    .wavefront_size: 32
    .workgroup_processor_mode: 1
  - .args:
      - .actual_access:  read_only
        .address_space:  global
        .offset:         0
        .size:           8
        .value_kind:     global_buffer
      - .actual_access:  read_only
        .address_space:  global
        .offset:         8
        .size:           8
        .value_kind:     global_buffer
      - .actual_access:  read_only
        .address_space:  global
        .offset:         16
        .size:           8
        .value_kind:     global_buffer
      - .actual_access:  read_only
        .address_space:  global
        .offset:         24
        .size:           8
        .value_kind:     global_buffer
      - .address_space:  global
        .offset:         32
        .size:           8
        .value_kind:     global_buffer
      - .offset:         40
        .size:           4
        .value_kind:     by_value
      - .offset:         44
        .size:           4
        .value_kind:     by_value
      - .offset:         48
        .size:           4
        .value_kind:     by_value
      - .offset:         52
        .size:           4
        .value_kind:     by_value
      - .offset:         56
        .size:           1
        .value_kind:     by_value
      - .actual_access:  read_only
        .address_space:  global
        .offset:         64
        .size:           8
        .value_kind:     global_buffer
    .group_segment_fixed_size: 512
    .kernarg_segment_align: 8
    .kernarg_segment_size: 72
    .language:       OpenCL C
    .language_version:
      - 2
      - 0
    .max_flat_workgroup_size: 1024
    .name:           _ZN4vllm4gptq33gemm_half_q_half_gptq_2bit_kernelILb1ELi2EEEvPK6__halfPKjS6_S4_PS2_iiiibPKi
    .private_segment_fixed_size: 0
    .sgpr_count:     26
    .sgpr_spill_count: 0
    .symbol:         _ZN4vllm4gptq33gemm_half_q_half_gptq_2bit_kernelILb1ELi2EEEvPK6__halfPKjS6_S4_PS2_iiiibPKi.kd
    .uniform_work_group_size: 1
    .uses_dynamic_stack: false
    .vgpr_count:     80
    .vgpr_spill_count: 0
    .wavefront_size: 32
    .workgroup_processor_mode: 1
  - .args:
      - .actual_access:  read_only
        .address_space:  global
        .offset:         0
        .size:           8
        .value_kind:     global_buffer
      - .actual_access:  read_only
        .address_space:  global
        .offset:         8
        .size:           8
        .value_kind:     global_buffer
      - .actual_access:  read_only
        .address_space:  global
        .offset:         16
        .size:           8
        .value_kind:     global_buffer
      - .actual_access:  read_only
        .address_space:  global
        .offset:         24
        .size:           8
        .value_kind:     global_buffer
      - .address_space:  global
        .offset:         32
        .size:           8
        .value_kind:     global_buffer
      - .offset:         40
        .size:           4
        .value_kind:     by_value
      - .offset:         44
        .size:           4
        .value_kind:     by_value
      - .offset:         48
        .size:           4
        .value_kind:     by_value
      - .offset:         52
        .size:           4
        .value_kind:     by_value
      - .offset:         56
        .size:           1
        .value_kind:     by_value
      - .actual_access:  read_only
        .address_space:  global
        .offset:         64
        .size:           8
        .value_kind:     global_buffer
    .group_segment_fixed_size: 512
    .kernarg_segment_align: 8
    .kernarg_segment_size: 72
    .language:       OpenCL C
    .language_version:
      - 2
      - 0
    .max_flat_workgroup_size: 1024
    .name:           _ZN4vllm4gptq33gemm_half_q_half_gptq_3bit_kernelILb1ELi2EEEvPK6__halfPKjS6_S4_PS2_iiiibPKi
    .private_segment_fixed_size: 0
    .sgpr_count:     31
    .sgpr_spill_count: 0
    .symbol:         _ZN4vllm4gptq33gemm_half_q_half_gptq_3bit_kernelILb1ELi2EEEvPK6__halfPKjS6_S4_PS2_iiiibPKi.kd
    .uniform_work_group_size: 1
    .uses_dynamic_stack: false
    .vgpr_count:     98
    .vgpr_spill_count: 0
    .wavefront_size: 32
    .workgroup_processor_mode: 1
  - .args:
      - .actual_access:  read_only
        .address_space:  global
        .offset:         0
        .size:           8
        .value_kind:     global_buffer
      - .actual_access:  read_only
        .address_space:  global
        .offset:         8
        .size:           8
        .value_kind:     global_buffer
      - .actual_access:  read_only
        .address_space:  global
        .offset:         16
        .size:           8
        .value_kind:     global_buffer
      - .actual_access:  read_only
        .address_space:  global
        .offset:         24
        .size:           8
        .value_kind:     global_buffer
      - .address_space:  global
        .offset:         32
        .size:           8
        .value_kind:     global_buffer
      - .offset:         40
        .size:           4
        .value_kind:     by_value
      - .offset:         44
        .size:           4
        .value_kind:     by_value
      - .offset:         48
        .size:           4
        .value_kind:     by_value
      - .offset:         52
        .size:           4
        .value_kind:     by_value
      - .offset:         56
        .size:           1
        .value_kind:     by_value
      - .actual_access:  read_only
        .address_space:  global
        .offset:         64
        .size:           8
        .value_kind:     global_buffer
    .group_segment_fixed_size: 512
    .kernarg_segment_align: 8
    .kernarg_segment_size: 72
    .language:       OpenCL C
    .language_version:
      - 2
      - 0
    .max_flat_workgroup_size: 1024
    .name:           _ZN4vllm4gptq33gemm_half_q_half_gptq_4bit_kernelILb1ELi2EEEvPK6__halfPKjS6_S4_PS2_iiiibPKi
    .private_segment_fixed_size: 0
    .sgpr_count:     26
    .sgpr_spill_count: 0
    .symbol:         _ZN4vllm4gptq33gemm_half_q_half_gptq_4bit_kernelILb1ELi2EEEvPK6__halfPKjS6_S4_PS2_iiiibPKi.kd
    .uniform_work_group_size: 1
    .uses_dynamic_stack: false
    .vgpr_count:     51
    .vgpr_spill_count: 0
    .wavefront_size: 32
    .workgroup_processor_mode: 1
  - .args:
      - .actual_access:  read_only
        .address_space:  global
        .offset:         0
        .size:           8
        .value_kind:     global_buffer
      - .actual_access:  read_only
        .address_space:  global
        .offset:         8
        .size:           8
        .value_kind:     global_buffer
      - .actual_access:  read_only
        .address_space:  global
        .offset:         16
        .size:           8
        .value_kind:     global_buffer
      - .actual_access:  read_only
        .address_space:  global
        .offset:         24
        .size:           8
        .value_kind:     global_buffer
      - .address_space:  global
        .offset:         32
        .size:           8
        .value_kind:     global_buffer
      - .offset:         40
        .size:           4
        .value_kind:     by_value
      - .offset:         44
        .size:           4
        .value_kind:     by_value
      - .offset:         48
        .size:           4
        .value_kind:     by_value
      - .offset:         52
        .size:           4
        .value_kind:     by_value
      - .offset:         56
        .size:           1
        .value_kind:     by_value
      - .actual_access:  read_only
        .address_space:  global
        .offset:         64
        .size:           8
        .value_kind:     global_buffer
    .group_segment_fixed_size: 512
    .kernarg_segment_align: 8
    .kernarg_segment_size: 72
    .language:       OpenCL C
    .language_version:
      - 2
      - 0
    .max_flat_workgroup_size: 1024
    .name:           _ZN4vllm4gptq33gemm_half_q_half_gptq_8bit_kernelILb1ELi2EEEvPK6__halfPKjS6_S4_PS2_iiiibPKi
    .private_segment_fixed_size: 0
    .sgpr_count:     26
    .sgpr_spill_count: 0
    .symbol:         _ZN4vllm4gptq33gemm_half_q_half_gptq_8bit_kernelILb1ELi2EEEvPK6__halfPKjS6_S4_PS2_iiiibPKi.kd
    .uniform_work_group_size: 1
    .uses_dynamic_stack: false
    .vgpr_count:     78
    .vgpr_spill_count: 0
    .wavefront_size: 32
    .workgroup_processor_mode: 1
  - .args:
      - .actual_access:  read_only
        .address_space:  global
        .offset:         0
        .size:           8
        .value_kind:     global_buffer
      - .actual_access:  read_only
        .address_space:  global
        .offset:         8
        .size:           8
        .value_kind:     global_buffer
      - .actual_access:  read_only
        .address_space:  global
        .offset:         16
        .size:           8
        .value_kind:     global_buffer
      - .actual_access:  read_only
        .address_space:  global
        .offset:         24
        .size:           8
        .value_kind:     global_buffer
      - .address_space:  global
        .offset:         32
        .size:           8
        .value_kind:     global_buffer
      - .offset:         40
        .size:           4
        .value_kind:     by_value
      - .offset:         44
        .size:           4
        .value_kind:     by_value
      - .offset:         48
        .size:           4
        .value_kind:     by_value
      - .offset:         52
        .size:           4
        .value_kind:     by_value
      - .offset:         56
        .size:           1
        .value_kind:     by_value
      - .actual_access:  read_only
        .address_space:  global
        .offset:         64
        .size:           8
        .value_kind:     global_buffer
    .group_segment_fixed_size: 768
    .kernarg_segment_align: 8
    .kernarg_segment_size: 72
    .language:       OpenCL C
    .language_version:
      - 2
      - 0
    .max_flat_workgroup_size: 1024
    .name:           _ZN4vllm4gptq33gemm_half_q_half_gptq_2bit_kernelILb1ELi3EEEvPK6__halfPKjS6_S4_PS2_iiiibPKi
    .private_segment_fixed_size: 0
    .sgpr_count:     26
    .sgpr_spill_count: 0
    .symbol:         _ZN4vllm4gptq33gemm_half_q_half_gptq_2bit_kernelILb1ELi3EEEvPK6__halfPKjS6_S4_PS2_iiiibPKi.kd
    .uniform_work_group_size: 1
    .uses_dynamic_stack: false
    .vgpr_count:     90
    .vgpr_spill_count: 0
    .wavefront_size: 32
    .workgroup_processor_mode: 1
  - .args:
      - .actual_access:  read_only
        .address_space:  global
        .offset:         0
        .size:           8
        .value_kind:     global_buffer
      - .actual_access:  read_only
        .address_space:  global
        .offset:         8
        .size:           8
        .value_kind:     global_buffer
      - .actual_access:  read_only
        .address_space:  global
        .offset:         16
        .size:           8
        .value_kind:     global_buffer
      - .actual_access:  read_only
        .address_space:  global
        .offset:         24
        .size:           8
        .value_kind:     global_buffer
      - .address_space:  global
        .offset:         32
        .size:           8
        .value_kind:     global_buffer
      - .offset:         40
        .size:           4
        .value_kind:     by_value
      - .offset:         44
        .size:           4
        .value_kind:     by_value
      - .offset:         48
        .size:           4
        .value_kind:     by_value
      - .offset:         52
        .size:           4
        .value_kind:     by_value
      - .offset:         56
        .size:           1
        .value_kind:     by_value
      - .actual_access:  read_only
        .address_space:  global
        .offset:         64
        .size:           8
        .value_kind:     global_buffer
    .group_segment_fixed_size: 768
    .kernarg_segment_align: 8
    .kernarg_segment_size: 72
    .language:       OpenCL C
    .language_version:
      - 2
      - 0
    .max_flat_workgroup_size: 1024
    .name:           _ZN4vllm4gptq33gemm_half_q_half_gptq_3bit_kernelILb1ELi3EEEvPK6__halfPKjS6_S4_PS2_iiiibPKi
    .private_segment_fixed_size: 0
    .sgpr_count:     31
    .sgpr_spill_count: 0
    .symbol:         _ZN4vllm4gptq33gemm_half_q_half_gptq_3bit_kernelILb1ELi3EEEvPK6__halfPKjS6_S4_PS2_iiiibPKi.kd
    .uniform_work_group_size: 1
    .uses_dynamic_stack: false
    .vgpr_count:     97
    .vgpr_spill_count: 0
    .wavefront_size: 32
    .workgroup_processor_mode: 1
  - .args:
      - .actual_access:  read_only
        .address_space:  global
        .offset:         0
        .size:           8
        .value_kind:     global_buffer
      - .actual_access:  read_only
        .address_space:  global
        .offset:         8
        .size:           8
        .value_kind:     global_buffer
      - .actual_access:  read_only
        .address_space:  global
        .offset:         16
        .size:           8
        .value_kind:     global_buffer
      - .actual_access:  read_only
        .address_space:  global
        .offset:         24
        .size:           8
        .value_kind:     global_buffer
      - .address_space:  global
        .offset:         32
        .size:           8
        .value_kind:     global_buffer
      - .offset:         40
        .size:           4
        .value_kind:     by_value
      - .offset:         44
        .size:           4
        .value_kind:     by_value
      - .offset:         48
        .size:           4
        .value_kind:     by_value
      - .offset:         52
        .size:           4
        .value_kind:     by_value
      - .offset:         56
        .size:           1
        .value_kind:     by_value
      - .actual_access:  read_only
        .address_space:  global
        .offset:         64
        .size:           8
        .value_kind:     global_buffer
    .group_segment_fixed_size: 768
    .kernarg_segment_align: 8
    .kernarg_segment_size: 72
    .language:       OpenCL C
    .language_version:
      - 2
      - 0
    .max_flat_workgroup_size: 1024
    .name:           _ZN4vllm4gptq33gemm_half_q_half_gptq_4bit_kernelILb1ELi3EEEvPK6__halfPKjS6_S4_PS2_iiiibPKi
    .private_segment_fixed_size: 0
    .sgpr_count:     26
    .sgpr_spill_count: 0
    .symbol:         _ZN4vllm4gptq33gemm_half_q_half_gptq_4bit_kernelILb1ELi3EEEvPK6__halfPKjS6_S4_PS2_iiiibPKi.kd
    .uniform_work_group_size: 1
    .uses_dynamic_stack: false
    .vgpr_count:     55
    .vgpr_spill_count: 0
    .wavefront_size: 32
    .workgroup_processor_mode: 1
  - .args:
      - .actual_access:  read_only
        .address_space:  global
        .offset:         0
        .size:           8
        .value_kind:     global_buffer
      - .actual_access:  read_only
        .address_space:  global
        .offset:         8
        .size:           8
        .value_kind:     global_buffer
      - .actual_access:  read_only
        .address_space:  global
        .offset:         16
        .size:           8
        .value_kind:     global_buffer
      - .actual_access:  read_only
        .address_space:  global
        .offset:         24
        .size:           8
        .value_kind:     global_buffer
      - .address_space:  global
        .offset:         32
        .size:           8
        .value_kind:     global_buffer
      - .offset:         40
        .size:           4
        .value_kind:     by_value
      - .offset:         44
        .size:           4
        .value_kind:     by_value
      - .offset:         48
        .size:           4
        .value_kind:     by_value
      - .offset:         52
        .size:           4
        .value_kind:     by_value
      - .offset:         56
        .size:           1
        .value_kind:     by_value
      - .actual_access:  read_only
        .address_space:  global
        .offset:         64
        .size:           8
        .value_kind:     global_buffer
    .group_segment_fixed_size: 768
    .kernarg_segment_align: 8
    .kernarg_segment_size: 72
    .language:       OpenCL C
    .language_version:
      - 2
      - 0
    .max_flat_workgroup_size: 1024
    .name:           _ZN4vllm4gptq33gemm_half_q_half_gptq_8bit_kernelILb1ELi3EEEvPK6__halfPKjS6_S4_PS2_iiiibPKi
    .private_segment_fixed_size: 0
    .sgpr_count:     26
    .sgpr_spill_count: 0
    .symbol:         _ZN4vllm4gptq33gemm_half_q_half_gptq_8bit_kernelILb1ELi3EEEvPK6__halfPKjS6_S4_PS2_iiiibPKi.kd
    .uniform_work_group_size: 1
    .uses_dynamic_stack: false
    .vgpr_count:     101
    .vgpr_spill_count: 0
    .wavefront_size: 32
    .workgroup_processor_mode: 1
  - .args:
      - .actual_access:  read_only
        .address_space:  global
        .offset:         0
        .size:           8
        .value_kind:     global_buffer
      - .actual_access:  read_only
        .address_space:  global
        .offset:         8
        .size:           8
        .value_kind:     global_buffer
      - .actual_access:  read_only
        .address_space:  global
        .offset:         16
        .size:           8
        .value_kind:     global_buffer
      - .actual_access:  read_only
        .address_space:  global
        .offset:         24
        .size:           8
        .value_kind:     global_buffer
      - .address_space:  global
        .offset:         32
        .size:           8
        .value_kind:     global_buffer
      - .offset:         40
        .size:           4
        .value_kind:     by_value
      - .offset:         44
        .size:           4
        .value_kind:     by_value
      - .offset:         48
        .size:           4
        .value_kind:     by_value
      - .offset:         52
        .size:           4
        .value_kind:     by_value
      - .offset:         56
        .size:           1
        .value_kind:     by_value
      - .actual_access:  read_only
        .address_space:  global
        .offset:         64
        .size:           8
        .value_kind:     global_buffer
    .group_segment_fixed_size: 1024
    .kernarg_segment_align: 8
    .kernarg_segment_size: 72
    .language:       OpenCL C
    .language_version:
      - 2
      - 0
    .max_flat_workgroup_size: 1024
    .name:           _ZN4vllm4gptq33gemm_half_q_half_gptq_2bit_kernelILb1ELi4EEEvPK6__halfPKjS6_S4_PS2_iiiibPKi
    .private_segment_fixed_size: 0
    .sgpr_count:     26
    .sgpr_spill_count: 0
    .symbol:         _ZN4vllm4gptq33gemm_half_q_half_gptq_2bit_kernelILb1ELi4EEEvPK6__halfPKjS6_S4_PS2_iiiibPKi.kd
    .uniform_work_group_size: 1
    .uses_dynamic_stack: false
    .vgpr_count:     95
    .vgpr_spill_count: 0
    .wavefront_size: 32
    .workgroup_processor_mode: 1
  - .args:
      - .actual_access:  read_only
        .address_space:  global
        .offset:         0
        .size:           8
        .value_kind:     global_buffer
      - .actual_access:  read_only
        .address_space:  global
        .offset:         8
        .size:           8
        .value_kind:     global_buffer
      - .actual_access:  read_only
        .address_space:  global
        .offset:         16
        .size:           8
        .value_kind:     global_buffer
      - .actual_access:  read_only
        .address_space:  global
        .offset:         24
        .size:           8
        .value_kind:     global_buffer
      - .address_space:  global
        .offset:         32
        .size:           8
        .value_kind:     global_buffer
      - .offset:         40
        .size:           4
        .value_kind:     by_value
      - .offset:         44
        .size:           4
        .value_kind:     by_value
      - .offset:         48
        .size:           4
        .value_kind:     by_value
      - .offset:         52
        .size:           4
        .value_kind:     by_value
      - .offset:         56
        .size:           1
        .value_kind:     by_value
      - .actual_access:  read_only
        .address_space:  global
        .offset:         64
        .size:           8
        .value_kind:     global_buffer
    .group_segment_fixed_size: 1024
    .kernarg_segment_align: 8
    .kernarg_segment_size: 72
    .language:       OpenCL C
    .language_version:
      - 2
      - 0
    .max_flat_workgroup_size: 1024
    .name:           _ZN4vllm4gptq33gemm_half_q_half_gptq_3bit_kernelILb1ELi4EEEvPK6__halfPKjS6_S4_PS2_iiiibPKi
    .private_segment_fixed_size: 0
    .sgpr_count:     31
    .sgpr_spill_count: 0
    .symbol:         _ZN4vllm4gptq33gemm_half_q_half_gptq_3bit_kernelILb1ELi4EEEvPK6__halfPKjS6_S4_PS2_iiiibPKi.kd
    .uniform_work_group_size: 1
    .uses_dynamic_stack: false
    .vgpr_count:     105
    .vgpr_spill_count: 0
    .wavefront_size: 32
    .workgroup_processor_mode: 1
  - .args:
      - .actual_access:  read_only
        .address_space:  global
        .offset:         0
        .size:           8
        .value_kind:     global_buffer
      - .actual_access:  read_only
        .address_space:  global
        .offset:         8
        .size:           8
        .value_kind:     global_buffer
      - .actual_access:  read_only
        .address_space:  global
        .offset:         16
        .size:           8
        .value_kind:     global_buffer
      - .actual_access:  read_only
        .address_space:  global
        .offset:         24
        .size:           8
        .value_kind:     global_buffer
      - .address_space:  global
        .offset:         32
        .size:           8
        .value_kind:     global_buffer
      - .offset:         40
        .size:           4
        .value_kind:     by_value
      - .offset:         44
        .size:           4
        .value_kind:     by_value
      - .offset:         48
        .size:           4
        .value_kind:     by_value
      - .offset:         52
        .size:           4
        .value_kind:     by_value
      - .offset:         56
        .size:           1
        .value_kind:     by_value
      - .actual_access:  read_only
        .address_space:  global
        .offset:         64
        .size:           8
        .value_kind:     global_buffer
    .group_segment_fixed_size: 1024
    .kernarg_segment_align: 8
    .kernarg_segment_size: 72
    .language:       OpenCL C
    .language_version:
      - 2
      - 0
    .max_flat_workgroup_size: 1024
    .name:           _ZN4vllm4gptq33gemm_half_q_half_gptq_4bit_kernelILb1ELi4EEEvPK6__halfPKjS6_S4_PS2_iiiibPKi
    .private_segment_fixed_size: 0
    .sgpr_count:     26
    .sgpr_spill_count: 0
    .symbol:         _ZN4vllm4gptq33gemm_half_q_half_gptq_4bit_kernelILb1ELi4EEEvPK6__halfPKjS6_S4_PS2_iiiibPKi.kd
    .uniform_work_group_size: 1
    .uses_dynamic_stack: false
    .vgpr_count:     59
    .vgpr_spill_count: 0
    .wavefront_size: 32
    .workgroup_processor_mode: 1
  - .args:
      - .actual_access:  read_only
        .address_space:  global
        .offset:         0
        .size:           8
        .value_kind:     global_buffer
      - .actual_access:  read_only
        .address_space:  global
        .offset:         8
        .size:           8
        .value_kind:     global_buffer
      - .actual_access:  read_only
        .address_space:  global
        .offset:         16
        .size:           8
        .value_kind:     global_buffer
      - .actual_access:  read_only
        .address_space:  global
        .offset:         24
        .size:           8
        .value_kind:     global_buffer
      - .address_space:  global
        .offset:         32
        .size:           8
        .value_kind:     global_buffer
      - .offset:         40
        .size:           4
        .value_kind:     by_value
      - .offset:         44
        .size:           4
        .value_kind:     by_value
      - .offset:         48
        .size:           4
        .value_kind:     by_value
      - .offset:         52
        .size:           4
        .value_kind:     by_value
      - .offset:         56
        .size:           1
        .value_kind:     by_value
      - .actual_access:  read_only
        .address_space:  global
        .offset:         64
        .size:           8
        .value_kind:     global_buffer
    .group_segment_fixed_size: 1024
    .kernarg_segment_align: 8
    .kernarg_segment_size: 72
    .language:       OpenCL C
    .language_version:
      - 2
      - 0
    .max_flat_workgroup_size: 1024
    .name:           _ZN4vllm4gptq33gemm_half_q_half_gptq_8bit_kernelILb1ELi4EEEvPK6__halfPKjS6_S4_PS2_iiiibPKi
    .private_segment_fixed_size: 0
    .sgpr_count:     26
    .sgpr_spill_count: 0
    .symbol:         _ZN4vllm4gptq33gemm_half_q_half_gptq_8bit_kernelILb1ELi4EEEvPK6__halfPKjS6_S4_PS2_iiiibPKi.kd
    .uniform_work_group_size: 1
    .uses_dynamic_stack: false
    .vgpr_count:     92
    .vgpr_spill_count: 0
    .wavefront_size: 32
    .workgroup_processor_mode: 1
  - .args:
      - .actual_access:  read_only
        .address_space:  global
        .offset:         0
        .size:           8
        .value_kind:     global_buffer
      - .actual_access:  read_only
        .address_space:  global
        .offset:         8
        .size:           8
        .value_kind:     global_buffer
      - .actual_access:  read_only
        .address_space:  global
        .offset:         16
        .size:           8
        .value_kind:     global_buffer
      - .actual_access:  read_only
        .address_space:  global
        .offset:         24
        .size:           8
        .value_kind:     global_buffer
      - .address_space:  global
        .offset:         32
        .size:           8
        .value_kind:     global_buffer
      - .offset:         40
        .size:           4
        .value_kind:     by_value
      - .offset:         44
        .size:           4
        .value_kind:     by_value
      - .offset:         48
        .size:           4
        .value_kind:     by_value
      - .offset:         52
        .size:           4
        .value_kind:     by_value
      - .offset:         56
        .size:           1
        .value_kind:     by_value
      - .actual_access:  read_only
        .address_space:  global
        .offset:         64
        .size:           8
        .value_kind:     global_buffer
    .group_segment_fixed_size: 1280
    .kernarg_segment_align: 8
    .kernarg_segment_size: 72
    .language:       OpenCL C
    .language_version:
      - 2
      - 0
    .max_flat_workgroup_size: 1024
    .name:           _ZN4vllm4gptq33gemm_half_q_half_gptq_2bit_kernelILb1ELi5EEEvPK6__halfPKjS6_S4_PS2_iiiibPKi
    .private_segment_fixed_size: 0
    .sgpr_count:     26
    .sgpr_spill_count: 0
    .symbol:         _ZN4vllm4gptq33gemm_half_q_half_gptq_2bit_kernelILb1ELi5EEEvPK6__halfPKjS6_S4_PS2_iiiibPKi.kd
    .uniform_work_group_size: 1
    .uses_dynamic_stack: false
    .vgpr_count:     66
    .vgpr_spill_count: 0
    .wavefront_size: 32
    .workgroup_processor_mode: 1
  - .args:
      - .actual_access:  read_only
        .address_space:  global
        .offset:         0
        .size:           8
        .value_kind:     global_buffer
      - .actual_access:  read_only
        .address_space:  global
        .offset:         8
        .size:           8
        .value_kind:     global_buffer
      - .actual_access:  read_only
        .address_space:  global
        .offset:         16
        .size:           8
        .value_kind:     global_buffer
      - .actual_access:  read_only
        .address_space:  global
        .offset:         24
        .size:           8
        .value_kind:     global_buffer
      - .address_space:  global
        .offset:         32
        .size:           8
        .value_kind:     global_buffer
      - .offset:         40
        .size:           4
        .value_kind:     by_value
      - .offset:         44
        .size:           4
        .value_kind:     by_value
      - .offset:         48
        .size:           4
        .value_kind:     by_value
      - .offset:         52
        .size:           4
        .value_kind:     by_value
      - .offset:         56
        .size:           1
        .value_kind:     by_value
      - .actual_access:  read_only
        .address_space:  global
        .offset:         64
        .size:           8
        .value_kind:     global_buffer
    .group_segment_fixed_size: 1280
    .kernarg_segment_align: 8
    .kernarg_segment_size: 72
    .language:       OpenCL C
    .language_version:
      - 2
      - 0
    .max_flat_workgroup_size: 1024
    .name:           _ZN4vllm4gptq33gemm_half_q_half_gptq_3bit_kernelILb1ELi5EEEvPK6__halfPKjS6_S4_PS2_iiiibPKi
    .private_segment_fixed_size: 0
    .sgpr_count:     31
    .sgpr_spill_count: 0
    .symbol:         _ZN4vllm4gptq33gemm_half_q_half_gptq_3bit_kernelILb1ELi5EEEvPK6__halfPKjS6_S4_PS2_iiiibPKi.kd
    .uniform_work_group_size: 1
    .uses_dynamic_stack: false
    .vgpr_count:     113
    .vgpr_spill_count: 0
    .wavefront_size: 32
    .workgroup_processor_mode: 1
  - .args:
      - .actual_access:  read_only
        .address_space:  global
        .offset:         0
        .size:           8
        .value_kind:     global_buffer
      - .actual_access:  read_only
        .address_space:  global
        .offset:         8
        .size:           8
        .value_kind:     global_buffer
      - .actual_access:  read_only
        .address_space:  global
        .offset:         16
        .size:           8
        .value_kind:     global_buffer
      - .actual_access:  read_only
        .address_space:  global
        .offset:         24
        .size:           8
        .value_kind:     global_buffer
      - .address_space:  global
        .offset:         32
        .size:           8
        .value_kind:     global_buffer
      - .offset:         40
        .size:           4
        .value_kind:     by_value
      - .offset:         44
        .size:           4
        .value_kind:     by_value
      - .offset:         48
        .size:           4
        .value_kind:     by_value
      - .offset:         52
        .size:           4
        .value_kind:     by_value
      - .offset:         56
        .size:           1
        .value_kind:     by_value
      - .actual_access:  read_only
        .address_space:  global
        .offset:         64
        .size:           8
        .value_kind:     global_buffer
    .group_segment_fixed_size: 1280
    .kernarg_segment_align: 8
    .kernarg_segment_size: 72
    .language:       OpenCL C
    .language_version:
      - 2
      - 0
    .max_flat_workgroup_size: 1024
    .name:           _ZN4vllm4gptq33gemm_half_q_half_gptq_4bit_kernelILb1ELi5EEEvPK6__halfPKjS6_S4_PS2_iiiibPKi
    .private_segment_fixed_size: 0
    .sgpr_count:     26
    .sgpr_spill_count: 0
    .symbol:         _ZN4vllm4gptq33gemm_half_q_half_gptq_4bit_kernelILb1ELi5EEEvPK6__halfPKjS6_S4_PS2_iiiibPKi.kd
    .uniform_work_group_size: 1
    .uses_dynamic_stack: false
    .vgpr_count:     63
    .vgpr_spill_count: 0
    .wavefront_size: 32
    .workgroup_processor_mode: 1
  - .args:
      - .actual_access:  read_only
        .address_space:  global
        .offset:         0
        .size:           8
        .value_kind:     global_buffer
      - .actual_access:  read_only
        .address_space:  global
        .offset:         8
        .size:           8
        .value_kind:     global_buffer
      - .actual_access:  read_only
        .address_space:  global
        .offset:         16
        .size:           8
        .value_kind:     global_buffer
      - .actual_access:  read_only
        .address_space:  global
        .offset:         24
        .size:           8
        .value_kind:     global_buffer
      - .address_space:  global
        .offset:         32
        .size:           8
        .value_kind:     global_buffer
      - .offset:         40
        .size:           4
        .value_kind:     by_value
      - .offset:         44
        .size:           4
        .value_kind:     by_value
      - .offset:         48
        .size:           4
        .value_kind:     by_value
      - .offset:         52
        .size:           4
        .value_kind:     by_value
      - .offset:         56
        .size:           1
        .value_kind:     by_value
      - .actual_access:  read_only
        .address_space:  global
        .offset:         64
        .size:           8
        .value_kind:     global_buffer
    .group_segment_fixed_size: 1280
    .kernarg_segment_align: 8
    .kernarg_segment_size: 72
    .language:       OpenCL C
    .language_version:
      - 2
      - 0
    .max_flat_workgroup_size: 1024
    .name:           _ZN4vllm4gptq33gemm_half_q_half_gptq_8bit_kernelILb1ELi5EEEvPK6__halfPKjS6_S4_PS2_iiiibPKi
    .private_segment_fixed_size: 0
    .sgpr_count:     26
    .sgpr_spill_count: 0
    .symbol:         _ZN4vllm4gptq33gemm_half_q_half_gptq_8bit_kernelILb1ELi5EEEvPK6__halfPKjS6_S4_PS2_iiiibPKi.kd
    .uniform_work_group_size: 1
    .uses_dynamic_stack: false
    .vgpr_count:     95
    .vgpr_spill_count: 0
    .wavefront_size: 32
    .workgroup_processor_mode: 1
  - .args:
      - .actual_access:  read_only
        .address_space:  global
        .offset:         0
        .size:           8
        .value_kind:     global_buffer
      - .actual_access:  read_only
        .address_space:  global
        .offset:         8
        .size:           8
        .value_kind:     global_buffer
      - .actual_access:  read_only
        .address_space:  global
        .offset:         16
        .size:           8
        .value_kind:     global_buffer
      - .actual_access:  read_only
        .address_space:  global
        .offset:         24
        .size:           8
        .value_kind:     global_buffer
      - .address_space:  global
        .offset:         32
        .size:           8
        .value_kind:     global_buffer
      - .offset:         40
        .size:           4
        .value_kind:     by_value
      - .offset:         44
        .size:           4
        .value_kind:     by_value
      - .offset:         48
        .size:           4
        .value_kind:     by_value
      - .offset:         52
        .size:           4
        .value_kind:     by_value
      - .offset:         56
        .size:           1
        .value_kind:     by_value
      - .actual_access:  read_only
        .address_space:  global
        .offset:         64
        .size:           8
        .value_kind:     global_buffer
    .group_segment_fixed_size: 1536
    .kernarg_segment_align: 8
    .kernarg_segment_size: 72
    .language:       OpenCL C
    .language_version:
      - 2
      - 0
    .max_flat_workgroup_size: 1024
    .name:           _ZN4vllm4gptq33gemm_half_q_half_gptq_2bit_kernelILb1ELi6EEEvPK6__halfPKjS6_S4_PS2_iiiibPKi
    .private_segment_fixed_size: 0
    .sgpr_count:     26
    .sgpr_spill_count: 0
    .symbol:         _ZN4vllm4gptq33gemm_half_q_half_gptq_2bit_kernelILb1ELi6EEEvPK6__halfPKjS6_S4_PS2_iiiibPKi.kd
    .uniform_work_group_size: 1
    .uses_dynamic_stack: false
    .vgpr_count:     68
    .vgpr_spill_count: 0
    .wavefront_size: 32
    .workgroup_processor_mode: 1
  - .args:
      - .actual_access:  read_only
        .address_space:  global
        .offset:         0
        .size:           8
        .value_kind:     global_buffer
      - .actual_access:  read_only
        .address_space:  global
        .offset:         8
        .size:           8
        .value_kind:     global_buffer
      - .actual_access:  read_only
        .address_space:  global
        .offset:         16
        .size:           8
        .value_kind:     global_buffer
      - .actual_access:  read_only
        .address_space:  global
        .offset:         24
        .size:           8
        .value_kind:     global_buffer
      - .address_space:  global
        .offset:         32
        .size:           8
        .value_kind:     global_buffer
      - .offset:         40
        .size:           4
        .value_kind:     by_value
      - .offset:         44
        .size:           4
        .value_kind:     by_value
      - .offset:         48
        .size:           4
        .value_kind:     by_value
      - .offset:         52
        .size:           4
        .value_kind:     by_value
      - .offset:         56
        .size:           1
        .value_kind:     by_value
      - .actual_access:  read_only
        .address_space:  global
        .offset:         64
        .size:           8
        .value_kind:     global_buffer
    .group_segment_fixed_size: 1536
    .kernarg_segment_align: 8
    .kernarg_segment_size: 72
    .language:       OpenCL C
    .language_version:
      - 2
      - 0
    .max_flat_workgroup_size: 1024
    .name:           _ZN4vllm4gptq33gemm_half_q_half_gptq_3bit_kernelILb1ELi6EEEvPK6__halfPKjS6_S4_PS2_iiiibPKi
    .private_segment_fixed_size: 0
    .sgpr_count:     31
    .sgpr_spill_count: 0
    .symbol:         _ZN4vllm4gptq33gemm_half_q_half_gptq_3bit_kernelILb1ELi6EEEvPK6__halfPKjS6_S4_PS2_iiiibPKi.kd
    .uniform_work_group_size: 1
    .uses_dynamic_stack: false
    .vgpr_count:     121
    .vgpr_spill_count: 0
    .wavefront_size: 32
    .workgroup_processor_mode: 1
  - .args:
      - .actual_access:  read_only
        .address_space:  global
        .offset:         0
        .size:           8
        .value_kind:     global_buffer
      - .actual_access:  read_only
        .address_space:  global
        .offset:         8
        .size:           8
        .value_kind:     global_buffer
      - .actual_access:  read_only
        .address_space:  global
        .offset:         16
        .size:           8
        .value_kind:     global_buffer
      - .actual_access:  read_only
        .address_space:  global
        .offset:         24
        .size:           8
        .value_kind:     global_buffer
      - .address_space:  global
        .offset:         32
        .size:           8
        .value_kind:     global_buffer
      - .offset:         40
        .size:           4
        .value_kind:     by_value
      - .offset:         44
        .size:           4
        .value_kind:     by_value
      - .offset:         48
        .size:           4
        .value_kind:     by_value
      - .offset:         52
        .size:           4
        .value_kind:     by_value
      - .offset:         56
        .size:           1
        .value_kind:     by_value
      - .actual_access:  read_only
        .address_space:  global
        .offset:         64
        .size:           8
        .value_kind:     global_buffer
    .group_segment_fixed_size: 1536
    .kernarg_segment_align: 8
    .kernarg_segment_size: 72
    .language:       OpenCL C
    .language_version:
      - 2
      - 0
    .max_flat_workgroup_size: 1024
    .name:           _ZN4vllm4gptq33gemm_half_q_half_gptq_4bit_kernelILb1ELi6EEEvPK6__halfPKjS6_S4_PS2_iiiibPKi
    .private_segment_fixed_size: 0
    .sgpr_count:     26
    .sgpr_spill_count: 0
    .symbol:         _ZN4vllm4gptq33gemm_half_q_half_gptq_4bit_kernelILb1ELi6EEEvPK6__halfPKjS6_S4_PS2_iiiibPKi.kd
    .uniform_work_group_size: 1
    .uses_dynamic_stack: false
    .vgpr_count:     67
    .vgpr_spill_count: 0
    .wavefront_size: 32
    .workgroup_processor_mode: 1
  - .args:
      - .actual_access:  read_only
        .address_space:  global
        .offset:         0
        .size:           8
        .value_kind:     global_buffer
      - .actual_access:  read_only
        .address_space:  global
        .offset:         8
        .size:           8
        .value_kind:     global_buffer
      - .actual_access:  read_only
        .address_space:  global
        .offset:         16
        .size:           8
        .value_kind:     global_buffer
      - .actual_access:  read_only
        .address_space:  global
        .offset:         24
        .size:           8
        .value_kind:     global_buffer
      - .address_space:  global
        .offset:         32
        .size:           8
        .value_kind:     global_buffer
      - .offset:         40
        .size:           4
        .value_kind:     by_value
      - .offset:         44
        .size:           4
        .value_kind:     by_value
      - .offset:         48
        .size:           4
        .value_kind:     by_value
      - .offset:         52
        .size:           4
        .value_kind:     by_value
      - .offset:         56
        .size:           1
        .value_kind:     by_value
      - .actual_access:  read_only
        .address_space:  global
        .offset:         64
        .size:           8
        .value_kind:     global_buffer
    .group_segment_fixed_size: 1536
    .kernarg_segment_align: 8
    .kernarg_segment_size: 72
    .language:       OpenCL C
    .language_version:
      - 2
      - 0
    .max_flat_workgroup_size: 1024
    .name:           _ZN4vllm4gptq33gemm_half_q_half_gptq_8bit_kernelILb1ELi6EEEvPK6__halfPKjS6_S4_PS2_iiiibPKi
    .private_segment_fixed_size: 0
    .sgpr_count:     26
    .sgpr_spill_count: 0
    .symbol:         _ZN4vllm4gptq33gemm_half_q_half_gptq_8bit_kernelILb1ELi6EEEvPK6__halfPKjS6_S4_PS2_iiiibPKi.kd
    .uniform_work_group_size: 1
    .uses_dynamic_stack: false
    .vgpr_count:     102
    .vgpr_spill_count: 0
    .wavefront_size: 32
    .workgroup_processor_mode: 1
  - .args:
      - .actual_access:  read_only
        .address_space:  global
        .offset:         0
        .size:           8
        .value_kind:     global_buffer
      - .actual_access:  read_only
        .address_space:  global
        .offset:         8
        .size:           8
        .value_kind:     global_buffer
      - .actual_access:  read_only
        .address_space:  global
        .offset:         16
        .size:           8
        .value_kind:     global_buffer
      - .actual_access:  read_only
        .address_space:  global
        .offset:         24
        .size:           8
        .value_kind:     global_buffer
      - .address_space:  global
        .offset:         32
        .size:           8
        .value_kind:     global_buffer
      - .offset:         40
        .size:           4
        .value_kind:     by_value
      - .offset:         44
        .size:           4
        .value_kind:     by_value
      - .offset:         48
        .size:           4
        .value_kind:     by_value
      - .offset:         52
        .size:           4
        .value_kind:     by_value
      - .offset:         56
        .size:           1
        .value_kind:     by_value
      - .actual_access:  read_only
        .address_space:  global
        .offset:         64
        .size:           8
        .value_kind:     global_buffer
    .group_segment_fixed_size: 1792
    .kernarg_segment_align: 8
    .kernarg_segment_size: 72
    .language:       OpenCL C
    .language_version:
      - 2
      - 0
    .max_flat_workgroup_size: 1024
    .name:           _ZN4vllm4gptq33gemm_half_q_half_gptq_2bit_kernelILb1ELi7EEEvPK6__halfPKjS6_S4_PS2_iiiibPKi
    .private_segment_fixed_size: 0
    .sgpr_count:     26
    .sgpr_spill_count: 0
    .symbol:         _ZN4vllm4gptq33gemm_half_q_half_gptq_2bit_kernelILb1ELi7EEEvPK6__halfPKjS6_S4_PS2_iiiibPKi.kd
    .uniform_work_group_size: 1
    .uses_dynamic_stack: false
    .vgpr_count:     70
    .vgpr_spill_count: 0
    .wavefront_size: 32
    .workgroup_processor_mode: 1
  - .args:
      - .actual_access:  read_only
        .address_space:  global
        .offset:         0
        .size:           8
        .value_kind:     global_buffer
      - .actual_access:  read_only
        .address_space:  global
        .offset:         8
        .size:           8
        .value_kind:     global_buffer
      - .actual_access:  read_only
        .address_space:  global
        .offset:         16
        .size:           8
        .value_kind:     global_buffer
      - .actual_access:  read_only
        .address_space:  global
        .offset:         24
        .size:           8
        .value_kind:     global_buffer
      - .address_space:  global
        .offset:         32
        .size:           8
        .value_kind:     global_buffer
      - .offset:         40
        .size:           4
        .value_kind:     by_value
      - .offset:         44
        .size:           4
        .value_kind:     by_value
      - .offset:         48
        .size:           4
        .value_kind:     by_value
      - .offset:         52
        .size:           4
        .value_kind:     by_value
      - .offset:         56
        .size:           1
        .value_kind:     by_value
      - .actual_access:  read_only
        .address_space:  global
        .offset:         64
        .size:           8
        .value_kind:     global_buffer
    .group_segment_fixed_size: 1792
    .kernarg_segment_align: 8
    .kernarg_segment_size: 72
    .language:       OpenCL C
    .language_version:
      - 2
      - 0
    .max_flat_workgroup_size: 1024
    .name:           _ZN4vllm4gptq33gemm_half_q_half_gptq_3bit_kernelILb1ELi7EEEvPK6__halfPKjS6_S4_PS2_iiiibPKi
    .private_segment_fixed_size: 0
    .sgpr_count:     31
    .sgpr_spill_count: 0
    .symbol:         _ZN4vllm4gptq33gemm_half_q_half_gptq_3bit_kernelILb1ELi7EEEvPK6__halfPKjS6_S4_PS2_iiiibPKi.kd
    .uniform_work_group_size: 1
    .uses_dynamic_stack: false
    .vgpr_count:     112
    .vgpr_spill_count: 0
    .wavefront_size: 32
    .workgroup_processor_mode: 1
  - .args:
      - .actual_access:  read_only
        .address_space:  global
        .offset:         0
        .size:           8
        .value_kind:     global_buffer
      - .actual_access:  read_only
        .address_space:  global
        .offset:         8
        .size:           8
        .value_kind:     global_buffer
      - .actual_access:  read_only
        .address_space:  global
        .offset:         16
        .size:           8
        .value_kind:     global_buffer
      - .actual_access:  read_only
        .address_space:  global
        .offset:         24
        .size:           8
        .value_kind:     global_buffer
      - .address_space:  global
        .offset:         32
        .size:           8
        .value_kind:     global_buffer
      - .offset:         40
        .size:           4
        .value_kind:     by_value
      - .offset:         44
        .size:           4
        .value_kind:     by_value
      - .offset:         48
        .size:           4
        .value_kind:     by_value
      - .offset:         52
        .size:           4
        .value_kind:     by_value
      - .offset:         56
        .size:           1
        .value_kind:     by_value
      - .actual_access:  read_only
        .address_space:  global
        .offset:         64
        .size:           8
        .value_kind:     global_buffer
    .group_segment_fixed_size: 1792
    .kernarg_segment_align: 8
    .kernarg_segment_size: 72
    .language:       OpenCL C
    .language_version:
      - 2
      - 0
    .max_flat_workgroup_size: 1024
    .name:           _ZN4vllm4gptq33gemm_half_q_half_gptq_4bit_kernelILb1ELi7EEEvPK6__halfPKjS6_S4_PS2_iiiibPKi
    .private_segment_fixed_size: 0
    .sgpr_count:     26
    .sgpr_spill_count: 0
    .symbol:         _ZN4vllm4gptq33gemm_half_q_half_gptq_4bit_kernelILb1ELi7EEEvPK6__halfPKjS6_S4_PS2_iiiibPKi.kd
    .uniform_work_group_size: 1
    .uses_dynamic_stack: false
    .vgpr_count:     71
    .vgpr_spill_count: 0
    .wavefront_size: 32
    .workgroup_processor_mode: 1
  - .args:
      - .actual_access:  read_only
        .address_space:  global
        .offset:         0
        .size:           8
        .value_kind:     global_buffer
      - .actual_access:  read_only
        .address_space:  global
        .offset:         8
        .size:           8
        .value_kind:     global_buffer
      - .actual_access:  read_only
        .address_space:  global
        .offset:         16
        .size:           8
        .value_kind:     global_buffer
      - .actual_access:  read_only
        .address_space:  global
        .offset:         24
        .size:           8
        .value_kind:     global_buffer
      - .address_space:  global
        .offset:         32
        .size:           8
        .value_kind:     global_buffer
      - .offset:         40
        .size:           4
        .value_kind:     by_value
      - .offset:         44
        .size:           4
        .value_kind:     by_value
      - .offset:         48
        .size:           4
        .value_kind:     by_value
      - .offset:         52
        .size:           4
        .value_kind:     by_value
      - .offset:         56
        .size:           1
        .value_kind:     by_value
      - .actual_access:  read_only
        .address_space:  global
        .offset:         64
        .size:           8
        .value_kind:     global_buffer
    .group_segment_fixed_size: 1792
    .kernarg_segment_align: 8
    .kernarg_segment_size: 72
    .language:       OpenCL C
    .language_version:
      - 2
      - 0
    .max_flat_workgroup_size: 1024
    .name:           _ZN4vllm4gptq33gemm_half_q_half_gptq_8bit_kernelILb1ELi7EEEvPK6__halfPKjS6_S4_PS2_iiiibPKi
    .private_segment_fixed_size: 0
    .sgpr_count:     26
    .sgpr_spill_count: 0
    .symbol:         _ZN4vllm4gptq33gemm_half_q_half_gptq_8bit_kernelILb1ELi7EEEvPK6__halfPKjS6_S4_PS2_iiiibPKi.kd
    .uniform_work_group_size: 1
    .uses_dynamic_stack: false
    .vgpr_count:     110
    .vgpr_spill_count: 0
    .wavefront_size: 32
    .workgroup_processor_mode: 1
  - .args:
      - .actual_access:  read_only
        .address_space:  global
        .offset:         0
        .size:           8
        .value_kind:     global_buffer
      - .actual_access:  read_only
        .address_space:  global
        .offset:         8
        .size:           8
        .value_kind:     global_buffer
      - .actual_access:  read_only
        .address_space:  global
        .offset:         16
        .size:           8
        .value_kind:     global_buffer
      - .actual_access:  read_only
        .address_space:  global
        .offset:         24
        .size:           8
        .value_kind:     global_buffer
      - .address_space:  global
        .offset:         32
        .size:           8
        .value_kind:     global_buffer
      - .offset:         40
        .size:           4
        .value_kind:     by_value
      - .offset:         44
        .size:           4
        .value_kind:     by_value
      - .offset:         48
        .size:           4
        .value_kind:     by_value
      - .offset:         52
        .size:           4
        .value_kind:     by_value
      - .offset:         56
        .size:           1
        .value_kind:     by_value
      - .actual_access:  read_only
        .address_space:  global
        .offset:         64
        .size:           8
        .value_kind:     global_buffer
    .group_segment_fixed_size: 2048
    .kernarg_segment_align: 8
    .kernarg_segment_size: 72
    .language:       OpenCL C
    .language_version:
      - 2
      - 0
    .max_flat_workgroup_size: 1024
    .name:           _ZN4vllm4gptq33gemm_half_q_half_gptq_2bit_kernelILb1ELi8EEEvPK6__halfPKjS6_S4_PS2_iiiibPKi
    .private_segment_fixed_size: 0
    .sgpr_count:     26
    .sgpr_spill_count: 0
    .symbol:         _ZN4vllm4gptq33gemm_half_q_half_gptq_2bit_kernelILb1ELi8EEEvPK6__halfPKjS6_S4_PS2_iiiibPKi.kd
    .uniform_work_group_size: 1
    .uses_dynamic_stack: false
    .vgpr_count:     72
    .vgpr_spill_count: 0
    .wavefront_size: 32
    .workgroup_processor_mode: 1
  - .args:
      - .actual_access:  read_only
        .address_space:  global
        .offset:         0
        .size:           8
        .value_kind:     global_buffer
      - .actual_access:  read_only
        .address_space:  global
        .offset:         8
        .size:           8
        .value_kind:     global_buffer
      - .actual_access:  read_only
        .address_space:  global
        .offset:         16
        .size:           8
        .value_kind:     global_buffer
      - .actual_access:  read_only
        .address_space:  global
        .offset:         24
        .size:           8
        .value_kind:     global_buffer
      - .address_space:  global
        .offset:         32
        .size:           8
        .value_kind:     global_buffer
      - .offset:         40
        .size:           4
        .value_kind:     by_value
      - .offset:         44
        .size:           4
        .value_kind:     by_value
      - .offset:         48
        .size:           4
        .value_kind:     by_value
      - .offset:         52
        .size:           4
        .value_kind:     by_value
      - .offset:         56
        .size:           1
        .value_kind:     by_value
      - .actual_access:  read_only
        .address_space:  global
        .offset:         64
        .size:           8
        .value_kind:     global_buffer
    .group_segment_fixed_size: 2048
    .kernarg_segment_align: 8
    .kernarg_segment_size: 72
    .language:       OpenCL C
    .language_version:
      - 2
      - 0
    .max_flat_workgroup_size: 1024
    .name:           _ZN4vllm4gptq33gemm_half_q_half_gptq_3bit_kernelILb1ELi8EEEvPK6__halfPKjS6_S4_PS2_iiiibPKi
    .private_segment_fixed_size: 0
    .sgpr_count:     31
    .sgpr_spill_count: 0
    .symbol:         _ZN4vllm4gptq33gemm_half_q_half_gptq_3bit_kernelILb1ELi8EEEvPK6__halfPKjS6_S4_PS2_iiiibPKi.kd
    .uniform_work_group_size: 1
    .uses_dynamic_stack: false
    .vgpr_count:     114
    .vgpr_spill_count: 0
    .wavefront_size: 32
    .workgroup_processor_mode: 1
  - .args:
      - .actual_access:  read_only
        .address_space:  global
        .offset:         0
        .size:           8
        .value_kind:     global_buffer
      - .actual_access:  read_only
        .address_space:  global
        .offset:         8
        .size:           8
        .value_kind:     global_buffer
      - .actual_access:  read_only
        .address_space:  global
        .offset:         16
        .size:           8
        .value_kind:     global_buffer
      - .actual_access:  read_only
        .address_space:  global
        .offset:         24
        .size:           8
        .value_kind:     global_buffer
      - .address_space:  global
        .offset:         32
        .size:           8
        .value_kind:     global_buffer
      - .offset:         40
        .size:           4
        .value_kind:     by_value
      - .offset:         44
        .size:           4
        .value_kind:     by_value
      - .offset:         48
        .size:           4
        .value_kind:     by_value
      - .offset:         52
        .size:           4
        .value_kind:     by_value
      - .offset:         56
        .size:           1
        .value_kind:     by_value
      - .actual_access:  read_only
        .address_space:  global
        .offset:         64
        .size:           8
        .value_kind:     global_buffer
    .group_segment_fixed_size: 2048
    .kernarg_segment_align: 8
    .kernarg_segment_size: 72
    .language:       OpenCL C
    .language_version:
      - 2
      - 0
    .max_flat_workgroup_size: 1024
    .name:           _ZN4vllm4gptq33gemm_half_q_half_gptq_4bit_kernelILb1ELi8EEEvPK6__halfPKjS6_S4_PS2_iiiibPKi
    .private_segment_fixed_size: 0
    .sgpr_count:     26
    .sgpr_spill_count: 0
    .symbol:         _ZN4vllm4gptq33gemm_half_q_half_gptq_4bit_kernelILb1ELi8EEEvPK6__halfPKjS6_S4_PS2_iiiibPKi.kd
    .uniform_work_group_size: 1
    .uses_dynamic_stack: false
    .vgpr_count:     75
    .vgpr_spill_count: 0
    .wavefront_size: 32
    .workgroup_processor_mode: 1
  - .args:
      - .actual_access:  read_only
        .address_space:  global
        .offset:         0
        .size:           8
        .value_kind:     global_buffer
      - .actual_access:  read_only
        .address_space:  global
        .offset:         8
        .size:           8
        .value_kind:     global_buffer
      - .actual_access:  read_only
        .address_space:  global
        .offset:         16
        .size:           8
        .value_kind:     global_buffer
      - .actual_access:  read_only
        .address_space:  global
        .offset:         24
        .size:           8
        .value_kind:     global_buffer
      - .address_space:  global
        .offset:         32
        .size:           8
        .value_kind:     global_buffer
      - .offset:         40
        .size:           4
        .value_kind:     by_value
      - .offset:         44
        .size:           4
        .value_kind:     by_value
      - .offset:         48
        .size:           4
        .value_kind:     by_value
      - .offset:         52
        .size:           4
        .value_kind:     by_value
      - .offset:         56
        .size:           1
        .value_kind:     by_value
      - .actual_access:  read_only
        .address_space:  global
        .offset:         64
        .size:           8
        .value_kind:     global_buffer
    .group_segment_fixed_size: 2048
    .kernarg_segment_align: 8
    .kernarg_segment_size: 72
    .language:       OpenCL C
    .language_version:
      - 2
      - 0
    .max_flat_workgroup_size: 1024
    .name:           _ZN4vllm4gptq33gemm_half_q_half_gptq_8bit_kernelILb1ELi8EEEvPK6__halfPKjS6_S4_PS2_iiiibPKi
    .private_segment_fixed_size: 0
    .sgpr_count:     26
    .sgpr_spill_count: 0
    .symbol:         _ZN4vllm4gptq33gemm_half_q_half_gptq_8bit_kernelILb1ELi8EEEvPK6__halfPKjS6_S4_PS2_iiiibPKi.kd
    .uniform_work_group_size: 1
    .uses_dynamic_stack: false
    .vgpr_count:     121
    .vgpr_spill_count: 0
    .wavefront_size: 32
    .workgroup_processor_mode: 1
  - .args:
      - .actual_access:  read_only
        .address_space:  global
        .offset:         0
        .size:           8
        .value_kind:     global_buffer
      - .actual_access:  read_only
        .address_space:  global
        .offset:         8
        .size:           8
        .value_kind:     global_buffer
      - .actual_access:  read_only
        .address_space:  global
        .offset:         16
        .size:           8
        .value_kind:     global_buffer
      - .actual_access:  read_only
        .address_space:  global
        .offset:         24
        .size:           8
        .value_kind:     global_buffer
      - .offset:         32
        .size:           4
        .value_kind:     by_value
      - .offset:         36
        .size:           4
        .value_kind:     by_value
      - .offset:         40
        .size:           4
        .value_kind:     by_value
      - .offset:         44
        .size:           1
        .value_kind:     by_value
      - .actual_access:  write_only
        .address_space:  global
        .offset:         48
        .size:           8
        .value_kind:     global_buffer
    .group_segment_fixed_size: 0
    .kernarg_segment_align: 8
    .kernarg_segment_size: 56
    .language:       OpenCL C
    .language_version:
      - 2
      - 0
    .max_flat_workgroup_size: 1024
    .name:           _ZN4vllm4gptq23reconstruct_gptq_kernelINS0_17MatrixView_q4_rowELi4EEEvPKjPK6__halfS4_PKiiiibPS5_
    .private_segment_fixed_size: 0
    .sgpr_count:     26
    .sgpr_spill_count: 0
    .symbol:         _ZN4vllm4gptq23reconstruct_gptq_kernelINS0_17MatrixView_q4_rowELi4EEEvPKjPK6__halfS4_PKiiiibPS5_.kd
    .uniform_work_group_size: 1
    .uses_dynamic_stack: false
    .vgpr_count:     42
    .vgpr_spill_count: 0
    .wavefront_size: 32
    .workgroup_processor_mode: 1
  - .args:
      - .actual_access:  read_only
        .address_space:  global
        .offset:         0
        .size:           8
        .value_kind:     global_buffer
      - .actual_access:  read_only
        .address_space:  global
        .offset:         8
        .size:           8
        .value_kind:     global_buffer
      - .actual_access:  read_only
        .address_space:  global
        .offset:         16
        .size:           8
        .value_kind:     global_buffer
      - .actual_access:  read_only
        .address_space:  global
        .offset:         24
        .size:           8
        .value_kind:     global_buffer
      - .offset:         32
        .size:           4
        .value_kind:     by_value
      - .offset:         36
        .size:           4
        .value_kind:     by_value
      - .offset:         40
        .size:           4
        .value_kind:     by_value
      - .offset:         44
        .size:           1
        .value_kind:     by_value
      - .actual_access:  write_only
        .address_space:  global
        .offset:         48
        .size:           8
        .value_kind:     global_buffer
    .group_segment_fixed_size: 0
    .kernarg_segment_align: 8
    .kernarg_segment_size: 56
    .language:       OpenCL C
    .language_version:
      - 2
      - 0
    .max_flat_workgroup_size: 1024
    .name:           _ZN4vllm4gptq23reconstruct_gptq_kernelINS0_17MatrixView_q2_rowELi2EEEvPKjPK6__halfS4_PKiiiibPS5_
    .private_segment_fixed_size: 0
    .sgpr_count:     32
    .sgpr_spill_count: 0
    .symbol:         _ZN4vllm4gptq23reconstruct_gptq_kernelINS0_17MatrixView_q2_rowELi2EEEvPKjPK6__halfS4_PKiiiibPS5_.kd
    .uniform_work_group_size: 1
    .uses_dynamic_stack: false
    .vgpr_count:     61
    .vgpr_spill_count: 0
    .wavefront_size: 32
    .workgroup_processor_mode: 1
  - .args:
      - .actual_access:  read_only
        .address_space:  global
        .offset:         0
        .size:           8
        .value_kind:     global_buffer
      - .actual_access:  read_only
        .address_space:  global
        .offset:         8
        .size:           8
        .value_kind:     global_buffer
      - .actual_access:  read_only
        .address_space:  global
        .offset:         16
        .size:           8
        .value_kind:     global_buffer
      - .actual_access:  read_only
        .address_space:  global
        .offset:         24
        .size:           8
        .value_kind:     global_buffer
      - .offset:         32
        .size:           4
        .value_kind:     by_value
      - .offset:         36
        .size:           4
        .value_kind:     by_value
      - .offset:         40
        .size:           4
        .value_kind:     by_value
      - .offset:         44
        .size:           1
        .value_kind:     by_value
      - .actual_access:  write_only
        .address_space:  global
        .offset:         48
        .size:           8
        .value_kind:     global_buffer
    .group_segment_fixed_size: 0
    .kernarg_segment_align: 8
    .kernarg_segment_size: 56
    .language:       OpenCL C
    .language_version:
      - 2
      - 0
    .max_flat_workgroup_size: 1024
    .name:           _ZN4vllm4gptq23reconstruct_gptq_kernelINS0_17MatrixView_q8_rowELi8EEEvPKjPK6__halfS4_PKiiiibPS5_
    .private_segment_fixed_size: 0
    .sgpr_count:     19
    .sgpr_spill_count: 0
    .symbol:         _ZN4vllm4gptq23reconstruct_gptq_kernelINS0_17MatrixView_q8_rowELi8EEEvPKjPK6__halfS4_PKiiiibPS5_.kd
    .uniform_work_group_size: 1
    .uses_dynamic_stack: false
    .vgpr_count:     21
    .vgpr_spill_count: 0
    .wavefront_size: 32
    .workgroup_processor_mode: 1
amdhsa.target:   amdgcn-amd-amdhsa--gfx1100
amdhsa.version:
  - 1
  - 2
...

	.end_amdgpu_metadata
